;; amdgpu-corpus repo=ROCm/rocSPARSE kind=compiled arch=gfx1250 opt=O3
	.amdgcn_target "amdgcn-amd-amdhsa--gfx1250"
	.amdhsa_code_object_version 6
	.section	.text._ZN9rocsparseL19gebsrmvn_4xn_kernelILj128ELj1ELj4EfEEvi20rocsparse_direction_NS_24const_host_device_scalarIT2_EEPKiS6_PKS3_S8_S4_PS3_21rocsparse_index_base_b,"axG",@progbits,_ZN9rocsparseL19gebsrmvn_4xn_kernelILj128ELj1ELj4EfEEvi20rocsparse_direction_NS_24const_host_device_scalarIT2_EEPKiS6_PKS3_S8_S4_PS3_21rocsparse_index_base_b,comdat
	.globl	_ZN9rocsparseL19gebsrmvn_4xn_kernelILj128ELj1ELj4EfEEvi20rocsparse_direction_NS_24const_host_device_scalarIT2_EEPKiS6_PKS3_S8_S4_PS3_21rocsparse_index_base_b ; -- Begin function _ZN9rocsparseL19gebsrmvn_4xn_kernelILj128ELj1ELj4EfEEvi20rocsparse_direction_NS_24const_host_device_scalarIT2_EEPKiS6_PKS3_S8_S4_PS3_21rocsparse_index_base_b
	.p2align	8
	.type	_ZN9rocsparseL19gebsrmvn_4xn_kernelILj128ELj1ELj4EfEEvi20rocsparse_direction_NS_24const_host_device_scalarIT2_EEPKiS6_PKS3_S8_S4_PS3_21rocsparse_index_base_b,@function
_ZN9rocsparseL19gebsrmvn_4xn_kernelILj128ELj1ELj4EfEEvi20rocsparse_direction_NS_24const_host_device_scalarIT2_EEPKiS6_PKS3_S8_S4_PS3_21rocsparse_index_base_b: ; @_ZN9rocsparseL19gebsrmvn_4xn_kernelILj128ELj1ELj4EfEEvi20rocsparse_direction_NS_24const_host_device_scalarIT2_EEPKiS6_PKS3_S8_S4_PS3_21rocsparse_index_base_b
; %bb.0:
	s_clause 0x2
	s_load_b64 s[16:17], s[0:1], 0x40
	s_load_b64 s[14:15], s[0:1], 0x8
	;; [unrolled: 1-line block ×3, first 2 shown]
	s_wait_kmcnt 0x0
	s_bitcmp1_b32 s17, 0
	s_cselect_b32 s2, -1, 0
	s_delay_alu instid0(SALU_CYCLE_1)
	s_and_b32 vcc_lo, exec_lo, s2
	s_xor_b32 s2, s2, -1
	s_cbranch_vccnz .LBB0_2
; %bb.1:
	s_load_b32 s14, s[14:15], 0x0
.LBB0_2:
	s_and_not1_b32 vcc_lo, exec_lo, s2
	s_cbranch_vccnz .LBB0_4
; %bb.3:
	s_load_b32 s12, s[12:13], 0x0
.LBB0_4:
	s_wait_kmcnt 0x0
	s_cmp_eq_f32 s14, 0
	s_cselect_b32 s2, -1, 0
	s_cmp_eq_f32 s12, 1.0
	s_cselect_b32 s3, -1, 0
	s_delay_alu instid0(SALU_CYCLE_1) | instskip(NEXT) | instid1(SALU_CYCLE_1)
	s_and_b32 s2, s2, s3
	s_and_b32 vcc_lo, exec_lo, s2
	s_cbranch_vccnz .LBB0_23
; %bb.5:
	s_load_b64 s[2:3], s[0:1], 0x0
	s_bfe_u32 s4, ttmp6, 0x4000c
	s_and_b32 s5, ttmp6, 15
	s_add_co_i32 s4, s4, 1
	s_getreg_b32 s6, hwreg(HW_REG_IB_STS2, 6, 4)
	s_mul_i32 s4, ttmp9, s4
	v_lshrrev_b32_e32 v1, 2, v0
	s_add_co_i32 s5, s5, s4
	s_cmp_eq_u32 s6, 0
	s_cselect_b32 s4, ttmp9, s5
	s_delay_alu instid0(VALU_DEP_1) | instid1(SALU_CYCLE_1)
	v_lshl_or_b32 v2, s4, 5, v1
	s_wait_kmcnt 0x0
	s_delay_alu instid0(VALU_DEP_1)
	v_cmp_gt_i32_e32 vcc_lo, s2, v2
	s_and_saveexec_b32 s2, vcc_lo
	s_cbranch_execz .LBB0_23
; %bb.6:
	s_load_b256 s[4:11], s[0:1], 0x10
	v_ashrrev_i32_e32 v3, 31, v2
	s_cmp_lg_u32 s3, 0
	s_wait_kmcnt 0x0
	s_delay_alu instid0(VALU_DEP_1)
	v_lshl_add_u64 v[4:5], v[2:3], 2, s[4:5]
	v_and_b32_e32 v3, 3, v0
	global_load_b64 v[4:5], v[4:5], off
	s_wait_loadcnt 0x0
	v_subrev_nc_u32_e32 v0, s16, v4
	v_subrev_nc_u32_e32 v8, s16, v5
	s_delay_alu instid0(VALU_DEP_2) | instskip(NEXT) | instid1(VALU_DEP_1)
	v_add_nc_u32_e32 v9, v0, v3
	v_cmp_lt_i32_e64 s2, v9, v8
	s_cbranch_scc0 .LBB0_12
; %bb.7:
	v_mov_b32_e32 v1, 0
	s_delay_alu instid0(VALU_DEP_1)
	v_dual_mov_b32 v0, v1 :: v_dual_mov_b32 v5, v1
	v_mov_b32_e32 v4, v1
	s_and_saveexec_b32 s3, s2
	s_cbranch_execz .LBB0_11
; %bb.8:
	v_dual_mov_b32 v7, 0 :: v_dual_lshlrev_b32 v6, 2, v9
	v_mov_b32_e32 v10, v9
	s_mov_b32 s4, 0
	s_delay_alu instid0(VALU_DEP_2)
	v_dual_mov_b32 v4, v7 :: v_dual_mov_b32 v5, v7
	v_dual_mov_b32 v0, v7 :: v_dual_mov_b32 v1, v7
.LBB0_9:                                ; =>This Inner Loop Header: Depth=1
	global_load_b32 v11, v10, s[6:7] scale_offset
	v_lshl_add_u64 v[16:17], v[6:7], 2, s[8:9]
	s_wait_xcnt 0x0
	v_add_nc_u32_e32 v10, 4, v10
	v_add_nc_u32_e32 v6, 16, v6
	s_delay_alu instid0(VALU_DEP_2)
	v_cmp_ge_i32_e32 vcc_lo, v10, v8
	s_or_b32 s4, vcc_lo, s4
	s_wait_loadcnt 0x0
	v_subrev_nc_u32_e32 v11, s16, v11
	global_load_b128 v[12:15], v[16:17], off
	global_load_b32 v18, v11, s[10:11] scale_offset
	s_wait_loadcnt 0x0
	v_pk_fma_f32 v[4:5], v[12:13], v[18:19], v[4:5] op_sel_hi:[1,0,1]
	v_pk_fma_f32 v[0:1], v[14:15], v[18:19], v[0:1] op_sel_hi:[1,0,1]
	s_and_not1_b32 exec_lo, exec_lo, s4
	s_cbranch_execnz .LBB0_9
; %bb.10:
	s_or_b32 exec_lo, exec_lo, s4
.LBB0_11:
	s_delay_alu instid0(SALU_CYCLE_1)
	s_or_b32 exec_lo, exec_lo, s3
	s_cbranch_execz .LBB0_13
	s_branch .LBB0_18
.LBB0_12:
                                        ; implicit-def: $vgpr1
                                        ; implicit-def: $vgpr5
.LBB0_13:
	v_mov_b32_e32 v1, 0
	s_delay_alu instid0(VALU_DEP_1)
	v_dual_mov_b32 v0, v1 :: v_dual_mov_b32 v5, v1
	v_mov_b32_e32 v4, v1
	s_and_saveexec_b32 s3, s2
	s_cbranch_execz .LBB0_17
; %bb.14:
	v_dual_mov_b32 v7, 0 :: v_dual_lshlrev_b32 v6, 2, v9
	s_mov_b32 s2, 0
	s_delay_alu instid0(VALU_DEP_1)
	v_dual_mov_b32 v4, v7 :: v_dual_mov_b32 v5, v7
	v_dual_mov_b32 v0, v7 :: v_dual_mov_b32 v1, v7
.LBB0_15:                               ; =>This Inner Loop Header: Depth=1
	global_load_b32 v10, v9, s[6:7] scale_offset
	v_lshl_add_u64 v[14:15], v[6:7], 2, s[8:9]
	s_wait_xcnt 0x0
	v_dual_add_nc_u32 v9, 4, v9 :: v_dual_add_nc_u32 v6, 16, v6
	s_delay_alu instid0(VALU_DEP_1)
	v_cmp_ge_i32_e32 vcc_lo, v9, v8
	s_or_b32 s2, vcc_lo, s2
	s_wait_loadcnt 0x0
	v_subrev_nc_u32_e32 v17, s16, v10
	global_load_b128 v[10:13], v[14:15], off
	global_load_b32 v16, v17, s[10:11] scale_offset
	s_wait_loadcnt 0x0
	v_pk_fma_f32 v[4:5], v[10:11], v[16:17], v[4:5] op_sel_hi:[1,0,1]
	v_pk_fma_f32 v[0:1], v[12:13], v[16:17], v[0:1] op_sel_hi:[1,0,1]
	s_and_not1_b32 exec_lo, exec_lo, s2
	s_cbranch_execnz .LBB0_15
; %bb.16:
	s_or_b32 exec_lo, exec_lo, s2
.LBB0_17:
	s_delay_alu instid0(SALU_CYCLE_1)
	s_or_b32 exec_lo, exec_lo, s3
.LBB0_18:
	v_mbcnt_lo_u32_b32 v10, -1, 0
	s_mov_b32 s2, -1
	s_delay_alu instid0(VALU_DEP_1) | instskip(SKIP_1) | instid1(VALU_DEP_1)
	v_xor_b32_e32 v11, 1, v10
	v_xor_b32_e32 v6, 2, v10
	v_cmp_gt_i32_e32 vcc_lo, 32, v6
	v_cndmask_b32_e32 v6, v10, v6, vcc_lo
	s_delay_alu instid0(VALU_DEP_4) | instskip(NEXT) | instid1(VALU_DEP_2)
	v_cmp_gt_i32_e32 vcc_lo, 32, v11
	v_dual_cndmask_b32 v10, v10, v11 :: v_dual_lshlrev_b32 v9, 2, v6
	v_cmp_eq_u32_e32 vcc_lo, 3, v3
	ds_bpermute_b32 v6, v9, v4
	ds_bpermute_b32 v7, v9, v5
	ds_bpermute_b32 v8, v9, v0
	ds_bpermute_b32 v9, v9, v1
	v_lshlrev_b32_e32 v10, 2, v10
	s_wait_dscnt 0x2
	v_pk_add_f32 v[4:5], v[4:5], v[6:7]
	s_wait_dscnt 0x0
	v_pk_add_f32 v[0:1], v[0:1], v[8:9]
	ds_bpermute_b32 v8, v10, v4
	ds_bpermute_b32 v9, v10, v5
	;; [unrolled: 1-line block ×4, first 2 shown]
	s_and_b32 exec_lo, exec_lo, vcc_lo
	s_cbranch_execz .LBB0_23
; %bb.19:
	s_load_b64 s[0:1], s[0:1], 0x38
	s_wait_dscnt 0x2
	v_pk_add_f32 v[4:5], v[4:5], v[8:9]
	s_wait_dscnt 0x0
	v_pk_add_f32 v[0:1], v[0:1], v[6:7]
	v_lshlrev_b32_e32 v2, 2, v2
	s_cmp_eq_f32 s12, 0
	s_cbranch_scc0 .LBB0_21
; %bb.20:
	s_delay_alu instid0(VALU_DEP_1)
	v_ashrrev_i32_e32 v3, 31, v2
	v_pk_mul_f32 v[6:7], s[14:15], v[4:5] op_sel_hi:[0,1]
	v_pk_mul_f32 v[8:9], s[14:15], v[0:1] op_sel_hi:[0,1]
	s_mov_b32 s2, 0
	s_wait_kmcnt 0x0
	v_lshl_add_u64 v[10:11], v[2:3], 2, s[0:1]
	global_store_b128 v[10:11], v[6:9], off
.LBB0_21:
	s_and_not1_b32 vcc_lo, exec_lo, s2
	s_cbranch_vccnz .LBB0_23
; %bb.22:
	v_ashrrev_i32_e32 v3, 31, v2
	s_wait_kmcnt 0x0
	s_delay_alu instid0(VALU_DEP_1)
	v_lshl_add_u64 v[10:11], v[2:3], 2, s[0:1]
	v_pk_mul_f32 v[2:3], s[14:15], v[4:5] op_sel_hi:[0,1]
	v_pk_mul_f32 v[4:5], s[14:15], v[0:1] op_sel_hi:[0,1]
	global_load_b128 v[6:9], v[10:11], off
	s_wait_loadcnt 0x0
	v_pk_fma_f32 v[0:1], s[12:13], v[6:7], v[2:3] op_sel_hi:[0,1,1]
	v_pk_fma_f32 v[2:3], s[12:13], v[8:9], v[4:5] op_sel_hi:[0,1,1]
	global_store_b128 v[10:11], v[0:3], off
.LBB0_23:
	s_endpgm
	.section	.rodata,"a",@progbits
	.p2align	6, 0x0
	.amdhsa_kernel _ZN9rocsparseL19gebsrmvn_4xn_kernelILj128ELj1ELj4EfEEvi20rocsparse_direction_NS_24const_host_device_scalarIT2_EEPKiS6_PKS3_S8_S4_PS3_21rocsparse_index_base_b
		.amdhsa_group_segment_fixed_size 0
		.amdhsa_private_segment_fixed_size 0
		.amdhsa_kernarg_size 72
		.amdhsa_user_sgpr_count 2
		.amdhsa_user_sgpr_dispatch_ptr 0
		.amdhsa_user_sgpr_queue_ptr 0
		.amdhsa_user_sgpr_kernarg_segment_ptr 1
		.amdhsa_user_sgpr_dispatch_id 0
		.amdhsa_user_sgpr_kernarg_preload_length 0
		.amdhsa_user_sgpr_kernarg_preload_offset 0
		.amdhsa_user_sgpr_private_segment_size 0
		.amdhsa_wavefront_size32 1
		.amdhsa_uses_dynamic_stack 0
		.amdhsa_enable_private_segment 0
		.amdhsa_system_sgpr_workgroup_id_x 1
		.amdhsa_system_sgpr_workgroup_id_y 0
		.amdhsa_system_sgpr_workgroup_id_z 0
		.amdhsa_system_sgpr_workgroup_info 0
		.amdhsa_system_vgpr_workitem_id 0
		.amdhsa_next_free_vgpr 20
		.amdhsa_next_free_sgpr 18
		.amdhsa_named_barrier_count 0
		.amdhsa_reserve_vcc 1
		.amdhsa_float_round_mode_32 0
		.amdhsa_float_round_mode_16_64 0
		.amdhsa_float_denorm_mode_32 3
		.amdhsa_float_denorm_mode_16_64 3
		.amdhsa_fp16_overflow 0
		.amdhsa_memory_ordered 1
		.amdhsa_forward_progress 1
		.amdhsa_inst_pref_size 8
		.amdhsa_round_robin_scheduling 0
		.amdhsa_exception_fp_ieee_invalid_op 0
		.amdhsa_exception_fp_denorm_src 0
		.amdhsa_exception_fp_ieee_div_zero 0
		.amdhsa_exception_fp_ieee_overflow 0
		.amdhsa_exception_fp_ieee_underflow 0
		.amdhsa_exception_fp_ieee_inexact 0
		.amdhsa_exception_int_div_zero 0
	.end_amdhsa_kernel
	.section	.text._ZN9rocsparseL19gebsrmvn_4xn_kernelILj128ELj1ELj4EfEEvi20rocsparse_direction_NS_24const_host_device_scalarIT2_EEPKiS6_PKS3_S8_S4_PS3_21rocsparse_index_base_b,"axG",@progbits,_ZN9rocsparseL19gebsrmvn_4xn_kernelILj128ELj1ELj4EfEEvi20rocsparse_direction_NS_24const_host_device_scalarIT2_EEPKiS6_PKS3_S8_S4_PS3_21rocsparse_index_base_b,comdat
.Lfunc_end0:
	.size	_ZN9rocsparseL19gebsrmvn_4xn_kernelILj128ELj1ELj4EfEEvi20rocsparse_direction_NS_24const_host_device_scalarIT2_EEPKiS6_PKS3_S8_S4_PS3_21rocsparse_index_base_b, .Lfunc_end0-_ZN9rocsparseL19gebsrmvn_4xn_kernelILj128ELj1ELj4EfEEvi20rocsparse_direction_NS_24const_host_device_scalarIT2_EEPKiS6_PKS3_S8_S4_PS3_21rocsparse_index_base_b
                                        ; -- End function
	.set _ZN9rocsparseL19gebsrmvn_4xn_kernelILj128ELj1ELj4EfEEvi20rocsparse_direction_NS_24const_host_device_scalarIT2_EEPKiS6_PKS3_S8_S4_PS3_21rocsparse_index_base_b.num_vgpr, 20
	.set _ZN9rocsparseL19gebsrmvn_4xn_kernelILj128ELj1ELj4EfEEvi20rocsparse_direction_NS_24const_host_device_scalarIT2_EEPKiS6_PKS3_S8_S4_PS3_21rocsparse_index_base_b.num_agpr, 0
	.set _ZN9rocsparseL19gebsrmvn_4xn_kernelILj128ELj1ELj4EfEEvi20rocsparse_direction_NS_24const_host_device_scalarIT2_EEPKiS6_PKS3_S8_S4_PS3_21rocsparse_index_base_b.numbered_sgpr, 18
	.set _ZN9rocsparseL19gebsrmvn_4xn_kernelILj128ELj1ELj4EfEEvi20rocsparse_direction_NS_24const_host_device_scalarIT2_EEPKiS6_PKS3_S8_S4_PS3_21rocsparse_index_base_b.num_named_barrier, 0
	.set _ZN9rocsparseL19gebsrmvn_4xn_kernelILj128ELj1ELj4EfEEvi20rocsparse_direction_NS_24const_host_device_scalarIT2_EEPKiS6_PKS3_S8_S4_PS3_21rocsparse_index_base_b.private_seg_size, 0
	.set _ZN9rocsparseL19gebsrmvn_4xn_kernelILj128ELj1ELj4EfEEvi20rocsparse_direction_NS_24const_host_device_scalarIT2_EEPKiS6_PKS3_S8_S4_PS3_21rocsparse_index_base_b.uses_vcc, 1
	.set _ZN9rocsparseL19gebsrmvn_4xn_kernelILj128ELj1ELj4EfEEvi20rocsparse_direction_NS_24const_host_device_scalarIT2_EEPKiS6_PKS3_S8_S4_PS3_21rocsparse_index_base_b.uses_flat_scratch, 0
	.set _ZN9rocsparseL19gebsrmvn_4xn_kernelILj128ELj1ELj4EfEEvi20rocsparse_direction_NS_24const_host_device_scalarIT2_EEPKiS6_PKS3_S8_S4_PS3_21rocsparse_index_base_b.has_dyn_sized_stack, 0
	.set _ZN9rocsparseL19gebsrmvn_4xn_kernelILj128ELj1ELj4EfEEvi20rocsparse_direction_NS_24const_host_device_scalarIT2_EEPKiS6_PKS3_S8_S4_PS3_21rocsparse_index_base_b.has_recursion, 0
	.set _ZN9rocsparseL19gebsrmvn_4xn_kernelILj128ELj1ELj4EfEEvi20rocsparse_direction_NS_24const_host_device_scalarIT2_EEPKiS6_PKS3_S8_S4_PS3_21rocsparse_index_base_b.has_indirect_call, 0
	.section	.AMDGPU.csdata,"",@progbits
; Kernel info:
; codeLenInByte = 984
; TotalNumSgprs: 20
; NumVgprs: 20
; ScratchSize: 0
; MemoryBound: 0
; FloatMode: 240
; IeeeMode: 1
; LDSByteSize: 0 bytes/workgroup (compile time only)
; SGPRBlocks: 0
; VGPRBlocks: 1
; NumSGPRsForWavesPerEU: 20
; NumVGPRsForWavesPerEU: 20
; NamedBarCnt: 0
; Occupancy: 16
; WaveLimiterHint : 1
; COMPUTE_PGM_RSRC2:SCRATCH_EN: 0
; COMPUTE_PGM_RSRC2:USER_SGPR: 2
; COMPUTE_PGM_RSRC2:TRAP_HANDLER: 0
; COMPUTE_PGM_RSRC2:TGID_X_EN: 1
; COMPUTE_PGM_RSRC2:TGID_Y_EN: 0
; COMPUTE_PGM_RSRC2:TGID_Z_EN: 0
; COMPUTE_PGM_RSRC2:TIDIG_COMP_CNT: 0
	.section	.text._ZN9rocsparseL19gebsrmvn_4xn_kernelILj128ELj1ELj8EfEEvi20rocsparse_direction_NS_24const_host_device_scalarIT2_EEPKiS6_PKS3_S8_S4_PS3_21rocsparse_index_base_b,"axG",@progbits,_ZN9rocsparseL19gebsrmvn_4xn_kernelILj128ELj1ELj8EfEEvi20rocsparse_direction_NS_24const_host_device_scalarIT2_EEPKiS6_PKS3_S8_S4_PS3_21rocsparse_index_base_b,comdat
	.globl	_ZN9rocsparseL19gebsrmvn_4xn_kernelILj128ELj1ELj8EfEEvi20rocsparse_direction_NS_24const_host_device_scalarIT2_EEPKiS6_PKS3_S8_S4_PS3_21rocsparse_index_base_b ; -- Begin function _ZN9rocsparseL19gebsrmvn_4xn_kernelILj128ELj1ELj8EfEEvi20rocsparse_direction_NS_24const_host_device_scalarIT2_EEPKiS6_PKS3_S8_S4_PS3_21rocsparse_index_base_b
	.p2align	8
	.type	_ZN9rocsparseL19gebsrmvn_4xn_kernelILj128ELj1ELj8EfEEvi20rocsparse_direction_NS_24const_host_device_scalarIT2_EEPKiS6_PKS3_S8_S4_PS3_21rocsparse_index_base_b,@function
_ZN9rocsparseL19gebsrmvn_4xn_kernelILj128ELj1ELj8EfEEvi20rocsparse_direction_NS_24const_host_device_scalarIT2_EEPKiS6_PKS3_S8_S4_PS3_21rocsparse_index_base_b: ; @_ZN9rocsparseL19gebsrmvn_4xn_kernelILj128ELj1ELj8EfEEvi20rocsparse_direction_NS_24const_host_device_scalarIT2_EEPKiS6_PKS3_S8_S4_PS3_21rocsparse_index_base_b
; %bb.0:
	s_clause 0x2
	s_load_b64 s[16:17], s[0:1], 0x40
	s_load_b64 s[14:15], s[0:1], 0x8
	;; [unrolled: 1-line block ×3, first 2 shown]
	s_wait_kmcnt 0x0
	s_bitcmp1_b32 s17, 0
	s_cselect_b32 s2, -1, 0
	s_delay_alu instid0(SALU_CYCLE_1)
	s_and_b32 vcc_lo, exec_lo, s2
	s_xor_b32 s2, s2, -1
	s_cbranch_vccnz .LBB1_2
; %bb.1:
	s_load_b32 s14, s[14:15], 0x0
.LBB1_2:
	s_and_not1_b32 vcc_lo, exec_lo, s2
	s_cbranch_vccnz .LBB1_4
; %bb.3:
	s_load_b32 s12, s[12:13], 0x0
.LBB1_4:
	s_wait_kmcnt 0x0
	s_cmp_eq_f32 s14, 0
	s_cselect_b32 s2, -1, 0
	s_cmp_eq_f32 s12, 1.0
	s_cselect_b32 s3, -1, 0
	s_delay_alu instid0(SALU_CYCLE_1) | instskip(NEXT) | instid1(SALU_CYCLE_1)
	s_and_b32 s2, s2, s3
	s_and_b32 vcc_lo, exec_lo, s2
	s_cbranch_vccnz .LBB1_23
; %bb.5:
	s_load_b64 s[2:3], s[0:1], 0x0
	s_bfe_u32 s4, ttmp6, 0x4000c
	s_and_b32 s5, ttmp6, 15
	s_add_co_i32 s4, s4, 1
	s_getreg_b32 s6, hwreg(HW_REG_IB_STS2, 6, 4)
	s_mul_i32 s4, ttmp9, s4
	v_lshrrev_b32_e32 v1, 3, v0
	s_add_co_i32 s5, s5, s4
	s_cmp_eq_u32 s6, 0
	s_cselect_b32 s4, ttmp9, s5
	s_delay_alu instid0(VALU_DEP_1) | instid1(SALU_CYCLE_1)
	v_lshl_or_b32 v2, s4, 4, v1
	s_wait_kmcnt 0x0
	s_delay_alu instid0(VALU_DEP_1)
	v_cmp_gt_i32_e32 vcc_lo, s2, v2
	s_and_saveexec_b32 s2, vcc_lo
	s_cbranch_execz .LBB1_23
; %bb.6:
	s_load_b256 s[4:11], s[0:1], 0x10
	v_ashrrev_i32_e32 v3, 31, v2
	s_cmp_lg_u32 s3, 0
	s_wait_kmcnt 0x0
	s_delay_alu instid0(VALU_DEP_1)
	v_lshl_add_u64 v[4:5], v[2:3], 2, s[4:5]
	v_and_b32_e32 v3, 7, v0
	global_load_b64 v[4:5], v[4:5], off
	s_wait_loadcnt 0x0
	v_subrev_nc_u32_e32 v0, s16, v4
	v_subrev_nc_u32_e32 v8, s16, v5
	s_delay_alu instid0(VALU_DEP_2) | instskip(NEXT) | instid1(VALU_DEP_1)
	v_add_nc_u32_e32 v9, v0, v3
	v_cmp_lt_i32_e64 s2, v9, v8
	s_cbranch_scc0 .LBB1_12
; %bb.7:
	v_mov_b32_e32 v1, 0
	s_delay_alu instid0(VALU_DEP_1)
	v_dual_mov_b32 v0, v1 :: v_dual_mov_b32 v5, v1
	v_mov_b32_e32 v4, v1
	s_and_saveexec_b32 s3, s2
	s_cbranch_execz .LBB1_11
; %bb.8:
	v_dual_mov_b32 v7, 0 :: v_dual_lshlrev_b32 v6, 2, v9
	v_mov_b32_e32 v10, v9
	s_mov_b32 s4, 0
	s_delay_alu instid0(VALU_DEP_2)
	v_dual_mov_b32 v4, v7 :: v_dual_mov_b32 v5, v7
	v_dual_mov_b32 v0, v7 :: v_dual_mov_b32 v1, v7
.LBB1_9:                                ; =>This Inner Loop Header: Depth=1
	global_load_b32 v11, v10, s[6:7] scale_offset
	v_lshl_add_u64 v[16:17], v[6:7], 2, s[8:9]
	s_wait_xcnt 0x0
	v_add_nc_u32_e32 v10, 8, v10
	v_add_nc_u32_e32 v6, 32, v6
	s_delay_alu instid0(VALU_DEP_2)
	v_cmp_ge_i32_e32 vcc_lo, v10, v8
	s_or_b32 s4, vcc_lo, s4
	s_wait_loadcnt 0x0
	v_subrev_nc_u32_e32 v11, s16, v11
	global_load_b128 v[12:15], v[16:17], off
	global_load_b32 v18, v11, s[10:11] scale_offset
	s_wait_loadcnt 0x0
	v_pk_fma_f32 v[4:5], v[12:13], v[18:19], v[4:5] op_sel_hi:[1,0,1]
	v_pk_fma_f32 v[0:1], v[14:15], v[18:19], v[0:1] op_sel_hi:[1,0,1]
	s_and_not1_b32 exec_lo, exec_lo, s4
	s_cbranch_execnz .LBB1_9
; %bb.10:
	s_or_b32 exec_lo, exec_lo, s4
.LBB1_11:
	s_delay_alu instid0(SALU_CYCLE_1)
	s_or_b32 exec_lo, exec_lo, s3
	s_cbranch_execz .LBB1_13
	s_branch .LBB1_18
.LBB1_12:
                                        ; implicit-def: $vgpr1
                                        ; implicit-def: $vgpr5
.LBB1_13:
	v_mov_b32_e32 v1, 0
	s_delay_alu instid0(VALU_DEP_1)
	v_dual_mov_b32 v0, v1 :: v_dual_mov_b32 v5, v1
	v_mov_b32_e32 v4, v1
	s_and_saveexec_b32 s3, s2
	s_cbranch_execz .LBB1_17
; %bb.14:
	v_dual_mov_b32 v7, 0 :: v_dual_lshlrev_b32 v6, 2, v9
	s_mov_b32 s2, 0
	s_delay_alu instid0(VALU_DEP_1)
	v_dual_mov_b32 v4, v7 :: v_dual_mov_b32 v5, v7
	v_dual_mov_b32 v0, v7 :: v_dual_mov_b32 v1, v7
.LBB1_15:                               ; =>This Inner Loop Header: Depth=1
	global_load_b32 v10, v9, s[6:7] scale_offset
	v_lshl_add_u64 v[14:15], v[6:7], 2, s[8:9]
	s_wait_xcnt 0x0
	v_dual_add_nc_u32 v9, 8, v9 :: v_dual_add_nc_u32 v6, 32, v6
	s_delay_alu instid0(VALU_DEP_1)
	v_cmp_ge_i32_e32 vcc_lo, v9, v8
	s_or_b32 s2, vcc_lo, s2
	s_wait_loadcnt 0x0
	v_subrev_nc_u32_e32 v17, s16, v10
	global_load_b128 v[10:13], v[14:15], off
	global_load_b32 v16, v17, s[10:11] scale_offset
	s_wait_loadcnt 0x0
	v_pk_fma_f32 v[4:5], v[10:11], v[16:17], v[4:5] op_sel_hi:[1,0,1]
	v_pk_fma_f32 v[0:1], v[12:13], v[16:17], v[0:1] op_sel_hi:[1,0,1]
	s_and_not1_b32 exec_lo, exec_lo, s2
	s_cbranch_execnz .LBB1_15
; %bb.16:
	s_or_b32 exec_lo, exec_lo, s2
.LBB1_17:
	s_delay_alu instid0(SALU_CYCLE_1)
	s_or_b32 exec_lo, exec_lo, s3
.LBB1_18:
	v_mbcnt_lo_u32_b32 v10, -1, 0
	s_mov_b32 s2, -1
	s_delay_alu instid0(VALU_DEP_1) | instskip(SKIP_1) | instid1(VALU_DEP_1)
	v_xor_b32_e32 v11, 2, v10
	v_xor_b32_e32 v6, 4, v10
	v_cmp_gt_i32_e32 vcc_lo, 32, v6
	v_cndmask_b32_e32 v6, v10, v6, vcc_lo
	s_delay_alu instid0(VALU_DEP_4) | instskip(SKIP_1) | instid1(VALU_DEP_1)
	v_cmp_gt_i32_e32 vcc_lo, 32, v11
	v_cndmask_b32_e32 v11, v10, v11, vcc_lo
	v_dual_lshlrev_b32 v11, 2, v11 :: v_dual_lshlrev_b32 v9, 2, v6
	ds_bpermute_b32 v6, v9, v4
	ds_bpermute_b32 v7, v9, v5
	;; [unrolled: 1-line block ×4, first 2 shown]
	s_wait_dscnt 0x2
	v_pk_add_f32 v[4:5], v[4:5], v[6:7]
	s_wait_dscnt 0x0
	v_pk_add_f32 v[6:7], v[0:1], v[8:9]
	ds_bpermute_b32 v0, v11, v4
	ds_bpermute_b32 v1, v11, v5
	;; [unrolled: 1-line block ×4, first 2 shown]
	v_xor_b32_e32 v11, 1, v10
	s_delay_alu instid0(VALU_DEP_1) | instskip(SKIP_2) | instid1(VALU_DEP_2)
	v_cmp_gt_i32_e32 vcc_lo, 32, v11
	v_cndmask_b32_e32 v10, v10, v11, vcc_lo
	v_cmp_eq_u32_e32 vcc_lo, 7, v3
	v_lshlrev_b32_e32 v10, 2, v10
	s_wait_dscnt 0x2
	v_pk_add_f32 v[0:1], v[4:5], v[0:1]
	s_wait_dscnt 0x0
	v_pk_add_f32 v[6:7], v[6:7], v[8:9]
	ds_bpermute_b32 v4, v10, v0
	ds_bpermute_b32 v5, v10, v1
	ds_bpermute_b32 v8, v10, v6
	ds_bpermute_b32 v9, v10, v7
	s_and_b32 exec_lo, exec_lo, vcc_lo
	s_cbranch_execz .LBB1_23
; %bb.19:
	s_load_b64 s[0:1], s[0:1], 0x38
	s_wait_dscnt 0x2
	v_pk_add_f32 v[4:5], v[0:1], v[4:5]
	s_wait_dscnt 0x0
	v_pk_add_f32 v[0:1], v[6:7], v[8:9]
	v_lshlrev_b32_e32 v2, 2, v2
	s_cmp_eq_f32 s12, 0
	s_cbranch_scc0 .LBB1_21
; %bb.20:
	s_delay_alu instid0(VALU_DEP_1)
	v_ashrrev_i32_e32 v3, 31, v2
	v_pk_mul_f32 v[6:7], s[14:15], v[4:5] op_sel_hi:[0,1]
	v_pk_mul_f32 v[8:9], s[14:15], v[0:1] op_sel_hi:[0,1]
	s_mov_b32 s2, 0
	s_wait_kmcnt 0x0
	v_lshl_add_u64 v[10:11], v[2:3], 2, s[0:1]
	global_store_b128 v[10:11], v[6:9], off
.LBB1_21:
	s_and_not1_b32 vcc_lo, exec_lo, s2
	s_cbranch_vccnz .LBB1_23
; %bb.22:
	v_ashrrev_i32_e32 v3, 31, v2
	s_wait_kmcnt 0x0
	s_delay_alu instid0(VALU_DEP_1)
	v_lshl_add_u64 v[10:11], v[2:3], 2, s[0:1]
	v_pk_mul_f32 v[2:3], s[14:15], v[4:5] op_sel_hi:[0,1]
	v_pk_mul_f32 v[4:5], s[14:15], v[0:1] op_sel_hi:[0,1]
	global_load_b128 v[6:9], v[10:11], off
	s_wait_loadcnt 0x0
	v_pk_fma_f32 v[0:1], s[12:13], v[6:7], v[2:3] op_sel_hi:[0,1,1]
	v_pk_fma_f32 v[2:3], s[12:13], v[8:9], v[4:5] op_sel_hi:[0,1,1]
	global_store_b128 v[10:11], v[0:3], off
.LBB1_23:
	s_endpgm
	.section	.rodata,"a",@progbits
	.p2align	6, 0x0
	.amdhsa_kernel _ZN9rocsparseL19gebsrmvn_4xn_kernelILj128ELj1ELj8EfEEvi20rocsparse_direction_NS_24const_host_device_scalarIT2_EEPKiS6_PKS3_S8_S4_PS3_21rocsparse_index_base_b
		.amdhsa_group_segment_fixed_size 0
		.amdhsa_private_segment_fixed_size 0
		.amdhsa_kernarg_size 72
		.amdhsa_user_sgpr_count 2
		.amdhsa_user_sgpr_dispatch_ptr 0
		.amdhsa_user_sgpr_queue_ptr 0
		.amdhsa_user_sgpr_kernarg_segment_ptr 1
		.amdhsa_user_sgpr_dispatch_id 0
		.amdhsa_user_sgpr_kernarg_preload_length 0
		.amdhsa_user_sgpr_kernarg_preload_offset 0
		.amdhsa_user_sgpr_private_segment_size 0
		.amdhsa_wavefront_size32 1
		.amdhsa_uses_dynamic_stack 0
		.amdhsa_enable_private_segment 0
		.amdhsa_system_sgpr_workgroup_id_x 1
		.amdhsa_system_sgpr_workgroup_id_y 0
		.amdhsa_system_sgpr_workgroup_id_z 0
		.amdhsa_system_sgpr_workgroup_info 0
		.amdhsa_system_vgpr_workitem_id 0
		.amdhsa_next_free_vgpr 20
		.amdhsa_next_free_sgpr 18
		.amdhsa_named_barrier_count 0
		.amdhsa_reserve_vcc 1
		.amdhsa_float_round_mode_32 0
		.amdhsa_float_round_mode_16_64 0
		.amdhsa_float_denorm_mode_32 3
		.amdhsa_float_denorm_mode_16_64 3
		.amdhsa_fp16_overflow 0
		.amdhsa_memory_ordered 1
		.amdhsa_forward_progress 1
		.amdhsa_inst_pref_size 9
		.amdhsa_round_robin_scheduling 0
		.amdhsa_exception_fp_ieee_invalid_op 0
		.amdhsa_exception_fp_denorm_src 0
		.amdhsa_exception_fp_ieee_div_zero 0
		.amdhsa_exception_fp_ieee_overflow 0
		.amdhsa_exception_fp_ieee_underflow 0
		.amdhsa_exception_fp_ieee_inexact 0
		.amdhsa_exception_int_div_zero 0
	.end_amdhsa_kernel
	.section	.text._ZN9rocsparseL19gebsrmvn_4xn_kernelILj128ELj1ELj8EfEEvi20rocsparse_direction_NS_24const_host_device_scalarIT2_EEPKiS6_PKS3_S8_S4_PS3_21rocsparse_index_base_b,"axG",@progbits,_ZN9rocsparseL19gebsrmvn_4xn_kernelILj128ELj1ELj8EfEEvi20rocsparse_direction_NS_24const_host_device_scalarIT2_EEPKiS6_PKS3_S8_S4_PS3_21rocsparse_index_base_b,comdat
.Lfunc_end1:
	.size	_ZN9rocsparseL19gebsrmvn_4xn_kernelILj128ELj1ELj8EfEEvi20rocsparse_direction_NS_24const_host_device_scalarIT2_EEPKiS6_PKS3_S8_S4_PS3_21rocsparse_index_base_b, .Lfunc_end1-_ZN9rocsparseL19gebsrmvn_4xn_kernelILj128ELj1ELj8EfEEvi20rocsparse_direction_NS_24const_host_device_scalarIT2_EEPKiS6_PKS3_S8_S4_PS3_21rocsparse_index_base_b
                                        ; -- End function
	.set _ZN9rocsparseL19gebsrmvn_4xn_kernelILj128ELj1ELj8EfEEvi20rocsparse_direction_NS_24const_host_device_scalarIT2_EEPKiS6_PKS3_S8_S4_PS3_21rocsparse_index_base_b.num_vgpr, 20
	.set _ZN9rocsparseL19gebsrmvn_4xn_kernelILj128ELj1ELj8EfEEvi20rocsparse_direction_NS_24const_host_device_scalarIT2_EEPKiS6_PKS3_S8_S4_PS3_21rocsparse_index_base_b.num_agpr, 0
	.set _ZN9rocsparseL19gebsrmvn_4xn_kernelILj128ELj1ELj8EfEEvi20rocsparse_direction_NS_24const_host_device_scalarIT2_EEPKiS6_PKS3_S8_S4_PS3_21rocsparse_index_base_b.numbered_sgpr, 18
	.set _ZN9rocsparseL19gebsrmvn_4xn_kernelILj128ELj1ELj8EfEEvi20rocsparse_direction_NS_24const_host_device_scalarIT2_EEPKiS6_PKS3_S8_S4_PS3_21rocsparse_index_base_b.num_named_barrier, 0
	.set _ZN9rocsparseL19gebsrmvn_4xn_kernelILj128ELj1ELj8EfEEvi20rocsparse_direction_NS_24const_host_device_scalarIT2_EEPKiS6_PKS3_S8_S4_PS3_21rocsparse_index_base_b.private_seg_size, 0
	.set _ZN9rocsparseL19gebsrmvn_4xn_kernelILj128ELj1ELj8EfEEvi20rocsparse_direction_NS_24const_host_device_scalarIT2_EEPKiS6_PKS3_S8_S4_PS3_21rocsparse_index_base_b.uses_vcc, 1
	.set _ZN9rocsparseL19gebsrmvn_4xn_kernelILj128ELj1ELj8EfEEvi20rocsparse_direction_NS_24const_host_device_scalarIT2_EEPKiS6_PKS3_S8_S4_PS3_21rocsparse_index_base_b.uses_flat_scratch, 0
	.set _ZN9rocsparseL19gebsrmvn_4xn_kernelILj128ELj1ELj8EfEEvi20rocsparse_direction_NS_24const_host_device_scalarIT2_EEPKiS6_PKS3_S8_S4_PS3_21rocsparse_index_base_b.has_dyn_sized_stack, 0
	.set _ZN9rocsparseL19gebsrmvn_4xn_kernelILj128ELj1ELj8EfEEvi20rocsparse_direction_NS_24const_host_device_scalarIT2_EEPKiS6_PKS3_S8_S4_PS3_21rocsparse_index_base_b.has_recursion, 0
	.set _ZN9rocsparseL19gebsrmvn_4xn_kernelILj128ELj1ELj8EfEEvi20rocsparse_direction_NS_24const_host_device_scalarIT2_EEPKiS6_PKS3_S8_S4_PS3_21rocsparse_index_base_b.has_indirect_call, 0
	.section	.AMDGPU.csdata,"",@progbits
; Kernel info:
; codeLenInByte = 1064
; TotalNumSgprs: 20
; NumVgprs: 20
; ScratchSize: 0
; MemoryBound: 0
; FloatMode: 240
; IeeeMode: 1
; LDSByteSize: 0 bytes/workgroup (compile time only)
; SGPRBlocks: 0
; VGPRBlocks: 1
; NumSGPRsForWavesPerEU: 20
; NumVGPRsForWavesPerEU: 20
; NamedBarCnt: 0
; Occupancy: 16
; WaveLimiterHint : 1
; COMPUTE_PGM_RSRC2:SCRATCH_EN: 0
; COMPUTE_PGM_RSRC2:USER_SGPR: 2
; COMPUTE_PGM_RSRC2:TRAP_HANDLER: 0
; COMPUTE_PGM_RSRC2:TGID_X_EN: 1
; COMPUTE_PGM_RSRC2:TGID_Y_EN: 0
; COMPUTE_PGM_RSRC2:TGID_Z_EN: 0
; COMPUTE_PGM_RSRC2:TIDIG_COMP_CNT: 0
	.section	.text._ZN9rocsparseL19gebsrmvn_4xn_kernelILj128ELj1ELj16EfEEvi20rocsparse_direction_NS_24const_host_device_scalarIT2_EEPKiS6_PKS3_S8_S4_PS3_21rocsparse_index_base_b,"axG",@progbits,_ZN9rocsparseL19gebsrmvn_4xn_kernelILj128ELj1ELj16EfEEvi20rocsparse_direction_NS_24const_host_device_scalarIT2_EEPKiS6_PKS3_S8_S4_PS3_21rocsparse_index_base_b,comdat
	.globl	_ZN9rocsparseL19gebsrmvn_4xn_kernelILj128ELj1ELj16EfEEvi20rocsparse_direction_NS_24const_host_device_scalarIT2_EEPKiS6_PKS3_S8_S4_PS3_21rocsparse_index_base_b ; -- Begin function _ZN9rocsparseL19gebsrmvn_4xn_kernelILj128ELj1ELj16EfEEvi20rocsparse_direction_NS_24const_host_device_scalarIT2_EEPKiS6_PKS3_S8_S4_PS3_21rocsparse_index_base_b
	.p2align	8
	.type	_ZN9rocsparseL19gebsrmvn_4xn_kernelILj128ELj1ELj16EfEEvi20rocsparse_direction_NS_24const_host_device_scalarIT2_EEPKiS6_PKS3_S8_S4_PS3_21rocsparse_index_base_b,@function
_ZN9rocsparseL19gebsrmvn_4xn_kernelILj128ELj1ELj16EfEEvi20rocsparse_direction_NS_24const_host_device_scalarIT2_EEPKiS6_PKS3_S8_S4_PS3_21rocsparse_index_base_b: ; @_ZN9rocsparseL19gebsrmvn_4xn_kernelILj128ELj1ELj16EfEEvi20rocsparse_direction_NS_24const_host_device_scalarIT2_EEPKiS6_PKS3_S8_S4_PS3_21rocsparse_index_base_b
; %bb.0:
	s_clause 0x2
	s_load_b64 s[16:17], s[0:1], 0x40
	s_load_b64 s[14:15], s[0:1], 0x8
	;; [unrolled: 1-line block ×3, first 2 shown]
	s_wait_kmcnt 0x0
	s_bitcmp1_b32 s17, 0
	s_cselect_b32 s2, -1, 0
	s_delay_alu instid0(SALU_CYCLE_1)
	s_and_b32 vcc_lo, exec_lo, s2
	s_xor_b32 s2, s2, -1
	s_cbranch_vccnz .LBB2_2
; %bb.1:
	s_load_b32 s14, s[14:15], 0x0
.LBB2_2:
	s_and_not1_b32 vcc_lo, exec_lo, s2
	s_cbranch_vccnz .LBB2_4
; %bb.3:
	s_load_b32 s12, s[12:13], 0x0
.LBB2_4:
	s_wait_kmcnt 0x0
	s_cmp_eq_f32 s14, 0
	s_cselect_b32 s2, -1, 0
	s_cmp_eq_f32 s12, 1.0
	s_cselect_b32 s3, -1, 0
	s_delay_alu instid0(SALU_CYCLE_1) | instskip(NEXT) | instid1(SALU_CYCLE_1)
	s_and_b32 s2, s2, s3
	s_and_b32 vcc_lo, exec_lo, s2
	s_cbranch_vccnz .LBB2_23
; %bb.5:
	s_load_b64 s[2:3], s[0:1], 0x0
	s_bfe_u32 s4, ttmp6, 0x4000c
	s_and_b32 s5, ttmp6, 15
	s_add_co_i32 s4, s4, 1
	s_getreg_b32 s6, hwreg(HW_REG_IB_STS2, 6, 4)
	s_mul_i32 s4, ttmp9, s4
	v_lshrrev_b32_e32 v1, 4, v0
	s_add_co_i32 s5, s5, s4
	s_cmp_eq_u32 s6, 0
	s_cselect_b32 s4, ttmp9, s5
	s_delay_alu instid0(VALU_DEP_1) | instid1(SALU_CYCLE_1)
	v_lshl_or_b32 v2, s4, 3, v1
	s_wait_kmcnt 0x0
	s_delay_alu instid0(VALU_DEP_1)
	v_cmp_gt_i32_e32 vcc_lo, s2, v2
	s_and_saveexec_b32 s2, vcc_lo
	s_cbranch_execz .LBB2_23
; %bb.6:
	s_load_b256 s[4:11], s[0:1], 0x10
	v_ashrrev_i32_e32 v3, 31, v2
	s_cmp_lg_u32 s3, 0
	s_wait_kmcnt 0x0
	s_delay_alu instid0(VALU_DEP_1)
	v_lshl_add_u64 v[4:5], v[2:3], 2, s[4:5]
	v_and_b32_e32 v3, 15, v0
	global_load_b64 v[4:5], v[4:5], off
	s_wait_loadcnt 0x0
	v_subrev_nc_u32_e32 v0, s16, v4
	v_subrev_nc_u32_e32 v8, s16, v5
	s_delay_alu instid0(VALU_DEP_2) | instskip(NEXT) | instid1(VALU_DEP_1)
	v_add_nc_u32_e32 v9, v0, v3
	v_cmp_lt_i32_e64 s2, v9, v8
	s_cbranch_scc0 .LBB2_12
; %bb.7:
	v_mov_b32_e32 v1, 0
	s_delay_alu instid0(VALU_DEP_1)
	v_dual_mov_b32 v0, v1 :: v_dual_mov_b32 v5, v1
	v_mov_b32_e32 v4, v1
	s_and_saveexec_b32 s3, s2
	s_cbranch_execz .LBB2_11
; %bb.8:
	v_dual_mov_b32 v7, 0 :: v_dual_lshlrev_b32 v6, 2, v9
	v_mov_b32_e32 v10, v9
	s_mov_b32 s4, 0
	s_delay_alu instid0(VALU_DEP_2)
	v_dual_mov_b32 v4, v7 :: v_dual_mov_b32 v5, v7
	v_dual_mov_b32 v0, v7 :: v_dual_mov_b32 v1, v7
.LBB2_9:                                ; =>This Inner Loop Header: Depth=1
	global_load_b32 v11, v10, s[6:7] scale_offset
	v_lshl_add_u64 v[16:17], v[6:7], 2, s[8:9]
	s_wait_xcnt 0x0
	v_add_nc_u32_e32 v10, 16, v10
	v_add_nc_u32_e32 v6, 64, v6
	s_delay_alu instid0(VALU_DEP_2)
	v_cmp_ge_i32_e32 vcc_lo, v10, v8
	s_or_b32 s4, vcc_lo, s4
	s_wait_loadcnt 0x0
	v_subrev_nc_u32_e32 v11, s16, v11
	global_load_b128 v[12:15], v[16:17], off
	global_load_b32 v18, v11, s[10:11] scale_offset
	s_wait_loadcnt 0x0
	v_pk_fma_f32 v[4:5], v[12:13], v[18:19], v[4:5] op_sel_hi:[1,0,1]
	v_pk_fma_f32 v[0:1], v[14:15], v[18:19], v[0:1] op_sel_hi:[1,0,1]
	s_and_not1_b32 exec_lo, exec_lo, s4
	s_cbranch_execnz .LBB2_9
; %bb.10:
	s_or_b32 exec_lo, exec_lo, s4
.LBB2_11:
	s_delay_alu instid0(SALU_CYCLE_1)
	s_or_b32 exec_lo, exec_lo, s3
	s_cbranch_execz .LBB2_13
	s_branch .LBB2_18
.LBB2_12:
                                        ; implicit-def: $vgpr1
                                        ; implicit-def: $vgpr5
.LBB2_13:
	v_mov_b32_e32 v1, 0
	s_delay_alu instid0(VALU_DEP_1)
	v_dual_mov_b32 v0, v1 :: v_dual_mov_b32 v5, v1
	v_mov_b32_e32 v4, v1
	s_and_saveexec_b32 s3, s2
	s_cbranch_execz .LBB2_17
; %bb.14:
	v_dual_mov_b32 v7, 0 :: v_dual_lshlrev_b32 v6, 2, v9
	s_mov_b32 s2, 0
	s_delay_alu instid0(VALU_DEP_1)
	v_dual_mov_b32 v4, v7 :: v_dual_mov_b32 v5, v7
	v_dual_mov_b32 v0, v7 :: v_dual_mov_b32 v1, v7
.LBB2_15:                               ; =>This Inner Loop Header: Depth=1
	global_load_b32 v10, v9, s[6:7] scale_offset
	v_lshl_add_u64 v[14:15], v[6:7], 2, s[8:9]
	s_wait_xcnt 0x0
	v_dual_add_nc_u32 v9, 16, v9 :: v_dual_add_nc_u32 v6, 64, v6
	s_delay_alu instid0(VALU_DEP_1)
	v_cmp_ge_i32_e32 vcc_lo, v9, v8
	s_or_b32 s2, vcc_lo, s2
	s_wait_loadcnt 0x0
	v_subrev_nc_u32_e32 v17, s16, v10
	global_load_b128 v[10:13], v[14:15], off
	global_load_b32 v16, v17, s[10:11] scale_offset
	s_wait_loadcnt 0x0
	v_pk_fma_f32 v[4:5], v[10:11], v[16:17], v[4:5] op_sel_hi:[1,0,1]
	v_pk_fma_f32 v[0:1], v[12:13], v[16:17], v[0:1] op_sel_hi:[1,0,1]
	s_and_not1_b32 exec_lo, exec_lo, s2
	s_cbranch_execnz .LBB2_15
; %bb.16:
	s_or_b32 exec_lo, exec_lo, s2
.LBB2_17:
	s_delay_alu instid0(SALU_CYCLE_1)
	s_or_b32 exec_lo, exec_lo, s3
.LBB2_18:
	v_mbcnt_lo_u32_b32 v10, -1, 0
	s_mov_b32 s2, -1
	s_delay_alu instid0(VALU_DEP_1) | instskip(SKIP_1) | instid1(VALU_DEP_1)
	v_xor_b32_e32 v11, 4, v10
	v_xor_b32_e32 v6, 8, v10
	v_cmp_gt_i32_e32 vcc_lo, 32, v6
	v_cndmask_b32_e32 v6, v10, v6, vcc_lo
	s_delay_alu instid0(VALU_DEP_4) | instskip(SKIP_1) | instid1(VALU_DEP_1)
	v_cmp_gt_i32_e32 vcc_lo, 32, v11
	v_cndmask_b32_e32 v11, v10, v11, vcc_lo
	v_dual_lshlrev_b32 v11, 2, v11 :: v_dual_lshlrev_b32 v9, 2, v6
	ds_bpermute_b32 v6, v9, v4
	ds_bpermute_b32 v7, v9, v5
	;; [unrolled: 1-line block ×4, first 2 shown]
	s_wait_dscnt 0x2
	v_pk_add_f32 v[4:5], v[4:5], v[6:7]
	s_wait_dscnt 0x0
	v_pk_add_f32 v[0:1], v[0:1], v[8:9]
	ds_bpermute_b32 v6, v11, v4
	ds_bpermute_b32 v7, v11, v5
	;; [unrolled: 1-line block ×4, first 2 shown]
	v_xor_b32_e32 v11, 2, v10
	s_delay_alu instid0(VALU_DEP_1) | instskip(SKIP_1) | instid1(VALU_DEP_1)
	v_cmp_gt_i32_e32 vcc_lo, 32, v11
	v_cndmask_b32_e32 v11, v10, v11, vcc_lo
	v_lshlrev_b32_e32 v11, 2, v11
	s_wait_dscnt 0x2
	v_pk_add_f32 v[4:5], v[4:5], v[6:7]
	s_wait_dscnt 0x0
	v_pk_add_f32 v[6:7], v[0:1], v[8:9]
	ds_bpermute_b32 v0, v11, v4
	ds_bpermute_b32 v1, v11, v5
	;; [unrolled: 1-line block ×4, first 2 shown]
	v_xor_b32_e32 v11, 1, v10
	s_delay_alu instid0(VALU_DEP_1) | instskip(SKIP_2) | instid1(VALU_DEP_2)
	v_cmp_gt_i32_e32 vcc_lo, 32, v11
	v_cndmask_b32_e32 v10, v10, v11, vcc_lo
	v_cmp_eq_u32_e32 vcc_lo, 15, v3
	v_lshlrev_b32_e32 v10, 2, v10
	s_wait_dscnt 0x2
	v_pk_add_f32 v[0:1], v[4:5], v[0:1]
	s_wait_dscnt 0x0
	v_pk_add_f32 v[6:7], v[6:7], v[8:9]
	ds_bpermute_b32 v4, v10, v0
	ds_bpermute_b32 v5, v10, v1
	;; [unrolled: 1-line block ×4, first 2 shown]
	s_and_b32 exec_lo, exec_lo, vcc_lo
	s_cbranch_execz .LBB2_23
; %bb.19:
	s_load_b64 s[0:1], s[0:1], 0x38
	s_wait_dscnt 0x2
	v_pk_add_f32 v[4:5], v[0:1], v[4:5]
	s_wait_dscnt 0x0
	v_pk_add_f32 v[0:1], v[6:7], v[8:9]
	v_lshlrev_b32_e32 v2, 2, v2
	s_cmp_eq_f32 s12, 0
	s_cbranch_scc0 .LBB2_21
; %bb.20:
	s_delay_alu instid0(VALU_DEP_1)
	v_ashrrev_i32_e32 v3, 31, v2
	v_pk_mul_f32 v[6:7], s[14:15], v[4:5] op_sel_hi:[0,1]
	v_pk_mul_f32 v[8:9], s[14:15], v[0:1] op_sel_hi:[0,1]
	s_mov_b32 s2, 0
	s_wait_kmcnt 0x0
	v_lshl_add_u64 v[10:11], v[2:3], 2, s[0:1]
	global_store_b128 v[10:11], v[6:9], off
.LBB2_21:
	s_and_not1_b32 vcc_lo, exec_lo, s2
	s_cbranch_vccnz .LBB2_23
; %bb.22:
	v_ashrrev_i32_e32 v3, 31, v2
	s_wait_kmcnt 0x0
	s_delay_alu instid0(VALU_DEP_1)
	v_lshl_add_u64 v[10:11], v[2:3], 2, s[0:1]
	v_pk_mul_f32 v[2:3], s[14:15], v[4:5] op_sel_hi:[0,1]
	v_pk_mul_f32 v[4:5], s[14:15], v[0:1] op_sel_hi:[0,1]
	global_load_b128 v[6:9], v[10:11], off
	s_wait_loadcnt 0x0
	v_pk_fma_f32 v[0:1], s[12:13], v[6:7], v[2:3] op_sel_hi:[0,1,1]
	v_pk_fma_f32 v[2:3], s[12:13], v[8:9], v[4:5] op_sel_hi:[0,1,1]
	global_store_b128 v[10:11], v[0:3], off
.LBB2_23:
	s_endpgm
	.section	.rodata,"a",@progbits
	.p2align	6, 0x0
	.amdhsa_kernel _ZN9rocsparseL19gebsrmvn_4xn_kernelILj128ELj1ELj16EfEEvi20rocsparse_direction_NS_24const_host_device_scalarIT2_EEPKiS6_PKS3_S8_S4_PS3_21rocsparse_index_base_b
		.amdhsa_group_segment_fixed_size 0
		.amdhsa_private_segment_fixed_size 0
		.amdhsa_kernarg_size 72
		.amdhsa_user_sgpr_count 2
		.amdhsa_user_sgpr_dispatch_ptr 0
		.amdhsa_user_sgpr_queue_ptr 0
		.amdhsa_user_sgpr_kernarg_segment_ptr 1
		.amdhsa_user_sgpr_dispatch_id 0
		.amdhsa_user_sgpr_kernarg_preload_length 0
		.amdhsa_user_sgpr_kernarg_preload_offset 0
		.amdhsa_user_sgpr_private_segment_size 0
		.amdhsa_wavefront_size32 1
		.amdhsa_uses_dynamic_stack 0
		.amdhsa_enable_private_segment 0
		.amdhsa_system_sgpr_workgroup_id_x 1
		.amdhsa_system_sgpr_workgroup_id_y 0
		.amdhsa_system_sgpr_workgroup_id_z 0
		.amdhsa_system_sgpr_workgroup_info 0
		.amdhsa_system_vgpr_workitem_id 0
		.amdhsa_next_free_vgpr 20
		.amdhsa_next_free_sgpr 18
		.amdhsa_named_barrier_count 0
		.amdhsa_reserve_vcc 1
		.amdhsa_float_round_mode_32 0
		.amdhsa_float_round_mode_16_64 0
		.amdhsa_float_denorm_mode_32 3
		.amdhsa_float_denorm_mode_16_64 3
		.amdhsa_fp16_overflow 0
		.amdhsa_memory_ordered 1
		.amdhsa_forward_progress 1
		.amdhsa_inst_pref_size 9
		.amdhsa_round_robin_scheduling 0
		.amdhsa_exception_fp_ieee_invalid_op 0
		.amdhsa_exception_fp_denorm_src 0
		.amdhsa_exception_fp_ieee_div_zero 0
		.amdhsa_exception_fp_ieee_overflow 0
		.amdhsa_exception_fp_ieee_underflow 0
		.amdhsa_exception_fp_ieee_inexact 0
		.amdhsa_exception_int_div_zero 0
	.end_amdhsa_kernel
	.section	.text._ZN9rocsparseL19gebsrmvn_4xn_kernelILj128ELj1ELj16EfEEvi20rocsparse_direction_NS_24const_host_device_scalarIT2_EEPKiS6_PKS3_S8_S4_PS3_21rocsparse_index_base_b,"axG",@progbits,_ZN9rocsparseL19gebsrmvn_4xn_kernelILj128ELj1ELj16EfEEvi20rocsparse_direction_NS_24const_host_device_scalarIT2_EEPKiS6_PKS3_S8_S4_PS3_21rocsparse_index_base_b,comdat
.Lfunc_end2:
	.size	_ZN9rocsparseL19gebsrmvn_4xn_kernelILj128ELj1ELj16EfEEvi20rocsparse_direction_NS_24const_host_device_scalarIT2_EEPKiS6_PKS3_S8_S4_PS3_21rocsparse_index_base_b, .Lfunc_end2-_ZN9rocsparseL19gebsrmvn_4xn_kernelILj128ELj1ELj16EfEEvi20rocsparse_direction_NS_24const_host_device_scalarIT2_EEPKiS6_PKS3_S8_S4_PS3_21rocsparse_index_base_b
                                        ; -- End function
	.set _ZN9rocsparseL19gebsrmvn_4xn_kernelILj128ELj1ELj16EfEEvi20rocsparse_direction_NS_24const_host_device_scalarIT2_EEPKiS6_PKS3_S8_S4_PS3_21rocsparse_index_base_b.num_vgpr, 20
	.set _ZN9rocsparseL19gebsrmvn_4xn_kernelILj128ELj1ELj16EfEEvi20rocsparse_direction_NS_24const_host_device_scalarIT2_EEPKiS6_PKS3_S8_S4_PS3_21rocsparse_index_base_b.num_agpr, 0
	.set _ZN9rocsparseL19gebsrmvn_4xn_kernelILj128ELj1ELj16EfEEvi20rocsparse_direction_NS_24const_host_device_scalarIT2_EEPKiS6_PKS3_S8_S4_PS3_21rocsparse_index_base_b.numbered_sgpr, 18
	.set _ZN9rocsparseL19gebsrmvn_4xn_kernelILj128ELj1ELj16EfEEvi20rocsparse_direction_NS_24const_host_device_scalarIT2_EEPKiS6_PKS3_S8_S4_PS3_21rocsparse_index_base_b.num_named_barrier, 0
	.set _ZN9rocsparseL19gebsrmvn_4xn_kernelILj128ELj1ELj16EfEEvi20rocsparse_direction_NS_24const_host_device_scalarIT2_EEPKiS6_PKS3_S8_S4_PS3_21rocsparse_index_base_b.private_seg_size, 0
	.set _ZN9rocsparseL19gebsrmvn_4xn_kernelILj128ELj1ELj16EfEEvi20rocsparse_direction_NS_24const_host_device_scalarIT2_EEPKiS6_PKS3_S8_S4_PS3_21rocsparse_index_base_b.uses_vcc, 1
	.set _ZN9rocsparseL19gebsrmvn_4xn_kernelILj128ELj1ELj16EfEEvi20rocsparse_direction_NS_24const_host_device_scalarIT2_EEPKiS6_PKS3_S8_S4_PS3_21rocsparse_index_base_b.uses_flat_scratch, 0
	.set _ZN9rocsparseL19gebsrmvn_4xn_kernelILj128ELj1ELj16EfEEvi20rocsparse_direction_NS_24const_host_device_scalarIT2_EEPKiS6_PKS3_S8_S4_PS3_21rocsparse_index_base_b.has_dyn_sized_stack, 0
	.set _ZN9rocsparseL19gebsrmvn_4xn_kernelILj128ELj1ELj16EfEEvi20rocsparse_direction_NS_24const_host_device_scalarIT2_EEPKiS6_PKS3_S8_S4_PS3_21rocsparse_index_base_b.has_recursion, 0
	.set _ZN9rocsparseL19gebsrmvn_4xn_kernelILj128ELj1ELj16EfEEvi20rocsparse_direction_NS_24const_host_device_scalarIT2_EEPKiS6_PKS3_S8_S4_PS3_21rocsparse_index_base_b.has_indirect_call, 0
	.section	.AMDGPU.csdata,"",@progbits
; Kernel info:
; codeLenInByte = 1140
; TotalNumSgprs: 20
; NumVgprs: 20
; ScratchSize: 0
; MemoryBound: 0
; FloatMode: 240
; IeeeMode: 1
; LDSByteSize: 0 bytes/workgroup (compile time only)
; SGPRBlocks: 0
; VGPRBlocks: 1
; NumSGPRsForWavesPerEU: 20
; NumVGPRsForWavesPerEU: 20
; NamedBarCnt: 0
; Occupancy: 16
; WaveLimiterHint : 1
; COMPUTE_PGM_RSRC2:SCRATCH_EN: 0
; COMPUTE_PGM_RSRC2:USER_SGPR: 2
; COMPUTE_PGM_RSRC2:TRAP_HANDLER: 0
; COMPUTE_PGM_RSRC2:TGID_X_EN: 1
; COMPUTE_PGM_RSRC2:TGID_Y_EN: 0
; COMPUTE_PGM_RSRC2:TGID_Z_EN: 0
; COMPUTE_PGM_RSRC2:TIDIG_COMP_CNT: 0
	.section	.text._ZN9rocsparseL19gebsrmvn_4xn_kernelILj128ELj1ELj32EfEEvi20rocsparse_direction_NS_24const_host_device_scalarIT2_EEPKiS6_PKS3_S8_S4_PS3_21rocsparse_index_base_b,"axG",@progbits,_ZN9rocsparseL19gebsrmvn_4xn_kernelILj128ELj1ELj32EfEEvi20rocsparse_direction_NS_24const_host_device_scalarIT2_EEPKiS6_PKS3_S8_S4_PS3_21rocsparse_index_base_b,comdat
	.globl	_ZN9rocsparseL19gebsrmvn_4xn_kernelILj128ELj1ELj32EfEEvi20rocsparse_direction_NS_24const_host_device_scalarIT2_EEPKiS6_PKS3_S8_S4_PS3_21rocsparse_index_base_b ; -- Begin function _ZN9rocsparseL19gebsrmvn_4xn_kernelILj128ELj1ELj32EfEEvi20rocsparse_direction_NS_24const_host_device_scalarIT2_EEPKiS6_PKS3_S8_S4_PS3_21rocsparse_index_base_b
	.p2align	8
	.type	_ZN9rocsparseL19gebsrmvn_4xn_kernelILj128ELj1ELj32EfEEvi20rocsparse_direction_NS_24const_host_device_scalarIT2_EEPKiS6_PKS3_S8_S4_PS3_21rocsparse_index_base_b,@function
_ZN9rocsparseL19gebsrmvn_4xn_kernelILj128ELj1ELj32EfEEvi20rocsparse_direction_NS_24const_host_device_scalarIT2_EEPKiS6_PKS3_S8_S4_PS3_21rocsparse_index_base_b: ; @_ZN9rocsparseL19gebsrmvn_4xn_kernelILj128ELj1ELj32EfEEvi20rocsparse_direction_NS_24const_host_device_scalarIT2_EEPKiS6_PKS3_S8_S4_PS3_21rocsparse_index_base_b
; %bb.0:
	s_clause 0x2
	s_load_b64 s[16:17], s[0:1], 0x40
	s_load_b64 s[14:15], s[0:1], 0x8
	s_load_b64 s[12:13], s[0:1], 0x30
	s_wait_kmcnt 0x0
	s_bitcmp1_b32 s17, 0
	s_cselect_b32 s2, -1, 0
	s_delay_alu instid0(SALU_CYCLE_1)
	s_and_b32 vcc_lo, exec_lo, s2
	s_xor_b32 s2, s2, -1
	s_cbranch_vccnz .LBB3_2
; %bb.1:
	s_load_b32 s14, s[14:15], 0x0
.LBB3_2:
	s_and_not1_b32 vcc_lo, exec_lo, s2
	s_cbranch_vccnz .LBB3_4
; %bb.3:
	s_load_b32 s12, s[12:13], 0x0
.LBB3_4:
	s_wait_kmcnt 0x0
	s_cmp_eq_f32 s14, 0
	s_cselect_b32 s2, -1, 0
	s_cmp_eq_f32 s12, 1.0
	s_cselect_b32 s3, -1, 0
	s_delay_alu instid0(SALU_CYCLE_1) | instskip(NEXT) | instid1(SALU_CYCLE_1)
	s_and_b32 s2, s2, s3
	s_and_b32 vcc_lo, exec_lo, s2
	s_cbranch_vccnz .LBB3_23
; %bb.5:
	s_load_b64 s[2:3], s[0:1], 0x0
	s_bfe_u32 s4, ttmp6, 0x4000c
	s_and_b32 s5, ttmp6, 15
	s_add_co_i32 s4, s4, 1
	s_getreg_b32 s6, hwreg(HW_REG_IB_STS2, 6, 4)
	s_mul_i32 s4, ttmp9, s4
	v_lshrrev_b32_e32 v1, 5, v0
	s_add_co_i32 s5, s5, s4
	s_cmp_eq_u32 s6, 0
	s_cselect_b32 s4, ttmp9, s5
	s_delay_alu instid0(VALU_DEP_1) | instid1(SALU_CYCLE_1)
	v_lshl_or_b32 v2, s4, 2, v1
	s_wait_kmcnt 0x0
	s_delay_alu instid0(VALU_DEP_1)
	v_cmp_gt_i32_e32 vcc_lo, s2, v2
	s_and_saveexec_b32 s2, vcc_lo
	s_cbranch_execz .LBB3_23
; %bb.6:
	s_load_b256 s[4:11], s[0:1], 0x10
	v_ashrrev_i32_e32 v3, 31, v2
	s_cmp_lg_u32 s3, 0
	s_wait_kmcnt 0x0
	s_delay_alu instid0(VALU_DEP_1)
	v_lshl_add_u64 v[4:5], v[2:3], 2, s[4:5]
	v_and_b32_e32 v3, 31, v0
	global_load_b64 v[4:5], v[4:5], off
	s_wait_loadcnt 0x0
	v_subrev_nc_u32_e32 v0, s16, v4
	v_subrev_nc_u32_e32 v8, s16, v5
	s_delay_alu instid0(VALU_DEP_2) | instskip(NEXT) | instid1(VALU_DEP_1)
	v_add_nc_u32_e32 v9, v0, v3
	v_cmp_lt_i32_e64 s2, v9, v8
	s_cbranch_scc0 .LBB3_12
; %bb.7:
	v_mov_b32_e32 v1, 0
	s_delay_alu instid0(VALU_DEP_1)
	v_dual_mov_b32 v0, v1 :: v_dual_mov_b32 v5, v1
	v_mov_b32_e32 v4, v1
	s_and_saveexec_b32 s3, s2
	s_cbranch_execz .LBB3_11
; %bb.8:
	v_dual_mov_b32 v7, 0 :: v_dual_lshlrev_b32 v6, 2, v9
	v_mov_b32_e32 v10, v9
	s_mov_b32 s4, 0
	s_delay_alu instid0(VALU_DEP_2)
	v_dual_mov_b32 v4, v7 :: v_dual_mov_b32 v5, v7
	v_dual_mov_b32 v0, v7 :: v_dual_mov_b32 v1, v7
.LBB3_9:                                ; =>This Inner Loop Header: Depth=1
	global_load_b32 v11, v10, s[6:7] scale_offset
	v_lshl_add_u64 v[16:17], v[6:7], 2, s[8:9]
	s_wait_xcnt 0x0
	v_add_nc_u32_e32 v10, 32, v10
	v_add_nc_u32_e32 v6, 0x80, v6
	s_delay_alu instid0(VALU_DEP_2)
	v_cmp_ge_i32_e32 vcc_lo, v10, v8
	s_or_b32 s4, vcc_lo, s4
	s_wait_loadcnt 0x0
	v_subrev_nc_u32_e32 v11, s16, v11
	global_load_b128 v[12:15], v[16:17], off
	global_load_b32 v18, v11, s[10:11] scale_offset
	s_wait_loadcnt 0x0
	v_pk_fma_f32 v[4:5], v[12:13], v[18:19], v[4:5] op_sel_hi:[1,0,1]
	v_pk_fma_f32 v[0:1], v[14:15], v[18:19], v[0:1] op_sel_hi:[1,0,1]
	s_and_not1_b32 exec_lo, exec_lo, s4
	s_cbranch_execnz .LBB3_9
; %bb.10:
	s_or_b32 exec_lo, exec_lo, s4
.LBB3_11:
	s_delay_alu instid0(SALU_CYCLE_1)
	s_or_b32 exec_lo, exec_lo, s3
	s_cbranch_execz .LBB3_13
	s_branch .LBB3_18
.LBB3_12:
                                        ; implicit-def: $vgpr1
                                        ; implicit-def: $vgpr5
.LBB3_13:
	v_mov_b32_e32 v1, 0
	s_delay_alu instid0(VALU_DEP_1)
	v_dual_mov_b32 v0, v1 :: v_dual_mov_b32 v5, v1
	v_mov_b32_e32 v4, v1
	s_and_saveexec_b32 s3, s2
	s_cbranch_execz .LBB3_17
; %bb.14:
	v_dual_mov_b32 v7, 0 :: v_dual_lshlrev_b32 v6, 2, v9
	s_mov_b32 s2, 0
	s_delay_alu instid0(VALU_DEP_1)
	v_dual_mov_b32 v4, v7 :: v_dual_mov_b32 v5, v7
	v_dual_mov_b32 v0, v7 :: v_dual_mov_b32 v1, v7
.LBB3_15:                               ; =>This Inner Loop Header: Depth=1
	global_load_b32 v10, v9, s[6:7] scale_offset
	v_lshl_add_u64 v[14:15], v[6:7], 2, s[8:9]
	s_wait_xcnt 0x0
	v_add_nc_u32_e32 v9, 32, v9
	v_add_nc_u32_e32 v6, 0x80, v6
	s_delay_alu instid0(VALU_DEP_2)
	v_cmp_ge_i32_e32 vcc_lo, v9, v8
	s_or_b32 s2, vcc_lo, s2
	s_wait_loadcnt 0x0
	v_subrev_nc_u32_e32 v17, s16, v10
	global_load_b128 v[10:13], v[14:15], off
	global_load_b32 v16, v17, s[10:11] scale_offset
	s_wait_loadcnt 0x0
	v_pk_fma_f32 v[4:5], v[10:11], v[16:17], v[4:5] op_sel_hi:[1,0,1]
	v_pk_fma_f32 v[0:1], v[12:13], v[16:17], v[0:1] op_sel_hi:[1,0,1]
	s_and_not1_b32 exec_lo, exec_lo, s2
	s_cbranch_execnz .LBB3_15
; %bb.16:
	s_or_b32 exec_lo, exec_lo, s2
.LBB3_17:
	s_delay_alu instid0(SALU_CYCLE_1)
	s_or_b32 exec_lo, exec_lo, s3
.LBB3_18:
	v_mbcnt_lo_u32_b32 v10, -1, 0
	s_mov_b32 s2, -1
	s_delay_alu instid0(VALU_DEP_1) | instskip(SKIP_1) | instid1(VALU_DEP_1)
	v_xor_b32_e32 v11, 8, v10
	v_xor_b32_e32 v6, 16, v10
	v_cmp_gt_i32_e32 vcc_lo, 32, v6
	v_cndmask_b32_e32 v6, v10, v6, vcc_lo
	s_delay_alu instid0(VALU_DEP_4) | instskip(SKIP_1) | instid1(VALU_DEP_1)
	v_cmp_gt_i32_e32 vcc_lo, 32, v11
	v_cndmask_b32_e32 v11, v10, v11, vcc_lo
	v_dual_lshlrev_b32 v11, 2, v11 :: v_dual_lshlrev_b32 v9, 2, v6
	ds_bpermute_b32 v6, v9, v4
	ds_bpermute_b32 v7, v9, v5
	;; [unrolled: 1-line block ×4, first 2 shown]
	s_wait_dscnt 0x2
	v_pk_add_f32 v[4:5], v[4:5], v[6:7]
	s_wait_dscnt 0x0
	v_pk_add_f32 v[0:1], v[0:1], v[8:9]
	ds_bpermute_b32 v6, v11, v4
	ds_bpermute_b32 v7, v11, v5
	;; [unrolled: 1-line block ×4, first 2 shown]
	v_xor_b32_e32 v11, 4, v10
	s_delay_alu instid0(VALU_DEP_1) | instskip(SKIP_1) | instid1(VALU_DEP_1)
	v_cmp_gt_i32_e32 vcc_lo, 32, v11
	v_cndmask_b32_e32 v11, v10, v11, vcc_lo
	v_lshlrev_b32_e32 v11, 2, v11
	s_wait_dscnt 0x2
	v_pk_add_f32 v[4:5], v[4:5], v[6:7]
	s_wait_dscnt 0x0
	v_pk_add_f32 v[0:1], v[0:1], v[8:9]
	ds_bpermute_b32 v6, v11, v4
	ds_bpermute_b32 v7, v11, v5
	ds_bpermute_b32 v8, v11, v0
	ds_bpermute_b32 v9, v11, v1
	v_xor_b32_e32 v11, 2, v10
	s_delay_alu instid0(VALU_DEP_1) | instskip(SKIP_1) | instid1(VALU_DEP_1)
	v_cmp_gt_i32_e32 vcc_lo, 32, v11
	v_cndmask_b32_e32 v11, v10, v11, vcc_lo
	v_lshlrev_b32_e32 v11, 2, v11
	s_wait_dscnt 0x2
	v_pk_add_f32 v[4:5], v[4:5], v[6:7]
	s_wait_dscnt 0x0
	v_pk_add_f32 v[6:7], v[0:1], v[8:9]
	ds_bpermute_b32 v0, v11, v4
	ds_bpermute_b32 v1, v11, v5
	;; [unrolled: 1-line block ×4, first 2 shown]
	v_xor_b32_e32 v11, 1, v10
	s_delay_alu instid0(VALU_DEP_1) | instskip(SKIP_2) | instid1(VALU_DEP_2)
	v_cmp_gt_i32_e32 vcc_lo, 32, v11
	v_cndmask_b32_e32 v10, v10, v11, vcc_lo
	v_cmp_eq_u32_e32 vcc_lo, 31, v3
	v_lshlrev_b32_e32 v10, 2, v10
	s_wait_dscnt 0x2
	v_pk_add_f32 v[0:1], v[4:5], v[0:1]
	s_wait_dscnt 0x0
	v_pk_add_f32 v[6:7], v[6:7], v[8:9]
	ds_bpermute_b32 v4, v10, v0
	ds_bpermute_b32 v5, v10, v1
	;; [unrolled: 1-line block ×4, first 2 shown]
	s_and_b32 exec_lo, exec_lo, vcc_lo
	s_cbranch_execz .LBB3_23
; %bb.19:
	s_load_b64 s[0:1], s[0:1], 0x38
	s_wait_dscnt 0x2
	v_pk_add_f32 v[4:5], v[0:1], v[4:5]
	s_wait_dscnt 0x0
	v_pk_add_f32 v[0:1], v[6:7], v[8:9]
	v_lshlrev_b32_e32 v2, 2, v2
	s_cmp_eq_f32 s12, 0
	s_cbranch_scc0 .LBB3_21
; %bb.20:
	s_delay_alu instid0(VALU_DEP_1)
	v_ashrrev_i32_e32 v3, 31, v2
	v_pk_mul_f32 v[6:7], s[14:15], v[4:5] op_sel_hi:[0,1]
	v_pk_mul_f32 v[8:9], s[14:15], v[0:1] op_sel_hi:[0,1]
	s_mov_b32 s2, 0
	s_wait_kmcnt 0x0
	v_lshl_add_u64 v[10:11], v[2:3], 2, s[0:1]
	global_store_b128 v[10:11], v[6:9], off
.LBB3_21:
	s_and_not1_b32 vcc_lo, exec_lo, s2
	s_cbranch_vccnz .LBB3_23
; %bb.22:
	v_ashrrev_i32_e32 v3, 31, v2
	s_wait_kmcnt 0x0
	s_delay_alu instid0(VALU_DEP_1)
	v_lshl_add_u64 v[10:11], v[2:3], 2, s[0:1]
	v_pk_mul_f32 v[2:3], s[14:15], v[4:5] op_sel_hi:[0,1]
	v_pk_mul_f32 v[4:5], s[14:15], v[0:1] op_sel_hi:[0,1]
	global_load_b128 v[6:9], v[10:11], off
	s_wait_loadcnt 0x0
	v_pk_fma_f32 v[0:1], s[12:13], v[6:7], v[2:3] op_sel_hi:[0,1,1]
	v_pk_fma_f32 v[2:3], s[12:13], v[8:9], v[4:5] op_sel_hi:[0,1,1]
	global_store_b128 v[10:11], v[0:3], off
.LBB3_23:
	s_endpgm
	.section	.rodata,"a",@progbits
	.p2align	6, 0x0
	.amdhsa_kernel _ZN9rocsparseL19gebsrmvn_4xn_kernelILj128ELj1ELj32EfEEvi20rocsparse_direction_NS_24const_host_device_scalarIT2_EEPKiS6_PKS3_S8_S4_PS3_21rocsparse_index_base_b
		.amdhsa_group_segment_fixed_size 0
		.amdhsa_private_segment_fixed_size 0
		.amdhsa_kernarg_size 72
		.amdhsa_user_sgpr_count 2
		.amdhsa_user_sgpr_dispatch_ptr 0
		.amdhsa_user_sgpr_queue_ptr 0
		.amdhsa_user_sgpr_kernarg_segment_ptr 1
		.amdhsa_user_sgpr_dispatch_id 0
		.amdhsa_user_sgpr_kernarg_preload_length 0
		.amdhsa_user_sgpr_kernarg_preload_offset 0
		.amdhsa_user_sgpr_private_segment_size 0
		.amdhsa_wavefront_size32 1
		.amdhsa_uses_dynamic_stack 0
		.amdhsa_enable_private_segment 0
		.amdhsa_system_sgpr_workgroup_id_x 1
		.amdhsa_system_sgpr_workgroup_id_y 0
		.amdhsa_system_sgpr_workgroup_id_z 0
		.amdhsa_system_sgpr_workgroup_info 0
		.amdhsa_system_vgpr_workitem_id 0
		.amdhsa_next_free_vgpr 20
		.amdhsa_next_free_sgpr 18
		.amdhsa_named_barrier_count 0
		.amdhsa_reserve_vcc 1
		.amdhsa_float_round_mode_32 0
		.amdhsa_float_round_mode_16_64 0
		.amdhsa_float_denorm_mode_32 3
		.amdhsa_float_denorm_mode_16_64 3
		.amdhsa_fp16_overflow 0
		.amdhsa_memory_ordered 1
		.amdhsa_forward_progress 1
		.amdhsa_inst_pref_size 10
		.amdhsa_round_robin_scheduling 0
		.amdhsa_exception_fp_ieee_invalid_op 0
		.amdhsa_exception_fp_denorm_src 0
		.amdhsa_exception_fp_ieee_div_zero 0
		.amdhsa_exception_fp_ieee_overflow 0
		.amdhsa_exception_fp_ieee_underflow 0
		.amdhsa_exception_fp_ieee_inexact 0
		.amdhsa_exception_int_div_zero 0
	.end_amdhsa_kernel
	.section	.text._ZN9rocsparseL19gebsrmvn_4xn_kernelILj128ELj1ELj32EfEEvi20rocsparse_direction_NS_24const_host_device_scalarIT2_EEPKiS6_PKS3_S8_S4_PS3_21rocsparse_index_base_b,"axG",@progbits,_ZN9rocsparseL19gebsrmvn_4xn_kernelILj128ELj1ELj32EfEEvi20rocsparse_direction_NS_24const_host_device_scalarIT2_EEPKiS6_PKS3_S8_S4_PS3_21rocsparse_index_base_b,comdat
.Lfunc_end3:
	.size	_ZN9rocsparseL19gebsrmvn_4xn_kernelILj128ELj1ELj32EfEEvi20rocsparse_direction_NS_24const_host_device_scalarIT2_EEPKiS6_PKS3_S8_S4_PS3_21rocsparse_index_base_b, .Lfunc_end3-_ZN9rocsparseL19gebsrmvn_4xn_kernelILj128ELj1ELj32EfEEvi20rocsparse_direction_NS_24const_host_device_scalarIT2_EEPKiS6_PKS3_S8_S4_PS3_21rocsparse_index_base_b
                                        ; -- End function
	.set _ZN9rocsparseL19gebsrmvn_4xn_kernelILj128ELj1ELj32EfEEvi20rocsparse_direction_NS_24const_host_device_scalarIT2_EEPKiS6_PKS3_S8_S4_PS3_21rocsparse_index_base_b.num_vgpr, 20
	.set _ZN9rocsparseL19gebsrmvn_4xn_kernelILj128ELj1ELj32EfEEvi20rocsparse_direction_NS_24const_host_device_scalarIT2_EEPKiS6_PKS3_S8_S4_PS3_21rocsparse_index_base_b.num_agpr, 0
	.set _ZN9rocsparseL19gebsrmvn_4xn_kernelILj128ELj1ELj32EfEEvi20rocsparse_direction_NS_24const_host_device_scalarIT2_EEPKiS6_PKS3_S8_S4_PS3_21rocsparse_index_base_b.numbered_sgpr, 18
	.set _ZN9rocsparseL19gebsrmvn_4xn_kernelILj128ELj1ELj32EfEEvi20rocsparse_direction_NS_24const_host_device_scalarIT2_EEPKiS6_PKS3_S8_S4_PS3_21rocsparse_index_base_b.num_named_barrier, 0
	.set _ZN9rocsparseL19gebsrmvn_4xn_kernelILj128ELj1ELj32EfEEvi20rocsparse_direction_NS_24const_host_device_scalarIT2_EEPKiS6_PKS3_S8_S4_PS3_21rocsparse_index_base_b.private_seg_size, 0
	.set _ZN9rocsparseL19gebsrmvn_4xn_kernelILj128ELj1ELj32EfEEvi20rocsparse_direction_NS_24const_host_device_scalarIT2_EEPKiS6_PKS3_S8_S4_PS3_21rocsparse_index_base_b.uses_vcc, 1
	.set _ZN9rocsparseL19gebsrmvn_4xn_kernelILj128ELj1ELj32EfEEvi20rocsparse_direction_NS_24const_host_device_scalarIT2_EEPKiS6_PKS3_S8_S4_PS3_21rocsparse_index_base_b.uses_flat_scratch, 0
	.set _ZN9rocsparseL19gebsrmvn_4xn_kernelILj128ELj1ELj32EfEEvi20rocsparse_direction_NS_24const_host_device_scalarIT2_EEPKiS6_PKS3_S8_S4_PS3_21rocsparse_index_base_b.has_dyn_sized_stack, 0
	.set _ZN9rocsparseL19gebsrmvn_4xn_kernelILj128ELj1ELj32EfEEvi20rocsparse_direction_NS_24const_host_device_scalarIT2_EEPKiS6_PKS3_S8_S4_PS3_21rocsparse_index_base_b.has_recursion, 0
	.set _ZN9rocsparseL19gebsrmvn_4xn_kernelILj128ELj1ELj32EfEEvi20rocsparse_direction_NS_24const_host_device_scalarIT2_EEPKiS6_PKS3_S8_S4_PS3_21rocsparse_index_base_b.has_indirect_call, 0
	.section	.AMDGPU.csdata,"",@progbits
; Kernel info:
; codeLenInByte = 1220
; TotalNumSgprs: 20
; NumVgprs: 20
; ScratchSize: 0
; MemoryBound: 0
; FloatMode: 240
; IeeeMode: 1
; LDSByteSize: 0 bytes/workgroup (compile time only)
; SGPRBlocks: 0
; VGPRBlocks: 1
; NumSGPRsForWavesPerEU: 20
; NumVGPRsForWavesPerEU: 20
; NamedBarCnt: 0
; Occupancy: 16
; WaveLimiterHint : 1
; COMPUTE_PGM_RSRC2:SCRATCH_EN: 0
; COMPUTE_PGM_RSRC2:USER_SGPR: 2
; COMPUTE_PGM_RSRC2:TRAP_HANDLER: 0
; COMPUTE_PGM_RSRC2:TGID_X_EN: 1
; COMPUTE_PGM_RSRC2:TGID_Y_EN: 0
; COMPUTE_PGM_RSRC2:TGID_Z_EN: 0
; COMPUTE_PGM_RSRC2:TIDIG_COMP_CNT: 0
	.section	.text._ZN9rocsparseL19gebsrmvn_4xn_kernelILj128ELj1ELj64EfEEvi20rocsparse_direction_NS_24const_host_device_scalarIT2_EEPKiS6_PKS3_S8_S4_PS3_21rocsparse_index_base_b,"axG",@progbits,_ZN9rocsparseL19gebsrmvn_4xn_kernelILj128ELj1ELj64EfEEvi20rocsparse_direction_NS_24const_host_device_scalarIT2_EEPKiS6_PKS3_S8_S4_PS3_21rocsparse_index_base_b,comdat
	.globl	_ZN9rocsparseL19gebsrmvn_4xn_kernelILj128ELj1ELj64EfEEvi20rocsparse_direction_NS_24const_host_device_scalarIT2_EEPKiS6_PKS3_S8_S4_PS3_21rocsparse_index_base_b ; -- Begin function _ZN9rocsparseL19gebsrmvn_4xn_kernelILj128ELj1ELj64EfEEvi20rocsparse_direction_NS_24const_host_device_scalarIT2_EEPKiS6_PKS3_S8_S4_PS3_21rocsparse_index_base_b
	.p2align	8
	.type	_ZN9rocsparseL19gebsrmvn_4xn_kernelILj128ELj1ELj64EfEEvi20rocsparse_direction_NS_24const_host_device_scalarIT2_EEPKiS6_PKS3_S8_S4_PS3_21rocsparse_index_base_b,@function
_ZN9rocsparseL19gebsrmvn_4xn_kernelILj128ELj1ELj64EfEEvi20rocsparse_direction_NS_24const_host_device_scalarIT2_EEPKiS6_PKS3_S8_S4_PS3_21rocsparse_index_base_b: ; @_ZN9rocsparseL19gebsrmvn_4xn_kernelILj128ELj1ELj64EfEEvi20rocsparse_direction_NS_24const_host_device_scalarIT2_EEPKiS6_PKS3_S8_S4_PS3_21rocsparse_index_base_b
; %bb.0:
	s_clause 0x2
	s_load_b64 s[16:17], s[0:1], 0x40
	s_load_b64 s[14:15], s[0:1], 0x8
	;; [unrolled: 1-line block ×3, first 2 shown]
	s_wait_kmcnt 0x0
	s_bitcmp1_b32 s17, 0
	s_cselect_b32 s2, -1, 0
	s_delay_alu instid0(SALU_CYCLE_1)
	s_and_b32 vcc_lo, exec_lo, s2
	s_xor_b32 s2, s2, -1
	s_cbranch_vccnz .LBB4_2
; %bb.1:
	s_load_b32 s14, s[14:15], 0x0
.LBB4_2:
	s_and_not1_b32 vcc_lo, exec_lo, s2
	s_cbranch_vccnz .LBB4_4
; %bb.3:
	s_load_b32 s12, s[12:13], 0x0
.LBB4_4:
	s_wait_kmcnt 0x0
	s_cmp_eq_f32 s14, 0
	s_cselect_b32 s2, -1, 0
	s_cmp_eq_f32 s12, 1.0
	s_cselect_b32 s3, -1, 0
	s_delay_alu instid0(SALU_CYCLE_1) | instskip(NEXT) | instid1(SALU_CYCLE_1)
	s_and_b32 s2, s2, s3
	s_and_b32 vcc_lo, exec_lo, s2
	s_cbranch_vccnz .LBB4_23
; %bb.5:
	s_load_b64 s[2:3], s[0:1], 0x0
	s_bfe_u32 s4, ttmp6, 0x4000c
	s_and_b32 s5, ttmp6, 15
	s_add_co_i32 s4, s4, 1
	s_getreg_b32 s6, hwreg(HW_REG_IB_STS2, 6, 4)
	s_mul_i32 s4, ttmp9, s4
	v_lshrrev_b32_e32 v1, 6, v0
	s_add_co_i32 s5, s5, s4
	s_cmp_eq_u32 s6, 0
	s_cselect_b32 s4, ttmp9, s5
	s_delay_alu instid0(VALU_DEP_1) | instid1(SALU_CYCLE_1)
	v_lshl_or_b32 v2, s4, 1, v1
	s_wait_kmcnt 0x0
	s_delay_alu instid0(VALU_DEP_1)
	v_cmp_gt_i32_e32 vcc_lo, s2, v2
	s_and_saveexec_b32 s2, vcc_lo
	s_cbranch_execz .LBB4_23
; %bb.6:
	s_load_b256 s[4:11], s[0:1], 0x10
	v_ashrrev_i32_e32 v3, 31, v2
	s_cmp_lg_u32 s3, 0
	s_wait_kmcnt 0x0
	s_delay_alu instid0(VALU_DEP_1)
	v_lshl_add_u64 v[4:5], v[2:3], 2, s[4:5]
	v_and_b32_e32 v3, 63, v0
	global_load_b64 v[4:5], v[4:5], off
	s_wait_loadcnt 0x0
	v_subrev_nc_u32_e32 v0, s16, v4
	v_subrev_nc_u32_e32 v8, s16, v5
	s_delay_alu instid0(VALU_DEP_2) | instskip(NEXT) | instid1(VALU_DEP_1)
	v_add_nc_u32_e32 v9, v0, v3
	v_cmp_lt_i32_e64 s2, v9, v8
	s_cbranch_scc0 .LBB4_12
; %bb.7:
	v_mov_b32_e32 v1, 0
	s_delay_alu instid0(VALU_DEP_1)
	v_dual_mov_b32 v0, v1 :: v_dual_mov_b32 v5, v1
	v_mov_b32_e32 v4, v1
	s_and_saveexec_b32 s3, s2
	s_cbranch_execz .LBB4_11
; %bb.8:
	v_dual_mov_b32 v7, 0 :: v_dual_lshlrev_b32 v6, 2, v9
	v_mov_b32_e32 v10, v9
	s_mov_b32 s4, 0
	s_delay_alu instid0(VALU_DEP_2)
	v_dual_mov_b32 v4, v7 :: v_dual_mov_b32 v5, v7
	v_dual_mov_b32 v0, v7 :: v_dual_mov_b32 v1, v7
.LBB4_9:                                ; =>This Inner Loop Header: Depth=1
	global_load_b32 v11, v10, s[6:7] scale_offset
	v_lshl_add_u64 v[16:17], v[6:7], 2, s[8:9]
	s_wait_xcnt 0x0
	v_add_nc_u32_e32 v10, 64, v10
	v_add_nc_u32_e32 v6, 0x100, v6
	s_delay_alu instid0(VALU_DEP_2)
	v_cmp_ge_i32_e32 vcc_lo, v10, v8
	s_or_b32 s4, vcc_lo, s4
	s_wait_loadcnt 0x0
	v_subrev_nc_u32_e32 v11, s16, v11
	global_load_b128 v[12:15], v[16:17], off
	global_load_b32 v18, v11, s[10:11] scale_offset
	s_wait_loadcnt 0x0
	v_pk_fma_f32 v[4:5], v[12:13], v[18:19], v[4:5] op_sel_hi:[1,0,1]
	v_pk_fma_f32 v[0:1], v[14:15], v[18:19], v[0:1] op_sel_hi:[1,0,1]
	s_and_not1_b32 exec_lo, exec_lo, s4
	s_cbranch_execnz .LBB4_9
; %bb.10:
	s_or_b32 exec_lo, exec_lo, s4
.LBB4_11:
	s_delay_alu instid0(SALU_CYCLE_1)
	s_or_b32 exec_lo, exec_lo, s3
	s_cbranch_execz .LBB4_13
	s_branch .LBB4_18
.LBB4_12:
                                        ; implicit-def: $vgpr1
                                        ; implicit-def: $vgpr5
.LBB4_13:
	v_mov_b32_e32 v1, 0
	s_delay_alu instid0(VALU_DEP_1)
	v_dual_mov_b32 v0, v1 :: v_dual_mov_b32 v5, v1
	v_mov_b32_e32 v4, v1
	s_and_saveexec_b32 s3, s2
	s_cbranch_execz .LBB4_17
; %bb.14:
	v_dual_mov_b32 v7, 0 :: v_dual_lshlrev_b32 v6, 2, v9
	s_mov_b32 s2, 0
	s_delay_alu instid0(VALU_DEP_1)
	v_dual_mov_b32 v4, v7 :: v_dual_mov_b32 v5, v7
	v_dual_mov_b32 v0, v7 :: v_dual_mov_b32 v1, v7
.LBB4_15:                               ; =>This Inner Loop Header: Depth=1
	global_load_b32 v10, v9, s[6:7] scale_offset
	v_lshl_add_u64 v[14:15], v[6:7], 2, s[8:9]
	s_wait_xcnt 0x0
	v_add_nc_u32_e32 v9, 64, v9
	v_add_nc_u32_e32 v6, 0x100, v6
	s_delay_alu instid0(VALU_DEP_2)
	v_cmp_ge_i32_e32 vcc_lo, v9, v8
	s_or_b32 s2, vcc_lo, s2
	s_wait_loadcnt 0x0
	v_subrev_nc_u32_e32 v17, s16, v10
	global_load_b128 v[10:13], v[14:15], off
	global_load_b32 v16, v17, s[10:11] scale_offset
	s_wait_loadcnt 0x0
	v_pk_fma_f32 v[4:5], v[10:11], v[16:17], v[4:5] op_sel_hi:[1,0,1]
	v_pk_fma_f32 v[0:1], v[12:13], v[16:17], v[0:1] op_sel_hi:[1,0,1]
	s_and_not1_b32 exec_lo, exec_lo, s2
	s_cbranch_execnz .LBB4_15
; %bb.16:
	s_or_b32 exec_lo, exec_lo, s2
.LBB4_17:
	s_delay_alu instid0(SALU_CYCLE_1)
	s_or_b32 exec_lo, exec_lo, s3
.LBB4_18:
	v_mbcnt_lo_u32_b32 v10, -1, 0
	s_mov_b32 s2, -1
	s_delay_alu instid0(VALU_DEP_1) | instskip(SKIP_1) | instid1(VALU_DEP_1)
	v_xor_b32_e32 v11, 16, v10
	v_or_b32_e32 v6, 32, v10
	v_cmp_gt_i32_e32 vcc_lo, 32, v6
	v_cndmask_b32_e32 v6, v10, v6, vcc_lo
	s_delay_alu instid0(VALU_DEP_4) | instskip(SKIP_1) | instid1(VALU_DEP_1)
	v_cmp_gt_i32_e32 vcc_lo, 32, v11
	v_cndmask_b32_e32 v11, v10, v11, vcc_lo
	v_dual_lshlrev_b32 v11, 2, v11 :: v_dual_lshlrev_b32 v9, 2, v6
	ds_bpermute_b32 v6, v9, v4
	ds_bpermute_b32 v7, v9, v5
	;; [unrolled: 1-line block ×4, first 2 shown]
	s_wait_dscnt 0x2
	v_pk_add_f32 v[4:5], v[4:5], v[6:7]
	s_wait_dscnt 0x0
	v_pk_add_f32 v[0:1], v[0:1], v[8:9]
	ds_bpermute_b32 v6, v11, v4
	ds_bpermute_b32 v7, v11, v5
	ds_bpermute_b32 v8, v11, v0
	ds_bpermute_b32 v9, v11, v1
	v_xor_b32_e32 v11, 8, v10
	s_delay_alu instid0(VALU_DEP_1) | instskip(SKIP_1) | instid1(VALU_DEP_1)
	v_cmp_gt_i32_e32 vcc_lo, 32, v11
	v_cndmask_b32_e32 v11, v10, v11, vcc_lo
	v_lshlrev_b32_e32 v11, 2, v11
	s_wait_dscnt 0x2
	v_pk_add_f32 v[4:5], v[4:5], v[6:7]
	s_wait_dscnt 0x0
	v_pk_add_f32 v[0:1], v[0:1], v[8:9]
	ds_bpermute_b32 v6, v11, v4
	ds_bpermute_b32 v7, v11, v5
	ds_bpermute_b32 v8, v11, v0
	ds_bpermute_b32 v9, v11, v1
	v_xor_b32_e32 v11, 4, v10
	s_delay_alu instid0(VALU_DEP_1) | instskip(SKIP_1) | instid1(VALU_DEP_1)
	v_cmp_gt_i32_e32 vcc_lo, 32, v11
	v_cndmask_b32_e32 v11, v10, v11, vcc_lo
	v_lshlrev_b32_e32 v11, 2, v11
	;; [unrolled: 13-line block ×3, first 2 shown]
	s_wait_dscnt 0x2
	v_pk_add_f32 v[4:5], v[4:5], v[6:7]
	s_wait_dscnt 0x0
	v_pk_add_f32 v[6:7], v[0:1], v[8:9]
	ds_bpermute_b32 v0, v11, v4
	ds_bpermute_b32 v1, v11, v5
	;; [unrolled: 1-line block ×4, first 2 shown]
	v_xor_b32_e32 v11, 1, v10
	s_delay_alu instid0(VALU_DEP_1) | instskip(SKIP_2) | instid1(VALU_DEP_2)
	v_cmp_gt_i32_e32 vcc_lo, 32, v11
	v_cndmask_b32_e32 v10, v10, v11, vcc_lo
	v_cmp_eq_u32_e32 vcc_lo, 63, v3
	v_lshlrev_b32_e32 v10, 2, v10
	s_wait_dscnt 0x2
	v_pk_add_f32 v[0:1], v[4:5], v[0:1]
	s_wait_dscnt 0x0
	v_pk_add_f32 v[6:7], v[6:7], v[8:9]
	ds_bpermute_b32 v4, v10, v0
	ds_bpermute_b32 v5, v10, v1
	;; [unrolled: 1-line block ×4, first 2 shown]
	s_and_b32 exec_lo, exec_lo, vcc_lo
	s_cbranch_execz .LBB4_23
; %bb.19:
	s_load_b64 s[0:1], s[0:1], 0x38
	s_wait_dscnt 0x2
	v_pk_add_f32 v[4:5], v[0:1], v[4:5]
	s_wait_dscnt 0x0
	v_pk_add_f32 v[0:1], v[6:7], v[8:9]
	v_lshlrev_b32_e32 v2, 2, v2
	s_cmp_eq_f32 s12, 0
	s_cbranch_scc0 .LBB4_21
; %bb.20:
	s_delay_alu instid0(VALU_DEP_1)
	v_ashrrev_i32_e32 v3, 31, v2
	v_pk_mul_f32 v[6:7], s[14:15], v[4:5] op_sel_hi:[0,1]
	v_pk_mul_f32 v[8:9], s[14:15], v[0:1] op_sel_hi:[0,1]
	s_mov_b32 s2, 0
	s_wait_kmcnt 0x0
	v_lshl_add_u64 v[10:11], v[2:3], 2, s[0:1]
	global_store_b128 v[10:11], v[6:9], off
.LBB4_21:
	s_and_not1_b32 vcc_lo, exec_lo, s2
	s_cbranch_vccnz .LBB4_23
; %bb.22:
	v_ashrrev_i32_e32 v3, 31, v2
	s_wait_kmcnt 0x0
	s_delay_alu instid0(VALU_DEP_1)
	v_lshl_add_u64 v[10:11], v[2:3], 2, s[0:1]
	v_pk_mul_f32 v[2:3], s[14:15], v[4:5] op_sel_hi:[0,1]
	v_pk_mul_f32 v[4:5], s[14:15], v[0:1] op_sel_hi:[0,1]
	global_load_b128 v[6:9], v[10:11], off
	s_wait_loadcnt 0x0
	v_pk_fma_f32 v[0:1], s[12:13], v[6:7], v[2:3] op_sel_hi:[0,1,1]
	v_pk_fma_f32 v[2:3], s[12:13], v[8:9], v[4:5] op_sel_hi:[0,1,1]
	global_store_b128 v[10:11], v[0:3], off
.LBB4_23:
	s_endpgm
	.section	.rodata,"a",@progbits
	.p2align	6, 0x0
	.amdhsa_kernel _ZN9rocsparseL19gebsrmvn_4xn_kernelILj128ELj1ELj64EfEEvi20rocsparse_direction_NS_24const_host_device_scalarIT2_EEPKiS6_PKS3_S8_S4_PS3_21rocsparse_index_base_b
		.amdhsa_group_segment_fixed_size 0
		.amdhsa_private_segment_fixed_size 0
		.amdhsa_kernarg_size 72
		.amdhsa_user_sgpr_count 2
		.amdhsa_user_sgpr_dispatch_ptr 0
		.amdhsa_user_sgpr_queue_ptr 0
		.amdhsa_user_sgpr_kernarg_segment_ptr 1
		.amdhsa_user_sgpr_dispatch_id 0
		.amdhsa_user_sgpr_kernarg_preload_length 0
		.amdhsa_user_sgpr_kernarg_preload_offset 0
		.amdhsa_user_sgpr_private_segment_size 0
		.amdhsa_wavefront_size32 1
		.amdhsa_uses_dynamic_stack 0
		.amdhsa_enable_private_segment 0
		.amdhsa_system_sgpr_workgroup_id_x 1
		.amdhsa_system_sgpr_workgroup_id_y 0
		.amdhsa_system_sgpr_workgroup_id_z 0
		.amdhsa_system_sgpr_workgroup_info 0
		.amdhsa_system_vgpr_workitem_id 0
		.amdhsa_next_free_vgpr 20
		.amdhsa_next_free_sgpr 18
		.amdhsa_named_barrier_count 0
		.amdhsa_reserve_vcc 1
		.amdhsa_float_round_mode_32 0
		.amdhsa_float_round_mode_16_64 0
		.amdhsa_float_denorm_mode_32 3
		.amdhsa_float_denorm_mode_16_64 3
		.amdhsa_fp16_overflow 0
		.amdhsa_memory_ordered 1
		.amdhsa_forward_progress 1
		.amdhsa_inst_pref_size 11
		.amdhsa_round_robin_scheduling 0
		.amdhsa_exception_fp_ieee_invalid_op 0
		.amdhsa_exception_fp_denorm_src 0
		.amdhsa_exception_fp_ieee_div_zero 0
		.amdhsa_exception_fp_ieee_overflow 0
		.amdhsa_exception_fp_ieee_underflow 0
		.amdhsa_exception_fp_ieee_inexact 0
		.amdhsa_exception_int_div_zero 0
	.end_amdhsa_kernel
	.section	.text._ZN9rocsparseL19gebsrmvn_4xn_kernelILj128ELj1ELj64EfEEvi20rocsparse_direction_NS_24const_host_device_scalarIT2_EEPKiS6_PKS3_S8_S4_PS3_21rocsparse_index_base_b,"axG",@progbits,_ZN9rocsparseL19gebsrmvn_4xn_kernelILj128ELj1ELj64EfEEvi20rocsparse_direction_NS_24const_host_device_scalarIT2_EEPKiS6_PKS3_S8_S4_PS3_21rocsparse_index_base_b,comdat
.Lfunc_end4:
	.size	_ZN9rocsparseL19gebsrmvn_4xn_kernelILj128ELj1ELj64EfEEvi20rocsparse_direction_NS_24const_host_device_scalarIT2_EEPKiS6_PKS3_S8_S4_PS3_21rocsparse_index_base_b, .Lfunc_end4-_ZN9rocsparseL19gebsrmvn_4xn_kernelILj128ELj1ELj64EfEEvi20rocsparse_direction_NS_24const_host_device_scalarIT2_EEPKiS6_PKS3_S8_S4_PS3_21rocsparse_index_base_b
                                        ; -- End function
	.set _ZN9rocsparseL19gebsrmvn_4xn_kernelILj128ELj1ELj64EfEEvi20rocsparse_direction_NS_24const_host_device_scalarIT2_EEPKiS6_PKS3_S8_S4_PS3_21rocsparse_index_base_b.num_vgpr, 20
	.set _ZN9rocsparseL19gebsrmvn_4xn_kernelILj128ELj1ELj64EfEEvi20rocsparse_direction_NS_24const_host_device_scalarIT2_EEPKiS6_PKS3_S8_S4_PS3_21rocsparse_index_base_b.num_agpr, 0
	.set _ZN9rocsparseL19gebsrmvn_4xn_kernelILj128ELj1ELj64EfEEvi20rocsparse_direction_NS_24const_host_device_scalarIT2_EEPKiS6_PKS3_S8_S4_PS3_21rocsparse_index_base_b.numbered_sgpr, 18
	.set _ZN9rocsparseL19gebsrmvn_4xn_kernelILj128ELj1ELj64EfEEvi20rocsparse_direction_NS_24const_host_device_scalarIT2_EEPKiS6_PKS3_S8_S4_PS3_21rocsparse_index_base_b.num_named_barrier, 0
	.set _ZN9rocsparseL19gebsrmvn_4xn_kernelILj128ELj1ELj64EfEEvi20rocsparse_direction_NS_24const_host_device_scalarIT2_EEPKiS6_PKS3_S8_S4_PS3_21rocsparse_index_base_b.private_seg_size, 0
	.set _ZN9rocsparseL19gebsrmvn_4xn_kernelILj128ELj1ELj64EfEEvi20rocsparse_direction_NS_24const_host_device_scalarIT2_EEPKiS6_PKS3_S8_S4_PS3_21rocsparse_index_base_b.uses_vcc, 1
	.set _ZN9rocsparseL19gebsrmvn_4xn_kernelILj128ELj1ELj64EfEEvi20rocsparse_direction_NS_24const_host_device_scalarIT2_EEPKiS6_PKS3_S8_S4_PS3_21rocsparse_index_base_b.uses_flat_scratch, 0
	.set _ZN9rocsparseL19gebsrmvn_4xn_kernelILj128ELj1ELj64EfEEvi20rocsparse_direction_NS_24const_host_device_scalarIT2_EEPKiS6_PKS3_S8_S4_PS3_21rocsparse_index_base_b.has_dyn_sized_stack, 0
	.set _ZN9rocsparseL19gebsrmvn_4xn_kernelILj128ELj1ELj64EfEEvi20rocsparse_direction_NS_24const_host_device_scalarIT2_EEPKiS6_PKS3_S8_S4_PS3_21rocsparse_index_base_b.has_recursion, 0
	.set _ZN9rocsparseL19gebsrmvn_4xn_kernelILj128ELj1ELj64EfEEvi20rocsparse_direction_NS_24const_host_device_scalarIT2_EEPKiS6_PKS3_S8_S4_PS3_21rocsparse_index_base_b.has_indirect_call, 0
	.section	.AMDGPU.csdata,"",@progbits
; Kernel info:
; codeLenInByte = 1296
; TotalNumSgprs: 20
; NumVgprs: 20
; ScratchSize: 0
; MemoryBound: 0
; FloatMode: 240
; IeeeMode: 1
; LDSByteSize: 0 bytes/workgroup (compile time only)
; SGPRBlocks: 0
; VGPRBlocks: 1
; NumSGPRsForWavesPerEU: 20
; NumVGPRsForWavesPerEU: 20
; NamedBarCnt: 0
; Occupancy: 16
; WaveLimiterHint : 1
; COMPUTE_PGM_RSRC2:SCRATCH_EN: 0
; COMPUTE_PGM_RSRC2:USER_SGPR: 2
; COMPUTE_PGM_RSRC2:TRAP_HANDLER: 0
; COMPUTE_PGM_RSRC2:TGID_X_EN: 1
; COMPUTE_PGM_RSRC2:TGID_Y_EN: 0
; COMPUTE_PGM_RSRC2:TGID_Z_EN: 0
; COMPUTE_PGM_RSRC2:TIDIG_COMP_CNT: 0
	.section	.text._ZN9rocsparseL19gebsrmvn_4xn_kernelILj128ELj2ELj4EfEEvi20rocsparse_direction_NS_24const_host_device_scalarIT2_EEPKiS6_PKS3_S8_S4_PS3_21rocsparse_index_base_b,"axG",@progbits,_ZN9rocsparseL19gebsrmvn_4xn_kernelILj128ELj2ELj4EfEEvi20rocsparse_direction_NS_24const_host_device_scalarIT2_EEPKiS6_PKS3_S8_S4_PS3_21rocsparse_index_base_b,comdat
	.globl	_ZN9rocsparseL19gebsrmvn_4xn_kernelILj128ELj2ELj4EfEEvi20rocsparse_direction_NS_24const_host_device_scalarIT2_EEPKiS6_PKS3_S8_S4_PS3_21rocsparse_index_base_b ; -- Begin function _ZN9rocsparseL19gebsrmvn_4xn_kernelILj128ELj2ELj4EfEEvi20rocsparse_direction_NS_24const_host_device_scalarIT2_EEPKiS6_PKS3_S8_S4_PS3_21rocsparse_index_base_b
	.p2align	8
	.type	_ZN9rocsparseL19gebsrmvn_4xn_kernelILj128ELj2ELj4EfEEvi20rocsparse_direction_NS_24const_host_device_scalarIT2_EEPKiS6_PKS3_S8_S4_PS3_21rocsparse_index_base_b,@function
_ZN9rocsparseL19gebsrmvn_4xn_kernelILj128ELj2ELj4EfEEvi20rocsparse_direction_NS_24const_host_device_scalarIT2_EEPKiS6_PKS3_S8_S4_PS3_21rocsparse_index_base_b: ; @_ZN9rocsparseL19gebsrmvn_4xn_kernelILj128ELj2ELj4EfEEvi20rocsparse_direction_NS_24const_host_device_scalarIT2_EEPKiS6_PKS3_S8_S4_PS3_21rocsparse_index_base_b
; %bb.0:
	s_clause 0x2
	s_load_b64 s[16:17], s[0:1], 0x40
	s_load_b64 s[14:15], s[0:1], 0x8
	;; [unrolled: 1-line block ×3, first 2 shown]
	s_wait_kmcnt 0x0
	s_bitcmp1_b32 s17, 0
	s_cselect_b32 s2, -1, 0
	s_delay_alu instid0(SALU_CYCLE_1)
	s_and_b32 vcc_lo, exec_lo, s2
	s_xor_b32 s2, s2, -1
	s_cbranch_vccnz .LBB5_2
; %bb.1:
	s_load_b32 s14, s[14:15], 0x0
.LBB5_2:
	s_and_not1_b32 vcc_lo, exec_lo, s2
	s_cbranch_vccnz .LBB5_4
; %bb.3:
	s_load_b32 s12, s[12:13], 0x0
.LBB5_4:
	s_wait_kmcnt 0x0
	s_cmp_eq_f32 s14, 0
	s_cselect_b32 s2, -1, 0
	s_cmp_eq_f32 s12, 1.0
	s_cselect_b32 s3, -1, 0
	s_delay_alu instid0(SALU_CYCLE_1) | instskip(NEXT) | instid1(SALU_CYCLE_1)
	s_and_b32 s2, s2, s3
	s_and_b32 vcc_lo, exec_lo, s2
	s_cbranch_vccnz .LBB5_23
; %bb.5:
	s_load_b64 s[2:3], s[0:1], 0x0
	s_bfe_u32 s4, ttmp6, 0x4000c
	s_and_b32 s5, ttmp6, 15
	s_add_co_i32 s4, s4, 1
	s_getreg_b32 s6, hwreg(HW_REG_IB_STS2, 6, 4)
	s_mul_i32 s4, ttmp9, s4
	v_lshrrev_b32_e32 v1, 2, v0
	s_add_co_i32 s5, s5, s4
	s_cmp_eq_u32 s6, 0
	s_cselect_b32 s4, ttmp9, s5
	s_delay_alu instid0(VALU_DEP_1) | instid1(SALU_CYCLE_1)
	v_lshl_or_b32 v2, s4, 5, v1
	s_wait_kmcnt 0x0
	s_delay_alu instid0(VALU_DEP_1)
	v_cmp_gt_i32_e32 vcc_lo, s2, v2
	s_and_saveexec_b32 s2, vcc_lo
	s_cbranch_execz .LBB5_23
; %bb.6:
	s_load_b256 s[4:11], s[0:1], 0x10
	v_ashrrev_i32_e32 v3, 31, v2
	s_cmp_lg_u32 s3, 0
	s_wait_kmcnt 0x0
	s_delay_alu instid0(VALU_DEP_1)
	v_lshl_add_u64 v[4:5], v[2:3], 2, s[4:5]
	v_and_b32_e32 v3, 3, v0
	global_load_b64 v[4:5], v[4:5], off
	s_wait_loadcnt 0x0
	v_subrev_nc_u32_e32 v0, s16, v4
	v_subrev_nc_u32_e32 v8, s16, v5
	s_delay_alu instid0(VALU_DEP_2) | instskip(NEXT) | instid1(VALU_DEP_1)
	v_add_nc_u32_e32 v9, v0, v3
	v_cmp_lt_i32_e64 s2, v9, v8
	s_cbranch_scc0 .LBB5_12
; %bb.7:
	v_mov_b32_e32 v1, 0
	s_delay_alu instid0(VALU_DEP_1)
	v_dual_mov_b32 v0, v1 :: v_dual_mov_b32 v5, v1
	v_mov_b32_e32 v4, v1
	s_and_saveexec_b32 s3, s2
	s_cbranch_execz .LBB5_11
; %bb.8:
	v_dual_mov_b32 v7, 0 :: v_dual_lshlrev_b32 v6, 3, v9
	v_mov_b32_e32 v10, v9
	s_mov_b32 s4, 0
	s_delay_alu instid0(VALU_DEP_2)
	v_dual_mov_b32 v4, v7 :: v_dual_mov_b32 v5, v7
	v_dual_mov_b32 v0, v7 :: v_dual_mov_b32 v1, v7
.LBB5_9:                                ; =>This Inner Loop Header: Depth=1
	global_load_b32 v11, v10, s[6:7] scale_offset
	v_lshl_add_u64 v[20:21], v[6:7], 2, s[8:9]
	s_wait_xcnt 0x0
	v_add_nc_u32_e32 v10, 4, v10
	v_add_nc_u32_e32 v6, 32, v6
	s_delay_alu instid0(VALU_DEP_2) | instskip(SKIP_3) | instid1(VALU_DEP_1)
	v_cmp_ge_i32_e32 vcc_lo, v10, v8
	s_or_b32 s4, vcc_lo, s4
	s_wait_loadcnt 0x0
	v_subrev_nc_u32_e32 v11, s16, v11
	v_dual_mov_b32 v13, v7 :: v_dual_lshlrev_b32 v12, 1, v11
	s_delay_alu instid0(VALU_DEP_1)
	v_lshl_add_u64 v[22:23], v[12:13], 2, s[10:11]
	s_clause 0x1
	global_load_b128 v[12:15], v[20:21], off offset:16
	global_load_b128 v[16:19], v[20:21], off
	global_load_b64 v[24:25], v[22:23], off
	s_wait_loadcnt 0x0
	v_pk_fma_f32 v[4:5], v[16:17], v[24:25], v[4:5] op_sel_hi:[1,0,1]
	v_pk_fma_f32 v[0:1], v[18:19], v[24:25], v[0:1] op_sel_hi:[1,0,1]
	s_delay_alu instid0(VALU_DEP_2) | instskip(NEXT) | instid1(VALU_DEP_2)
	v_pk_fma_f32 v[4:5], v[12:13], v[24:25], v[4:5] op_sel:[0,1,0]
	v_pk_fma_f32 v[0:1], v[14:15], v[24:25], v[0:1] op_sel:[0,1,0]
	s_and_not1_b32 exec_lo, exec_lo, s4
	s_cbranch_execnz .LBB5_9
; %bb.10:
	s_or_b32 exec_lo, exec_lo, s4
.LBB5_11:
	s_delay_alu instid0(SALU_CYCLE_1)
	s_or_b32 exec_lo, exec_lo, s3
	s_cbranch_execz .LBB5_13
	s_branch .LBB5_18
.LBB5_12:
                                        ; implicit-def: $vgpr1
                                        ; implicit-def: $vgpr5
.LBB5_13:
	v_mov_b32_e32 v1, 0
	s_delay_alu instid0(VALU_DEP_1)
	v_dual_mov_b32 v0, v1 :: v_dual_mov_b32 v5, v1
	v_mov_b32_e32 v4, v1
	s_and_saveexec_b32 s3, s2
	s_cbranch_execz .LBB5_17
; %bb.14:
	v_dual_mov_b32 v7, 0 :: v_dual_lshlrev_b32 v6, 3, v9
	s_mov_b32 s2, 0
	s_delay_alu instid0(VALU_DEP_1)
	v_dual_mov_b32 v4, v7 :: v_dual_mov_b32 v5, v7
	v_dual_mov_b32 v0, v7 :: v_dual_mov_b32 v1, v7
.LBB5_15:                               ; =>This Inner Loop Header: Depth=1
	global_load_b32 v10, v9, s[6:7] scale_offset
	v_lshl_add_u64 v[18:19], v[6:7], 2, s[8:9]
	v_add_nc_u32_e32 v6, 32, v6
	s_wait_loadcnt 0x0
	v_subrev_nc_u32_e32 v10, s16, v10
	s_delay_alu instid0(VALU_DEP_1)
	v_dual_mov_b32 v21, v7 :: v_dual_lshlrev_b32 v20, 1, v10
	s_clause 0x1
	global_load_b128 v[10:13], v[18:19], off
	global_load_b128 v[14:17], v[18:19], off offset:16
	v_add_nc_u32_e32 v9, 4, v9
	s_wait_xcnt 0x0
	v_lshl_add_u64 v[18:19], v[20:21], 2, s[10:11]
	global_load_b64 v[18:19], v[18:19], off
	s_wait_loadcnt 0x2
	v_dual_mov_b32 v20, v10 :: v_dual_mov_b32 v21, v12
	s_wait_loadcnt 0x1
	v_dual_mov_b32 v22, v14 :: v_dual_mov_b32 v23, v16
	v_dual_mov_b32 v12, v11 :: v_dual_mov_b32 v16, v15
	v_cmp_ge_i32_e32 vcc_lo, v9, v8
	s_wait_loadcnt 0x0
	v_pk_fma_f32 v[4:5], v[20:21], v[18:19], v[4:5] op_sel_hi:[1,0,1]
	v_pk_fma_f32 v[0:1], v[22:23], v[18:19], v[0:1] op_sel_hi:[1,0,1]
	s_or_b32 s2, vcc_lo, s2
	s_delay_alu instid0(VALU_DEP_2) | instskip(NEXT) | instid1(VALU_DEP_2)
	v_pk_fma_f32 v[4:5], v[12:13], v[18:19], v[4:5] op_sel:[0,1,0]
	v_pk_fma_f32 v[0:1], v[16:17], v[18:19], v[0:1] op_sel:[0,1,0]
	s_and_not1_b32 exec_lo, exec_lo, s2
	s_cbranch_execnz .LBB5_15
; %bb.16:
	s_or_b32 exec_lo, exec_lo, s2
.LBB5_17:
	s_delay_alu instid0(SALU_CYCLE_1)
	s_or_b32 exec_lo, exec_lo, s3
.LBB5_18:
	v_mbcnt_lo_u32_b32 v10, -1, 0
	s_mov_b32 s2, -1
	s_delay_alu instid0(VALU_DEP_1) | instskip(SKIP_1) | instid1(VALU_DEP_1)
	v_xor_b32_e32 v11, 1, v10
	v_xor_b32_e32 v6, 2, v10
	v_cmp_gt_i32_e32 vcc_lo, 32, v6
	v_cndmask_b32_e32 v6, v10, v6, vcc_lo
	s_delay_alu instid0(VALU_DEP_4) | instskip(NEXT) | instid1(VALU_DEP_2)
	v_cmp_gt_i32_e32 vcc_lo, 32, v11
	v_dual_cndmask_b32 v10, v10, v11 :: v_dual_lshlrev_b32 v9, 2, v6
	v_cmp_eq_u32_e32 vcc_lo, 3, v3
	ds_bpermute_b32 v6, v9, v4
	ds_bpermute_b32 v7, v9, v5
	;; [unrolled: 1-line block ×4, first 2 shown]
	v_lshlrev_b32_e32 v10, 2, v10
	s_wait_dscnt 0x2
	v_pk_add_f32 v[4:5], v[4:5], v[6:7]
	s_wait_dscnt 0x0
	v_pk_add_f32 v[0:1], v[0:1], v[8:9]
	ds_bpermute_b32 v8, v10, v4
	ds_bpermute_b32 v9, v10, v5
	;; [unrolled: 1-line block ×4, first 2 shown]
	s_and_b32 exec_lo, exec_lo, vcc_lo
	s_cbranch_execz .LBB5_23
; %bb.19:
	s_load_b64 s[0:1], s[0:1], 0x38
	s_wait_dscnt 0x2
	v_pk_add_f32 v[4:5], v[4:5], v[8:9]
	s_wait_dscnt 0x0
	v_pk_add_f32 v[0:1], v[0:1], v[6:7]
	v_lshlrev_b32_e32 v2, 2, v2
	s_cmp_eq_f32 s12, 0
	s_cbranch_scc0 .LBB5_21
; %bb.20:
	s_delay_alu instid0(VALU_DEP_1)
	v_ashrrev_i32_e32 v3, 31, v2
	v_pk_mul_f32 v[6:7], s[14:15], v[4:5] op_sel_hi:[0,1]
	v_pk_mul_f32 v[8:9], s[14:15], v[0:1] op_sel_hi:[0,1]
	s_mov_b32 s2, 0
	s_wait_kmcnt 0x0
	v_lshl_add_u64 v[10:11], v[2:3], 2, s[0:1]
	global_store_b128 v[10:11], v[6:9], off
.LBB5_21:
	s_and_not1_b32 vcc_lo, exec_lo, s2
	s_cbranch_vccnz .LBB5_23
; %bb.22:
	v_ashrrev_i32_e32 v3, 31, v2
	s_wait_kmcnt 0x0
	s_delay_alu instid0(VALU_DEP_1)
	v_lshl_add_u64 v[10:11], v[2:3], 2, s[0:1]
	v_pk_mul_f32 v[2:3], s[14:15], v[4:5] op_sel_hi:[0,1]
	v_pk_mul_f32 v[4:5], s[14:15], v[0:1] op_sel_hi:[0,1]
	global_load_b128 v[6:9], v[10:11], off
	s_wait_loadcnt 0x0
	v_pk_fma_f32 v[0:1], s[12:13], v[6:7], v[2:3] op_sel_hi:[0,1,1]
	v_pk_fma_f32 v[2:3], s[12:13], v[8:9], v[4:5] op_sel_hi:[0,1,1]
	global_store_b128 v[10:11], v[0:3], off
.LBB5_23:
	s_endpgm
	.section	.rodata,"a",@progbits
	.p2align	6, 0x0
	.amdhsa_kernel _ZN9rocsparseL19gebsrmvn_4xn_kernelILj128ELj2ELj4EfEEvi20rocsparse_direction_NS_24const_host_device_scalarIT2_EEPKiS6_PKS3_S8_S4_PS3_21rocsparse_index_base_b
		.amdhsa_group_segment_fixed_size 0
		.amdhsa_private_segment_fixed_size 0
		.amdhsa_kernarg_size 72
		.amdhsa_user_sgpr_count 2
		.amdhsa_user_sgpr_dispatch_ptr 0
		.amdhsa_user_sgpr_queue_ptr 0
		.amdhsa_user_sgpr_kernarg_segment_ptr 1
		.amdhsa_user_sgpr_dispatch_id 0
		.amdhsa_user_sgpr_kernarg_preload_length 0
		.amdhsa_user_sgpr_kernarg_preload_offset 0
		.amdhsa_user_sgpr_private_segment_size 0
		.amdhsa_wavefront_size32 1
		.amdhsa_uses_dynamic_stack 0
		.amdhsa_enable_private_segment 0
		.amdhsa_system_sgpr_workgroup_id_x 1
		.amdhsa_system_sgpr_workgroup_id_y 0
		.amdhsa_system_sgpr_workgroup_id_z 0
		.amdhsa_system_sgpr_workgroup_info 0
		.amdhsa_system_vgpr_workitem_id 0
		.amdhsa_next_free_vgpr 26
		.amdhsa_next_free_sgpr 18
		.amdhsa_named_barrier_count 0
		.amdhsa_reserve_vcc 1
		.amdhsa_float_round_mode_32 0
		.amdhsa_float_round_mode_16_64 0
		.amdhsa_float_denorm_mode_32 3
		.amdhsa_float_denorm_mode_16_64 3
		.amdhsa_fp16_overflow 0
		.amdhsa_memory_ordered 1
		.amdhsa_forward_progress 1
		.amdhsa_inst_pref_size 9
		.amdhsa_round_robin_scheduling 0
		.amdhsa_exception_fp_ieee_invalid_op 0
		.amdhsa_exception_fp_denorm_src 0
		.amdhsa_exception_fp_ieee_div_zero 0
		.amdhsa_exception_fp_ieee_overflow 0
		.amdhsa_exception_fp_ieee_underflow 0
		.amdhsa_exception_fp_ieee_inexact 0
		.amdhsa_exception_int_div_zero 0
	.end_amdhsa_kernel
	.section	.text._ZN9rocsparseL19gebsrmvn_4xn_kernelILj128ELj2ELj4EfEEvi20rocsparse_direction_NS_24const_host_device_scalarIT2_EEPKiS6_PKS3_S8_S4_PS3_21rocsparse_index_base_b,"axG",@progbits,_ZN9rocsparseL19gebsrmvn_4xn_kernelILj128ELj2ELj4EfEEvi20rocsparse_direction_NS_24const_host_device_scalarIT2_EEPKiS6_PKS3_S8_S4_PS3_21rocsparse_index_base_b,comdat
.Lfunc_end5:
	.size	_ZN9rocsparseL19gebsrmvn_4xn_kernelILj128ELj2ELj4EfEEvi20rocsparse_direction_NS_24const_host_device_scalarIT2_EEPKiS6_PKS3_S8_S4_PS3_21rocsparse_index_base_b, .Lfunc_end5-_ZN9rocsparseL19gebsrmvn_4xn_kernelILj128ELj2ELj4EfEEvi20rocsparse_direction_NS_24const_host_device_scalarIT2_EEPKiS6_PKS3_S8_S4_PS3_21rocsparse_index_base_b
                                        ; -- End function
	.set _ZN9rocsparseL19gebsrmvn_4xn_kernelILj128ELj2ELj4EfEEvi20rocsparse_direction_NS_24const_host_device_scalarIT2_EEPKiS6_PKS3_S8_S4_PS3_21rocsparse_index_base_b.num_vgpr, 26
	.set _ZN9rocsparseL19gebsrmvn_4xn_kernelILj128ELj2ELj4EfEEvi20rocsparse_direction_NS_24const_host_device_scalarIT2_EEPKiS6_PKS3_S8_S4_PS3_21rocsparse_index_base_b.num_agpr, 0
	.set _ZN9rocsparseL19gebsrmvn_4xn_kernelILj128ELj2ELj4EfEEvi20rocsparse_direction_NS_24const_host_device_scalarIT2_EEPKiS6_PKS3_S8_S4_PS3_21rocsparse_index_base_b.numbered_sgpr, 18
	.set _ZN9rocsparseL19gebsrmvn_4xn_kernelILj128ELj2ELj4EfEEvi20rocsparse_direction_NS_24const_host_device_scalarIT2_EEPKiS6_PKS3_S8_S4_PS3_21rocsparse_index_base_b.num_named_barrier, 0
	.set _ZN9rocsparseL19gebsrmvn_4xn_kernelILj128ELj2ELj4EfEEvi20rocsparse_direction_NS_24const_host_device_scalarIT2_EEPKiS6_PKS3_S8_S4_PS3_21rocsparse_index_base_b.private_seg_size, 0
	.set _ZN9rocsparseL19gebsrmvn_4xn_kernelILj128ELj2ELj4EfEEvi20rocsparse_direction_NS_24const_host_device_scalarIT2_EEPKiS6_PKS3_S8_S4_PS3_21rocsparse_index_base_b.uses_vcc, 1
	.set _ZN9rocsparseL19gebsrmvn_4xn_kernelILj128ELj2ELj4EfEEvi20rocsparse_direction_NS_24const_host_device_scalarIT2_EEPKiS6_PKS3_S8_S4_PS3_21rocsparse_index_base_b.uses_flat_scratch, 0
	.set _ZN9rocsparseL19gebsrmvn_4xn_kernelILj128ELj2ELj4EfEEvi20rocsparse_direction_NS_24const_host_device_scalarIT2_EEPKiS6_PKS3_S8_S4_PS3_21rocsparse_index_base_b.has_dyn_sized_stack, 0
	.set _ZN9rocsparseL19gebsrmvn_4xn_kernelILj128ELj2ELj4EfEEvi20rocsparse_direction_NS_24const_host_device_scalarIT2_EEPKiS6_PKS3_S8_S4_PS3_21rocsparse_index_base_b.has_recursion, 0
	.set _ZN9rocsparseL19gebsrmvn_4xn_kernelILj128ELj2ELj4EfEEvi20rocsparse_direction_NS_24const_host_device_scalarIT2_EEPKiS6_PKS3_S8_S4_PS3_21rocsparse_index_base_b.has_indirect_call, 0
	.section	.AMDGPU.csdata,"",@progbits
; Kernel info:
; codeLenInByte = 1124
; TotalNumSgprs: 20
; NumVgprs: 26
; ScratchSize: 0
; MemoryBound: 0
; FloatMode: 240
; IeeeMode: 1
; LDSByteSize: 0 bytes/workgroup (compile time only)
; SGPRBlocks: 0
; VGPRBlocks: 1
; NumSGPRsForWavesPerEU: 20
; NumVGPRsForWavesPerEU: 26
; NamedBarCnt: 0
; Occupancy: 16
; WaveLimiterHint : 1
; COMPUTE_PGM_RSRC2:SCRATCH_EN: 0
; COMPUTE_PGM_RSRC2:USER_SGPR: 2
; COMPUTE_PGM_RSRC2:TRAP_HANDLER: 0
; COMPUTE_PGM_RSRC2:TGID_X_EN: 1
; COMPUTE_PGM_RSRC2:TGID_Y_EN: 0
; COMPUTE_PGM_RSRC2:TGID_Z_EN: 0
; COMPUTE_PGM_RSRC2:TIDIG_COMP_CNT: 0
	.section	.text._ZN9rocsparseL19gebsrmvn_4xn_kernelILj128ELj2ELj8EfEEvi20rocsparse_direction_NS_24const_host_device_scalarIT2_EEPKiS6_PKS3_S8_S4_PS3_21rocsparse_index_base_b,"axG",@progbits,_ZN9rocsparseL19gebsrmvn_4xn_kernelILj128ELj2ELj8EfEEvi20rocsparse_direction_NS_24const_host_device_scalarIT2_EEPKiS6_PKS3_S8_S4_PS3_21rocsparse_index_base_b,comdat
	.globl	_ZN9rocsparseL19gebsrmvn_4xn_kernelILj128ELj2ELj8EfEEvi20rocsparse_direction_NS_24const_host_device_scalarIT2_EEPKiS6_PKS3_S8_S4_PS3_21rocsparse_index_base_b ; -- Begin function _ZN9rocsparseL19gebsrmvn_4xn_kernelILj128ELj2ELj8EfEEvi20rocsparse_direction_NS_24const_host_device_scalarIT2_EEPKiS6_PKS3_S8_S4_PS3_21rocsparse_index_base_b
	.p2align	8
	.type	_ZN9rocsparseL19gebsrmvn_4xn_kernelILj128ELj2ELj8EfEEvi20rocsparse_direction_NS_24const_host_device_scalarIT2_EEPKiS6_PKS3_S8_S4_PS3_21rocsparse_index_base_b,@function
_ZN9rocsparseL19gebsrmvn_4xn_kernelILj128ELj2ELj8EfEEvi20rocsparse_direction_NS_24const_host_device_scalarIT2_EEPKiS6_PKS3_S8_S4_PS3_21rocsparse_index_base_b: ; @_ZN9rocsparseL19gebsrmvn_4xn_kernelILj128ELj2ELj8EfEEvi20rocsparse_direction_NS_24const_host_device_scalarIT2_EEPKiS6_PKS3_S8_S4_PS3_21rocsparse_index_base_b
; %bb.0:
	s_clause 0x2
	s_load_b64 s[16:17], s[0:1], 0x40
	s_load_b64 s[14:15], s[0:1], 0x8
	;; [unrolled: 1-line block ×3, first 2 shown]
	s_wait_kmcnt 0x0
	s_bitcmp1_b32 s17, 0
	s_cselect_b32 s2, -1, 0
	s_delay_alu instid0(SALU_CYCLE_1)
	s_and_b32 vcc_lo, exec_lo, s2
	s_xor_b32 s2, s2, -1
	s_cbranch_vccnz .LBB6_2
; %bb.1:
	s_load_b32 s14, s[14:15], 0x0
.LBB6_2:
	s_and_not1_b32 vcc_lo, exec_lo, s2
	s_cbranch_vccnz .LBB6_4
; %bb.3:
	s_load_b32 s12, s[12:13], 0x0
.LBB6_4:
	s_wait_kmcnt 0x0
	s_cmp_eq_f32 s14, 0
	s_cselect_b32 s2, -1, 0
	s_cmp_eq_f32 s12, 1.0
	s_cselect_b32 s3, -1, 0
	s_delay_alu instid0(SALU_CYCLE_1) | instskip(NEXT) | instid1(SALU_CYCLE_1)
	s_and_b32 s2, s2, s3
	s_and_b32 vcc_lo, exec_lo, s2
	s_cbranch_vccnz .LBB6_23
; %bb.5:
	s_load_b64 s[2:3], s[0:1], 0x0
	s_bfe_u32 s4, ttmp6, 0x4000c
	s_and_b32 s5, ttmp6, 15
	s_add_co_i32 s4, s4, 1
	s_getreg_b32 s6, hwreg(HW_REG_IB_STS2, 6, 4)
	s_mul_i32 s4, ttmp9, s4
	v_lshrrev_b32_e32 v1, 3, v0
	s_add_co_i32 s5, s5, s4
	s_cmp_eq_u32 s6, 0
	s_cselect_b32 s4, ttmp9, s5
	s_delay_alu instid0(VALU_DEP_1) | instid1(SALU_CYCLE_1)
	v_lshl_or_b32 v2, s4, 4, v1
	s_wait_kmcnt 0x0
	s_delay_alu instid0(VALU_DEP_1)
	v_cmp_gt_i32_e32 vcc_lo, s2, v2
	s_and_saveexec_b32 s2, vcc_lo
	s_cbranch_execz .LBB6_23
; %bb.6:
	s_load_b256 s[4:11], s[0:1], 0x10
	v_ashrrev_i32_e32 v3, 31, v2
	s_cmp_lg_u32 s3, 0
	s_wait_kmcnt 0x0
	s_delay_alu instid0(VALU_DEP_1)
	v_lshl_add_u64 v[4:5], v[2:3], 2, s[4:5]
	v_and_b32_e32 v3, 7, v0
	global_load_b64 v[4:5], v[4:5], off
	s_wait_loadcnt 0x0
	v_subrev_nc_u32_e32 v0, s16, v4
	v_subrev_nc_u32_e32 v8, s16, v5
	s_delay_alu instid0(VALU_DEP_2) | instskip(NEXT) | instid1(VALU_DEP_1)
	v_add_nc_u32_e32 v9, v0, v3
	v_cmp_lt_i32_e64 s2, v9, v8
	s_cbranch_scc0 .LBB6_12
; %bb.7:
	v_mov_b32_e32 v1, 0
	s_delay_alu instid0(VALU_DEP_1)
	v_dual_mov_b32 v0, v1 :: v_dual_mov_b32 v5, v1
	v_mov_b32_e32 v4, v1
	s_and_saveexec_b32 s3, s2
	s_cbranch_execz .LBB6_11
; %bb.8:
	v_dual_mov_b32 v7, 0 :: v_dual_lshlrev_b32 v6, 3, v9
	v_mov_b32_e32 v10, v9
	s_mov_b32 s4, 0
	s_delay_alu instid0(VALU_DEP_2)
	v_dual_mov_b32 v4, v7 :: v_dual_mov_b32 v5, v7
	v_dual_mov_b32 v0, v7 :: v_dual_mov_b32 v1, v7
.LBB6_9:                                ; =>This Inner Loop Header: Depth=1
	global_load_b32 v11, v10, s[6:7] scale_offset
	v_lshl_add_u64 v[20:21], v[6:7], 2, s[8:9]
	s_wait_xcnt 0x0
	v_add_nc_u32_e32 v10, 8, v10
	v_add_nc_u32_e32 v6, 64, v6
	s_delay_alu instid0(VALU_DEP_2) | instskip(SKIP_3) | instid1(VALU_DEP_1)
	v_cmp_ge_i32_e32 vcc_lo, v10, v8
	s_or_b32 s4, vcc_lo, s4
	s_wait_loadcnt 0x0
	v_subrev_nc_u32_e32 v11, s16, v11
	v_dual_mov_b32 v13, v7 :: v_dual_lshlrev_b32 v12, 1, v11
	s_delay_alu instid0(VALU_DEP_1)
	v_lshl_add_u64 v[22:23], v[12:13], 2, s[10:11]
	s_clause 0x1
	global_load_b128 v[12:15], v[20:21], off offset:16
	global_load_b128 v[16:19], v[20:21], off
	global_load_b64 v[24:25], v[22:23], off
	s_wait_loadcnt 0x0
	v_pk_fma_f32 v[4:5], v[16:17], v[24:25], v[4:5] op_sel_hi:[1,0,1]
	v_pk_fma_f32 v[0:1], v[18:19], v[24:25], v[0:1] op_sel_hi:[1,0,1]
	s_delay_alu instid0(VALU_DEP_2) | instskip(NEXT) | instid1(VALU_DEP_2)
	v_pk_fma_f32 v[4:5], v[12:13], v[24:25], v[4:5] op_sel:[0,1,0]
	v_pk_fma_f32 v[0:1], v[14:15], v[24:25], v[0:1] op_sel:[0,1,0]
	s_and_not1_b32 exec_lo, exec_lo, s4
	s_cbranch_execnz .LBB6_9
; %bb.10:
	s_or_b32 exec_lo, exec_lo, s4
.LBB6_11:
	s_delay_alu instid0(SALU_CYCLE_1)
	s_or_b32 exec_lo, exec_lo, s3
	s_cbranch_execz .LBB6_13
	s_branch .LBB6_18
.LBB6_12:
                                        ; implicit-def: $vgpr1
                                        ; implicit-def: $vgpr5
.LBB6_13:
	v_mov_b32_e32 v1, 0
	s_delay_alu instid0(VALU_DEP_1)
	v_dual_mov_b32 v0, v1 :: v_dual_mov_b32 v5, v1
	v_mov_b32_e32 v4, v1
	s_and_saveexec_b32 s3, s2
	s_cbranch_execz .LBB6_17
; %bb.14:
	v_dual_mov_b32 v7, 0 :: v_dual_lshlrev_b32 v6, 3, v9
	s_mov_b32 s2, 0
	s_delay_alu instid0(VALU_DEP_1)
	v_dual_mov_b32 v4, v7 :: v_dual_mov_b32 v5, v7
	v_dual_mov_b32 v0, v7 :: v_dual_mov_b32 v1, v7
.LBB6_15:                               ; =>This Inner Loop Header: Depth=1
	global_load_b32 v10, v9, s[6:7] scale_offset
	v_lshl_add_u64 v[18:19], v[6:7], 2, s[8:9]
	v_add_nc_u32_e32 v6, 64, v6
	s_wait_loadcnt 0x0
	v_subrev_nc_u32_e32 v10, s16, v10
	s_delay_alu instid0(VALU_DEP_1)
	v_dual_mov_b32 v21, v7 :: v_dual_lshlrev_b32 v20, 1, v10
	s_clause 0x1
	global_load_b128 v[10:13], v[18:19], off
	global_load_b128 v[14:17], v[18:19], off offset:16
	v_add_nc_u32_e32 v9, 8, v9
	s_wait_xcnt 0x0
	v_lshl_add_u64 v[18:19], v[20:21], 2, s[10:11]
	global_load_b64 v[18:19], v[18:19], off
	s_wait_loadcnt 0x2
	v_dual_mov_b32 v20, v10 :: v_dual_mov_b32 v21, v12
	s_wait_loadcnt 0x1
	v_dual_mov_b32 v22, v14 :: v_dual_mov_b32 v23, v16
	v_dual_mov_b32 v12, v11 :: v_dual_mov_b32 v16, v15
	v_cmp_ge_i32_e32 vcc_lo, v9, v8
	s_wait_loadcnt 0x0
	v_pk_fma_f32 v[4:5], v[20:21], v[18:19], v[4:5] op_sel_hi:[1,0,1]
	v_pk_fma_f32 v[0:1], v[22:23], v[18:19], v[0:1] op_sel_hi:[1,0,1]
	s_or_b32 s2, vcc_lo, s2
	s_delay_alu instid0(VALU_DEP_2) | instskip(NEXT) | instid1(VALU_DEP_2)
	v_pk_fma_f32 v[4:5], v[12:13], v[18:19], v[4:5] op_sel:[0,1,0]
	v_pk_fma_f32 v[0:1], v[16:17], v[18:19], v[0:1] op_sel:[0,1,0]
	s_and_not1_b32 exec_lo, exec_lo, s2
	s_cbranch_execnz .LBB6_15
; %bb.16:
	s_or_b32 exec_lo, exec_lo, s2
.LBB6_17:
	s_delay_alu instid0(SALU_CYCLE_1)
	s_or_b32 exec_lo, exec_lo, s3
.LBB6_18:
	v_mbcnt_lo_u32_b32 v10, -1, 0
	s_mov_b32 s2, -1
	s_delay_alu instid0(VALU_DEP_1) | instskip(SKIP_1) | instid1(VALU_DEP_1)
	v_xor_b32_e32 v11, 2, v10
	v_xor_b32_e32 v6, 4, v10
	v_cmp_gt_i32_e32 vcc_lo, 32, v6
	v_cndmask_b32_e32 v6, v10, v6, vcc_lo
	s_delay_alu instid0(VALU_DEP_4) | instskip(SKIP_1) | instid1(VALU_DEP_1)
	v_cmp_gt_i32_e32 vcc_lo, 32, v11
	v_cndmask_b32_e32 v11, v10, v11, vcc_lo
	v_dual_lshlrev_b32 v11, 2, v11 :: v_dual_lshlrev_b32 v9, 2, v6
	ds_bpermute_b32 v6, v9, v4
	ds_bpermute_b32 v7, v9, v5
	ds_bpermute_b32 v8, v9, v0
	ds_bpermute_b32 v9, v9, v1
	s_wait_dscnt 0x2
	v_pk_add_f32 v[4:5], v[4:5], v[6:7]
	s_wait_dscnt 0x0
	v_pk_add_f32 v[6:7], v[0:1], v[8:9]
	ds_bpermute_b32 v0, v11, v4
	ds_bpermute_b32 v1, v11, v5
	;; [unrolled: 1-line block ×4, first 2 shown]
	v_xor_b32_e32 v11, 1, v10
	s_delay_alu instid0(VALU_DEP_1) | instskip(SKIP_2) | instid1(VALU_DEP_2)
	v_cmp_gt_i32_e32 vcc_lo, 32, v11
	v_cndmask_b32_e32 v10, v10, v11, vcc_lo
	v_cmp_eq_u32_e32 vcc_lo, 7, v3
	v_lshlrev_b32_e32 v10, 2, v10
	s_wait_dscnt 0x2
	v_pk_add_f32 v[0:1], v[4:5], v[0:1]
	s_wait_dscnt 0x0
	v_pk_add_f32 v[6:7], v[6:7], v[8:9]
	ds_bpermute_b32 v4, v10, v0
	ds_bpermute_b32 v5, v10, v1
	;; [unrolled: 1-line block ×4, first 2 shown]
	s_and_b32 exec_lo, exec_lo, vcc_lo
	s_cbranch_execz .LBB6_23
; %bb.19:
	s_load_b64 s[0:1], s[0:1], 0x38
	s_wait_dscnt 0x2
	v_pk_add_f32 v[4:5], v[0:1], v[4:5]
	s_wait_dscnt 0x0
	v_pk_add_f32 v[0:1], v[6:7], v[8:9]
	v_lshlrev_b32_e32 v2, 2, v2
	s_cmp_eq_f32 s12, 0
	s_cbranch_scc0 .LBB6_21
; %bb.20:
	s_delay_alu instid0(VALU_DEP_1)
	v_ashrrev_i32_e32 v3, 31, v2
	v_pk_mul_f32 v[6:7], s[14:15], v[4:5] op_sel_hi:[0,1]
	v_pk_mul_f32 v[8:9], s[14:15], v[0:1] op_sel_hi:[0,1]
	s_mov_b32 s2, 0
	s_wait_kmcnt 0x0
	v_lshl_add_u64 v[10:11], v[2:3], 2, s[0:1]
	global_store_b128 v[10:11], v[6:9], off
.LBB6_21:
	s_and_not1_b32 vcc_lo, exec_lo, s2
	s_cbranch_vccnz .LBB6_23
; %bb.22:
	v_ashrrev_i32_e32 v3, 31, v2
	s_wait_kmcnt 0x0
	s_delay_alu instid0(VALU_DEP_1)
	v_lshl_add_u64 v[10:11], v[2:3], 2, s[0:1]
	v_pk_mul_f32 v[2:3], s[14:15], v[4:5] op_sel_hi:[0,1]
	v_pk_mul_f32 v[4:5], s[14:15], v[0:1] op_sel_hi:[0,1]
	global_load_b128 v[6:9], v[10:11], off
	s_wait_loadcnt 0x0
	v_pk_fma_f32 v[0:1], s[12:13], v[6:7], v[2:3] op_sel_hi:[0,1,1]
	v_pk_fma_f32 v[2:3], s[12:13], v[8:9], v[4:5] op_sel_hi:[0,1,1]
	global_store_b128 v[10:11], v[0:3], off
.LBB6_23:
	s_endpgm
	.section	.rodata,"a",@progbits
	.p2align	6, 0x0
	.amdhsa_kernel _ZN9rocsparseL19gebsrmvn_4xn_kernelILj128ELj2ELj8EfEEvi20rocsparse_direction_NS_24const_host_device_scalarIT2_EEPKiS6_PKS3_S8_S4_PS3_21rocsparse_index_base_b
		.amdhsa_group_segment_fixed_size 0
		.amdhsa_private_segment_fixed_size 0
		.amdhsa_kernarg_size 72
		.amdhsa_user_sgpr_count 2
		.amdhsa_user_sgpr_dispatch_ptr 0
		.amdhsa_user_sgpr_queue_ptr 0
		.amdhsa_user_sgpr_kernarg_segment_ptr 1
		.amdhsa_user_sgpr_dispatch_id 0
		.amdhsa_user_sgpr_kernarg_preload_length 0
		.amdhsa_user_sgpr_kernarg_preload_offset 0
		.amdhsa_user_sgpr_private_segment_size 0
		.amdhsa_wavefront_size32 1
		.amdhsa_uses_dynamic_stack 0
		.amdhsa_enable_private_segment 0
		.amdhsa_system_sgpr_workgroup_id_x 1
		.amdhsa_system_sgpr_workgroup_id_y 0
		.amdhsa_system_sgpr_workgroup_id_z 0
		.amdhsa_system_sgpr_workgroup_info 0
		.amdhsa_system_vgpr_workitem_id 0
		.amdhsa_next_free_vgpr 26
		.amdhsa_next_free_sgpr 18
		.amdhsa_named_barrier_count 0
		.amdhsa_reserve_vcc 1
		.amdhsa_float_round_mode_32 0
		.amdhsa_float_round_mode_16_64 0
		.amdhsa_float_denorm_mode_32 3
		.amdhsa_float_denorm_mode_16_64 3
		.amdhsa_fp16_overflow 0
		.amdhsa_memory_ordered 1
		.amdhsa_forward_progress 1
		.amdhsa_inst_pref_size 10
		.amdhsa_round_robin_scheduling 0
		.amdhsa_exception_fp_ieee_invalid_op 0
		.amdhsa_exception_fp_denorm_src 0
		.amdhsa_exception_fp_ieee_div_zero 0
		.amdhsa_exception_fp_ieee_overflow 0
		.amdhsa_exception_fp_ieee_underflow 0
		.amdhsa_exception_fp_ieee_inexact 0
		.amdhsa_exception_int_div_zero 0
	.end_amdhsa_kernel
	.section	.text._ZN9rocsparseL19gebsrmvn_4xn_kernelILj128ELj2ELj8EfEEvi20rocsparse_direction_NS_24const_host_device_scalarIT2_EEPKiS6_PKS3_S8_S4_PS3_21rocsparse_index_base_b,"axG",@progbits,_ZN9rocsparseL19gebsrmvn_4xn_kernelILj128ELj2ELj8EfEEvi20rocsparse_direction_NS_24const_host_device_scalarIT2_EEPKiS6_PKS3_S8_S4_PS3_21rocsparse_index_base_b,comdat
.Lfunc_end6:
	.size	_ZN9rocsparseL19gebsrmvn_4xn_kernelILj128ELj2ELj8EfEEvi20rocsparse_direction_NS_24const_host_device_scalarIT2_EEPKiS6_PKS3_S8_S4_PS3_21rocsparse_index_base_b, .Lfunc_end6-_ZN9rocsparseL19gebsrmvn_4xn_kernelILj128ELj2ELj8EfEEvi20rocsparse_direction_NS_24const_host_device_scalarIT2_EEPKiS6_PKS3_S8_S4_PS3_21rocsparse_index_base_b
                                        ; -- End function
	.set _ZN9rocsparseL19gebsrmvn_4xn_kernelILj128ELj2ELj8EfEEvi20rocsparse_direction_NS_24const_host_device_scalarIT2_EEPKiS6_PKS3_S8_S4_PS3_21rocsparse_index_base_b.num_vgpr, 26
	.set _ZN9rocsparseL19gebsrmvn_4xn_kernelILj128ELj2ELj8EfEEvi20rocsparse_direction_NS_24const_host_device_scalarIT2_EEPKiS6_PKS3_S8_S4_PS3_21rocsparse_index_base_b.num_agpr, 0
	.set _ZN9rocsparseL19gebsrmvn_4xn_kernelILj128ELj2ELj8EfEEvi20rocsparse_direction_NS_24const_host_device_scalarIT2_EEPKiS6_PKS3_S8_S4_PS3_21rocsparse_index_base_b.numbered_sgpr, 18
	.set _ZN9rocsparseL19gebsrmvn_4xn_kernelILj128ELj2ELj8EfEEvi20rocsparse_direction_NS_24const_host_device_scalarIT2_EEPKiS6_PKS3_S8_S4_PS3_21rocsparse_index_base_b.num_named_barrier, 0
	.set _ZN9rocsparseL19gebsrmvn_4xn_kernelILj128ELj2ELj8EfEEvi20rocsparse_direction_NS_24const_host_device_scalarIT2_EEPKiS6_PKS3_S8_S4_PS3_21rocsparse_index_base_b.private_seg_size, 0
	.set _ZN9rocsparseL19gebsrmvn_4xn_kernelILj128ELj2ELj8EfEEvi20rocsparse_direction_NS_24const_host_device_scalarIT2_EEPKiS6_PKS3_S8_S4_PS3_21rocsparse_index_base_b.uses_vcc, 1
	.set _ZN9rocsparseL19gebsrmvn_4xn_kernelILj128ELj2ELj8EfEEvi20rocsparse_direction_NS_24const_host_device_scalarIT2_EEPKiS6_PKS3_S8_S4_PS3_21rocsparse_index_base_b.uses_flat_scratch, 0
	.set _ZN9rocsparseL19gebsrmvn_4xn_kernelILj128ELj2ELj8EfEEvi20rocsparse_direction_NS_24const_host_device_scalarIT2_EEPKiS6_PKS3_S8_S4_PS3_21rocsparse_index_base_b.has_dyn_sized_stack, 0
	.set _ZN9rocsparseL19gebsrmvn_4xn_kernelILj128ELj2ELj8EfEEvi20rocsparse_direction_NS_24const_host_device_scalarIT2_EEPKiS6_PKS3_S8_S4_PS3_21rocsparse_index_base_b.has_recursion, 0
	.set _ZN9rocsparseL19gebsrmvn_4xn_kernelILj128ELj2ELj8EfEEvi20rocsparse_direction_NS_24const_host_device_scalarIT2_EEPKiS6_PKS3_S8_S4_PS3_21rocsparse_index_base_b.has_indirect_call, 0
	.section	.AMDGPU.csdata,"",@progbits
; Kernel info:
; codeLenInByte = 1204
; TotalNumSgprs: 20
; NumVgprs: 26
; ScratchSize: 0
; MemoryBound: 0
; FloatMode: 240
; IeeeMode: 1
; LDSByteSize: 0 bytes/workgroup (compile time only)
; SGPRBlocks: 0
; VGPRBlocks: 1
; NumSGPRsForWavesPerEU: 20
; NumVGPRsForWavesPerEU: 26
; NamedBarCnt: 0
; Occupancy: 16
; WaveLimiterHint : 1
; COMPUTE_PGM_RSRC2:SCRATCH_EN: 0
; COMPUTE_PGM_RSRC2:USER_SGPR: 2
; COMPUTE_PGM_RSRC2:TRAP_HANDLER: 0
; COMPUTE_PGM_RSRC2:TGID_X_EN: 1
; COMPUTE_PGM_RSRC2:TGID_Y_EN: 0
; COMPUTE_PGM_RSRC2:TGID_Z_EN: 0
; COMPUTE_PGM_RSRC2:TIDIG_COMP_CNT: 0
	.section	.text._ZN9rocsparseL19gebsrmvn_4xn_kernelILj128ELj2ELj16EfEEvi20rocsparse_direction_NS_24const_host_device_scalarIT2_EEPKiS6_PKS3_S8_S4_PS3_21rocsparse_index_base_b,"axG",@progbits,_ZN9rocsparseL19gebsrmvn_4xn_kernelILj128ELj2ELj16EfEEvi20rocsparse_direction_NS_24const_host_device_scalarIT2_EEPKiS6_PKS3_S8_S4_PS3_21rocsparse_index_base_b,comdat
	.globl	_ZN9rocsparseL19gebsrmvn_4xn_kernelILj128ELj2ELj16EfEEvi20rocsparse_direction_NS_24const_host_device_scalarIT2_EEPKiS6_PKS3_S8_S4_PS3_21rocsparse_index_base_b ; -- Begin function _ZN9rocsparseL19gebsrmvn_4xn_kernelILj128ELj2ELj16EfEEvi20rocsparse_direction_NS_24const_host_device_scalarIT2_EEPKiS6_PKS3_S8_S4_PS3_21rocsparse_index_base_b
	.p2align	8
	.type	_ZN9rocsparseL19gebsrmvn_4xn_kernelILj128ELj2ELj16EfEEvi20rocsparse_direction_NS_24const_host_device_scalarIT2_EEPKiS6_PKS3_S8_S4_PS3_21rocsparse_index_base_b,@function
_ZN9rocsparseL19gebsrmvn_4xn_kernelILj128ELj2ELj16EfEEvi20rocsparse_direction_NS_24const_host_device_scalarIT2_EEPKiS6_PKS3_S8_S4_PS3_21rocsparse_index_base_b: ; @_ZN9rocsparseL19gebsrmvn_4xn_kernelILj128ELj2ELj16EfEEvi20rocsparse_direction_NS_24const_host_device_scalarIT2_EEPKiS6_PKS3_S8_S4_PS3_21rocsparse_index_base_b
; %bb.0:
	s_clause 0x2
	s_load_b64 s[16:17], s[0:1], 0x40
	s_load_b64 s[14:15], s[0:1], 0x8
	;; [unrolled: 1-line block ×3, first 2 shown]
	s_wait_kmcnt 0x0
	s_bitcmp1_b32 s17, 0
	s_cselect_b32 s2, -1, 0
	s_delay_alu instid0(SALU_CYCLE_1)
	s_and_b32 vcc_lo, exec_lo, s2
	s_xor_b32 s2, s2, -1
	s_cbranch_vccnz .LBB7_2
; %bb.1:
	s_load_b32 s14, s[14:15], 0x0
.LBB7_2:
	s_and_not1_b32 vcc_lo, exec_lo, s2
	s_cbranch_vccnz .LBB7_4
; %bb.3:
	s_load_b32 s12, s[12:13], 0x0
.LBB7_4:
	s_wait_kmcnt 0x0
	s_cmp_eq_f32 s14, 0
	s_cselect_b32 s2, -1, 0
	s_cmp_eq_f32 s12, 1.0
	s_cselect_b32 s3, -1, 0
	s_delay_alu instid0(SALU_CYCLE_1) | instskip(NEXT) | instid1(SALU_CYCLE_1)
	s_and_b32 s2, s2, s3
	s_and_b32 vcc_lo, exec_lo, s2
	s_cbranch_vccnz .LBB7_23
; %bb.5:
	s_load_b64 s[2:3], s[0:1], 0x0
	s_bfe_u32 s4, ttmp6, 0x4000c
	s_and_b32 s5, ttmp6, 15
	s_add_co_i32 s4, s4, 1
	s_getreg_b32 s6, hwreg(HW_REG_IB_STS2, 6, 4)
	s_mul_i32 s4, ttmp9, s4
	v_lshrrev_b32_e32 v1, 4, v0
	s_add_co_i32 s5, s5, s4
	s_cmp_eq_u32 s6, 0
	s_cselect_b32 s4, ttmp9, s5
	s_delay_alu instid0(VALU_DEP_1) | instid1(SALU_CYCLE_1)
	v_lshl_or_b32 v2, s4, 3, v1
	s_wait_kmcnt 0x0
	s_delay_alu instid0(VALU_DEP_1)
	v_cmp_gt_i32_e32 vcc_lo, s2, v2
	s_and_saveexec_b32 s2, vcc_lo
	s_cbranch_execz .LBB7_23
; %bb.6:
	s_load_b256 s[4:11], s[0:1], 0x10
	v_ashrrev_i32_e32 v3, 31, v2
	s_cmp_lg_u32 s3, 0
	s_wait_kmcnt 0x0
	s_delay_alu instid0(VALU_DEP_1)
	v_lshl_add_u64 v[4:5], v[2:3], 2, s[4:5]
	v_and_b32_e32 v3, 15, v0
	global_load_b64 v[4:5], v[4:5], off
	s_wait_loadcnt 0x0
	v_subrev_nc_u32_e32 v0, s16, v4
	v_subrev_nc_u32_e32 v8, s16, v5
	s_delay_alu instid0(VALU_DEP_2) | instskip(NEXT) | instid1(VALU_DEP_1)
	v_add_nc_u32_e32 v9, v0, v3
	v_cmp_lt_i32_e64 s2, v9, v8
	s_cbranch_scc0 .LBB7_12
; %bb.7:
	v_mov_b32_e32 v1, 0
	s_delay_alu instid0(VALU_DEP_1)
	v_dual_mov_b32 v0, v1 :: v_dual_mov_b32 v5, v1
	v_mov_b32_e32 v4, v1
	s_and_saveexec_b32 s3, s2
	s_cbranch_execz .LBB7_11
; %bb.8:
	v_dual_mov_b32 v7, 0 :: v_dual_lshlrev_b32 v6, 3, v9
	v_mov_b32_e32 v10, v9
	s_mov_b32 s4, 0
	s_delay_alu instid0(VALU_DEP_2)
	v_dual_mov_b32 v4, v7 :: v_dual_mov_b32 v5, v7
	v_dual_mov_b32 v0, v7 :: v_dual_mov_b32 v1, v7
.LBB7_9:                                ; =>This Inner Loop Header: Depth=1
	global_load_b32 v11, v10, s[6:7] scale_offset
	v_lshl_add_u64 v[20:21], v[6:7], 2, s[8:9]
	s_wait_xcnt 0x0
	v_add_nc_u32_e32 v10, 16, v10
	v_add_nc_u32_e32 v6, 0x80, v6
	s_delay_alu instid0(VALU_DEP_2) | instskip(SKIP_3) | instid1(VALU_DEP_1)
	v_cmp_ge_i32_e32 vcc_lo, v10, v8
	s_or_b32 s4, vcc_lo, s4
	s_wait_loadcnt 0x0
	v_subrev_nc_u32_e32 v11, s16, v11
	v_dual_mov_b32 v13, v7 :: v_dual_lshlrev_b32 v12, 1, v11
	s_delay_alu instid0(VALU_DEP_1)
	v_lshl_add_u64 v[22:23], v[12:13], 2, s[10:11]
	s_clause 0x1
	global_load_b128 v[12:15], v[20:21], off offset:16
	global_load_b128 v[16:19], v[20:21], off
	global_load_b64 v[24:25], v[22:23], off
	s_wait_loadcnt 0x0
	v_pk_fma_f32 v[4:5], v[16:17], v[24:25], v[4:5] op_sel_hi:[1,0,1]
	v_pk_fma_f32 v[0:1], v[18:19], v[24:25], v[0:1] op_sel_hi:[1,0,1]
	s_delay_alu instid0(VALU_DEP_2) | instskip(NEXT) | instid1(VALU_DEP_2)
	v_pk_fma_f32 v[4:5], v[12:13], v[24:25], v[4:5] op_sel:[0,1,0]
	v_pk_fma_f32 v[0:1], v[14:15], v[24:25], v[0:1] op_sel:[0,1,0]
	s_and_not1_b32 exec_lo, exec_lo, s4
	s_cbranch_execnz .LBB7_9
; %bb.10:
	s_or_b32 exec_lo, exec_lo, s4
.LBB7_11:
	s_delay_alu instid0(SALU_CYCLE_1)
	s_or_b32 exec_lo, exec_lo, s3
	s_cbranch_execz .LBB7_13
	s_branch .LBB7_18
.LBB7_12:
                                        ; implicit-def: $vgpr1
                                        ; implicit-def: $vgpr5
.LBB7_13:
	v_mov_b32_e32 v1, 0
	s_delay_alu instid0(VALU_DEP_1)
	v_dual_mov_b32 v0, v1 :: v_dual_mov_b32 v5, v1
	v_mov_b32_e32 v4, v1
	s_and_saveexec_b32 s3, s2
	s_cbranch_execz .LBB7_17
; %bb.14:
	v_dual_mov_b32 v7, 0 :: v_dual_lshlrev_b32 v6, 3, v9
	s_mov_b32 s2, 0
	s_delay_alu instid0(VALU_DEP_1)
	v_dual_mov_b32 v4, v7 :: v_dual_mov_b32 v5, v7
	v_dual_mov_b32 v0, v7 :: v_dual_mov_b32 v1, v7
.LBB7_15:                               ; =>This Inner Loop Header: Depth=1
	global_load_b32 v10, v9, s[6:7] scale_offset
	v_lshl_add_u64 v[18:19], v[6:7], 2, s[8:9]
	v_add_nc_u32_e32 v6, 0x80, v6
	s_wait_loadcnt 0x0
	v_subrev_nc_u32_e32 v10, s16, v10
	s_delay_alu instid0(VALU_DEP_1)
	v_dual_mov_b32 v21, v7 :: v_dual_lshlrev_b32 v20, 1, v10
	s_clause 0x1
	global_load_b128 v[10:13], v[18:19], off
	global_load_b128 v[14:17], v[18:19], off offset:16
	v_add_nc_u32_e32 v9, 16, v9
	s_wait_xcnt 0x0
	v_lshl_add_u64 v[18:19], v[20:21], 2, s[10:11]
	global_load_b64 v[18:19], v[18:19], off
	s_wait_loadcnt 0x2
	v_dual_mov_b32 v20, v10 :: v_dual_mov_b32 v21, v12
	s_wait_loadcnt 0x1
	v_dual_mov_b32 v22, v14 :: v_dual_mov_b32 v23, v16
	v_dual_mov_b32 v12, v11 :: v_dual_mov_b32 v16, v15
	v_cmp_ge_i32_e32 vcc_lo, v9, v8
	s_wait_loadcnt 0x0
	v_pk_fma_f32 v[4:5], v[20:21], v[18:19], v[4:5] op_sel_hi:[1,0,1]
	v_pk_fma_f32 v[0:1], v[22:23], v[18:19], v[0:1] op_sel_hi:[1,0,1]
	s_or_b32 s2, vcc_lo, s2
	s_delay_alu instid0(VALU_DEP_2) | instskip(NEXT) | instid1(VALU_DEP_2)
	v_pk_fma_f32 v[4:5], v[12:13], v[18:19], v[4:5] op_sel:[0,1,0]
	v_pk_fma_f32 v[0:1], v[16:17], v[18:19], v[0:1] op_sel:[0,1,0]
	s_and_not1_b32 exec_lo, exec_lo, s2
	s_cbranch_execnz .LBB7_15
; %bb.16:
	s_or_b32 exec_lo, exec_lo, s2
.LBB7_17:
	s_delay_alu instid0(SALU_CYCLE_1)
	s_or_b32 exec_lo, exec_lo, s3
.LBB7_18:
	v_mbcnt_lo_u32_b32 v10, -1, 0
	s_mov_b32 s2, -1
	s_delay_alu instid0(VALU_DEP_1) | instskip(SKIP_1) | instid1(VALU_DEP_1)
	v_xor_b32_e32 v11, 4, v10
	v_xor_b32_e32 v6, 8, v10
	v_cmp_gt_i32_e32 vcc_lo, 32, v6
	v_cndmask_b32_e32 v6, v10, v6, vcc_lo
	s_delay_alu instid0(VALU_DEP_4) | instskip(SKIP_1) | instid1(VALU_DEP_1)
	v_cmp_gt_i32_e32 vcc_lo, 32, v11
	v_cndmask_b32_e32 v11, v10, v11, vcc_lo
	v_dual_lshlrev_b32 v11, 2, v11 :: v_dual_lshlrev_b32 v9, 2, v6
	ds_bpermute_b32 v6, v9, v4
	ds_bpermute_b32 v7, v9, v5
	;; [unrolled: 1-line block ×4, first 2 shown]
	s_wait_dscnt 0x2
	v_pk_add_f32 v[4:5], v[4:5], v[6:7]
	s_wait_dscnt 0x0
	v_pk_add_f32 v[0:1], v[0:1], v[8:9]
	ds_bpermute_b32 v6, v11, v4
	ds_bpermute_b32 v7, v11, v5
	;; [unrolled: 1-line block ×4, first 2 shown]
	v_xor_b32_e32 v11, 2, v10
	s_delay_alu instid0(VALU_DEP_1) | instskip(SKIP_1) | instid1(VALU_DEP_1)
	v_cmp_gt_i32_e32 vcc_lo, 32, v11
	v_cndmask_b32_e32 v11, v10, v11, vcc_lo
	v_lshlrev_b32_e32 v11, 2, v11
	s_wait_dscnt 0x2
	v_pk_add_f32 v[4:5], v[4:5], v[6:7]
	s_wait_dscnt 0x0
	v_pk_add_f32 v[6:7], v[0:1], v[8:9]
	ds_bpermute_b32 v0, v11, v4
	ds_bpermute_b32 v1, v11, v5
	;; [unrolled: 1-line block ×4, first 2 shown]
	v_xor_b32_e32 v11, 1, v10
	s_delay_alu instid0(VALU_DEP_1) | instskip(SKIP_2) | instid1(VALU_DEP_2)
	v_cmp_gt_i32_e32 vcc_lo, 32, v11
	v_cndmask_b32_e32 v10, v10, v11, vcc_lo
	v_cmp_eq_u32_e32 vcc_lo, 15, v3
	v_lshlrev_b32_e32 v10, 2, v10
	s_wait_dscnt 0x2
	v_pk_add_f32 v[0:1], v[4:5], v[0:1]
	s_wait_dscnt 0x0
	v_pk_add_f32 v[6:7], v[6:7], v[8:9]
	ds_bpermute_b32 v4, v10, v0
	ds_bpermute_b32 v5, v10, v1
	;; [unrolled: 1-line block ×4, first 2 shown]
	s_and_b32 exec_lo, exec_lo, vcc_lo
	s_cbranch_execz .LBB7_23
; %bb.19:
	s_load_b64 s[0:1], s[0:1], 0x38
	s_wait_dscnt 0x2
	v_pk_add_f32 v[4:5], v[0:1], v[4:5]
	s_wait_dscnt 0x0
	v_pk_add_f32 v[0:1], v[6:7], v[8:9]
	v_lshlrev_b32_e32 v2, 2, v2
	s_cmp_eq_f32 s12, 0
	s_cbranch_scc0 .LBB7_21
; %bb.20:
	s_delay_alu instid0(VALU_DEP_1)
	v_ashrrev_i32_e32 v3, 31, v2
	v_pk_mul_f32 v[6:7], s[14:15], v[4:5] op_sel_hi:[0,1]
	v_pk_mul_f32 v[8:9], s[14:15], v[0:1] op_sel_hi:[0,1]
	s_mov_b32 s2, 0
	s_wait_kmcnt 0x0
	v_lshl_add_u64 v[10:11], v[2:3], 2, s[0:1]
	global_store_b128 v[10:11], v[6:9], off
.LBB7_21:
	s_and_not1_b32 vcc_lo, exec_lo, s2
	s_cbranch_vccnz .LBB7_23
; %bb.22:
	v_ashrrev_i32_e32 v3, 31, v2
	s_wait_kmcnt 0x0
	s_delay_alu instid0(VALU_DEP_1)
	v_lshl_add_u64 v[10:11], v[2:3], 2, s[0:1]
	v_pk_mul_f32 v[2:3], s[14:15], v[4:5] op_sel_hi:[0,1]
	v_pk_mul_f32 v[4:5], s[14:15], v[0:1] op_sel_hi:[0,1]
	global_load_b128 v[6:9], v[10:11], off
	s_wait_loadcnt 0x0
	v_pk_fma_f32 v[0:1], s[12:13], v[6:7], v[2:3] op_sel_hi:[0,1,1]
	v_pk_fma_f32 v[2:3], s[12:13], v[8:9], v[4:5] op_sel_hi:[0,1,1]
	global_store_b128 v[10:11], v[0:3], off
.LBB7_23:
	s_endpgm
	.section	.rodata,"a",@progbits
	.p2align	6, 0x0
	.amdhsa_kernel _ZN9rocsparseL19gebsrmvn_4xn_kernelILj128ELj2ELj16EfEEvi20rocsparse_direction_NS_24const_host_device_scalarIT2_EEPKiS6_PKS3_S8_S4_PS3_21rocsparse_index_base_b
		.amdhsa_group_segment_fixed_size 0
		.amdhsa_private_segment_fixed_size 0
		.amdhsa_kernarg_size 72
		.amdhsa_user_sgpr_count 2
		.amdhsa_user_sgpr_dispatch_ptr 0
		.amdhsa_user_sgpr_queue_ptr 0
		.amdhsa_user_sgpr_kernarg_segment_ptr 1
		.amdhsa_user_sgpr_dispatch_id 0
		.amdhsa_user_sgpr_kernarg_preload_length 0
		.amdhsa_user_sgpr_kernarg_preload_offset 0
		.amdhsa_user_sgpr_private_segment_size 0
		.amdhsa_wavefront_size32 1
		.amdhsa_uses_dynamic_stack 0
		.amdhsa_enable_private_segment 0
		.amdhsa_system_sgpr_workgroup_id_x 1
		.amdhsa_system_sgpr_workgroup_id_y 0
		.amdhsa_system_sgpr_workgroup_id_z 0
		.amdhsa_system_sgpr_workgroup_info 0
		.amdhsa_system_vgpr_workitem_id 0
		.amdhsa_next_free_vgpr 26
		.amdhsa_next_free_sgpr 18
		.amdhsa_named_barrier_count 0
		.amdhsa_reserve_vcc 1
		.amdhsa_float_round_mode_32 0
		.amdhsa_float_round_mode_16_64 0
		.amdhsa_float_denorm_mode_32 3
		.amdhsa_float_denorm_mode_16_64 3
		.amdhsa_fp16_overflow 0
		.amdhsa_memory_ordered 1
		.amdhsa_forward_progress 1
		.amdhsa_inst_pref_size 11
		.amdhsa_round_robin_scheduling 0
		.amdhsa_exception_fp_ieee_invalid_op 0
		.amdhsa_exception_fp_denorm_src 0
		.amdhsa_exception_fp_ieee_div_zero 0
		.amdhsa_exception_fp_ieee_overflow 0
		.amdhsa_exception_fp_ieee_underflow 0
		.amdhsa_exception_fp_ieee_inexact 0
		.amdhsa_exception_int_div_zero 0
	.end_amdhsa_kernel
	.section	.text._ZN9rocsparseL19gebsrmvn_4xn_kernelILj128ELj2ELj16EfEEvi20rocsparse_direction_NS_24const_host_device_scalarIT2_EEPKiS6_PKS3_S8_S4_PS3_21rocsparse_index_base_b,"axG",@progbits,_ZN9rocsparseL19gebsrmvn_4xn_kernelILj128ELj2ELj16EfEEvi20rocsparse_direction_NS_24const_host_device_scalarIT2_EEPKiS6_PKS3_S8_S4_PS3_21rocsparse_index_base_b,comdat
.Lfunc_end7:
	.size	_ZN9rocsparseL19gebsrmvn_4xn_kernelILj128ELj2ELj16EfEEvi20rocsparse_direction_NS_24const_host_device_scalarIT2_EEPKiS6_PKS3_S8_S4_PS3_21rocsparse_index_base_b, .Lfunc_end7-_ZN9rocsparseL19gebsrmvn_4xn_kernelILj128ELj2ELj16EfEEvi20rocsparse_direction_NS_24const_host_device_scalarIT2_EEPKiS6_PKS3_S8_S4_PS3_21rocsparse_index_base_b
                                        ; -- End function
	.set _ZN9rocsparseL19gebsrmvn_4xn_kernelILj128ELj2ELj16EfEEvi20rocsparse_direction_NS_24const_host_device_scalarIT2_EEPKiS6_PKS3_S8_S4_PS3_21rocsparse_index_base_b.num_vgpr, 26
	.set _ZN9rocsparseL19gebsrmvn_4xn_kernelILj128ELj2ELj16EfEEvi20rocsparse_direction_NS_24const_host_device_scalarIT2_EEPKiS6_PKS3_S8_S4_PS3_21rocsparse_index_base_b.num_agpr, 0
	.set _ZN9rocsparseL19gebsrmvn_4xn_kernelILj128ELj2ELj16EfEEvi20rocsparse_direction_NS_24const_host_device_scalarIT2_EEPKiS6_PKS3_S8_S4_PS3_21rocsparse_index_base_b.numbered_sgpr, 18
	.set _ZN9rocsparseL19gebsrmvn_4xn_kernelILj128ELj2ELj16EfEEvi20rocsparse_direction_NS_24const_host_device_scalarIT2_EEPKiS6_PKS3_S8_S4_PS3_21rocsparse_index_base_b.num_named_barrier, 0
	.set _ZN9rocsparseL19gebsrmvn_4xn_kernelILj128ELj2ELj16EfEEvi20rocsparse_direction_NS_24const_host_device_scalarIT2_EEPKiS6_PKS3_S8_S4_PS3_21rocsparse_index_base_b.private_seg_size, 0
	.set _ZN9rocsparseL19gebsrmvn_4xn_kernelILj128ELj2ELj16EfEEvi20rocsparse_direction_NS_24const_host_device_scalarIT2_EEPKiS6_PKS3_S8_S4_PS3_21rocsparse_index_base_b.uses_vcc, 1
	.set _ZN9rocsparseL19gebsrmvn_4xn_kernelILj128ELj2ELj16EfEEvi20rocsparse_direction_NS_24const_host_device_scalarIT2_EEPKiS6_PKS3_S8_S4_PS3_21rocsparse_index_base_b.uses_flat_scratch, 0
	.set _ZN9rocsparseL19gebsrmvn_4xn_kernelILj128ELj2ELj16EfEEvi20rocsparse_direction_NS_24const_host_device_scalarIT2_EEPKiS6_PKS3_S8_S4_PS3_21rocsparse_index_base_b.has_dyn_sized_stack, 0
	.set _ZN9rocsparseL19gebsrmvn_4xn_kernelILj128ELj2ELj16EfEEvi20rocsparse_direction_NS_24const_host_device_scalarIT2_EEPKiS6_PKS3_S8_S4_PS3_21rocsparse_index_base_b.has_recursion, 0
	.set _ZN9rocsparseL19gebsrmvn_4xn_kernelILj128ELj2ELj16EfEEvi20rocsparse_direction_NS_24const_host_device_scalarIT2_EEPKiS6_PKS3_S8_S4_PS3_21rocsparse_index_base_b.has_indirect_call, 0
	.section	.AMDGPU.csdata,"",@progbits
; Kernel info:
; codeLenInByte = 1288
; TotalNumSgprs: 20
; NumVgprs: 26
; ScratchSize: 0
; MemoryBound: 0
; FloatMode: 240
; IeeeMode: 1
; LDSByteSize: 0 bytes/workgroup (compile time only)
; SGPRBlocks: 0
; VGPRBlocks: 1
; NumSGPRsForWavesPerEU: 20
; NumVGPRsForWavesPerEU: 26
; NamedBarCnt: 0
; Occupancy: 16
; WaveLimiterHint : 1
; COMPUTE_PGM_RSRC2:SCRATCH_EN: 0
; COMPUTE_PGM_RSRC2:USER_SGPR: 2
; COMPUTE_PGM_RSRC2:TRAP_HANDLER: 0
; COMPUTE_PGM_RSRC2:TGID_X_EN: 1
; COMPUTE_PGM_RSRC2:TGID_Y_EN: 0
; COMPUTE_PGM_RSRC2:TGID_Z_EN: 0
; COMPUTE_PGM_RSRC2:TIDIG_COMP_CNT: 0
	.section	.text._ZN9rocsparseL19gebsrmvn_4xn_kernelILj128ELj2ELj32EfEEvi20rocsparse_direction_NS_24const_host_device_scalarIT2_EEPKiS6_PKS3_S8_S4_PS3_21rocsparse_index_base_b,"axG",@progbits,_ZN9rocsparseL19gebsrmvn_4xn_kernelILj128ELj2ELj32EfEEvi20rocsparse_direction_NS_24const_host_device_scalarIT2_EEPKiS6_PKS3_S8_S4_PS3_21rocsparse_index_base_b,comdat
	.globl	_ZN9rocsparseL19gebsrmvn_4xn_kernelILj128ELj2ELj32EfEEvi20rocsparse_direction_NS_24const_host_device_scalarIT2_EEPKiS6_PKS3_S8_S4_PS3_21rocsparse_index_base_b ; -- Begin function _ZN9rocsparseL19gebsrmvn_4xn_kernelILj128ELj2ELj32EfEEvi20rocsparse_direction_NS_24const_host_device_scalarIT2_EEPKiS6_PKS3_S8_S4_PS3_21rocsparse_index_base_b
	.p2align	8
	.type	_ZN9rocsparseL19gebsrmvn_4xn_kernelILj128ELj2ELj32EfEEvi20rocsparse_direction_NS_24const_host_device_scalarIT2_EEPKiS6_PKS3_S8_S4_PS3_21rocsparse_index_base_b,@function
_ZN9rocsparseL19gebsrmvn_4xn_kernelILj128ELj2ELj32EfEEvi20rocsparse_direction_NS_24const_host_device_scalarIT2_EEPKiS6_PKS3_S8_S4_PS3_21rocsparse_index_base_b: ; @_ZN9rocsparseL19gebsrmvn_4xn_kernelILj128ELj2ELj32EfEEvi20rocsparse_direction_NS_24const_host_device_scalarIT2_EEPKiS6_PKS3_S8_S4_PS3_21rocsparse_index_base_b
; %bb.0:
	s_clause 0x2
	s_load_b64 s[16:17], s[0:1], 0x40
	s_load_b64 s[14:15], s[0:1], 0x8
	;; [unrolled: 1-line block ×3, first 2 shown]
	s_wait_kmcnt 0x0
	s_bitcmp1_b32 s17, 0
	s_cselect_b32 s2, -1, 0
	s_delay_alu instid0(SALU_CYCLE_1)
	s_and_b32 vcc_lo, exec_lo, s2
	s_xor_b32 s2, s2, -1
	s_cbranch_vccnz .LBB8_2
; %bb.1:
	s_load_b32 s14, s[14:15], 0x0
.LBB8_2:
	s_and_not1_b32 vcc_lo, exec_lo, s2
	s_cbranch_vccnz .LBB8_4
; %bb.3:
	s_load_b32 s12, s[12:13], 0x0
.LBB8_4:
	s_wait_kmcnt 0x0
	s_cmp_eq_f32 s14, 0
	s_cselect_b32 s2, -1, 0
	s_cmp_eq_f32 s12, 1.0
	s_cselect_b32 s3, -1, 0
	s_delay_alu instid0(SALU_CYCLE_1) | instskip(NEXT) | instid1(SALU_CYCLE_1)
	s_and_b32 s2, s2, s3
	s_and_b32 vcc_lo, exec_lo, s2
	s_cbranch_vccnz .LBB8_23
; %bb.5:
	s_load_b64 s[2:3], s[0:1], 0x0
	s_bfe_u32 s4, ttmp6, 0x4000c
	s_and_b32 s5, ttmp6, 15
	s_add_co_i32 s4, s4, 1
	s_getreg_b32 s6, hwreg(HW_REG_IB_STS2, 6, 4)
	s_mul_i32 s4, ttmp9, s4
	v_lshrrev_b32_e32 v1, 5, v0
	s_add_co_i32 s5, s5, s4
	s_cmp_eq_u32 s6, 0
	s_cselect_b32 s4, ttmp9, s5
	s_delay_alu instid0(VALU_DEP_1) | instid1(SALU_CYCLE_1)
	v_lshl_or_b32 v2, s4, 2, v1
	s_wait_kmcnt 0x0
	s_delay_alu instid0(VALU_DEP_1)
	v_cmp_gt_i32_e32 vcc_lo, s2, v2
	s_and_saveexec_b32 s2, vcc_lo
	s_cbranch_execz .LBB8_23
; %bb.6:
	s_load_b256 s[4:11], s[0:1], 0x10
	v_ashrrev_i32_e32 v3, 31, v2
	s_cmp_lg_u32 s3, 0
	s_wait_kmcnt 0x0
	s_delay_alu instid0(VALU_DEP_1)
	v_lshl_add_u64 v[4:5], v[2:3], 2, s[4:5]
	v_and_b32_e32 v3, 31, v0
	global_load_b64 v[4:5], v[4:5], off
	s_wait_loadcnt 0x0
	v_subrev_nc_u32_e32 v0, s16, v4
	v_subrev_nc_u32_e32 v8, s16, v5
	s_delay_alu instid0(VALU_DEP_2) | instskip(NEXT) | instid1(VALU_DEP_1)
	v_add_nc_u32_e32 v9, v0, v3
	v_cmp_lt_i32_e64 s2, v9, v8
	s_cbranch_scc0 .LBB8_12
; %bb.7:
	v_mov_b32_e32 v1, 0
	s_delay_alu instid0(VALU_DEP_1)
	v_dual_mov_b32 v0, v1 :: v_dual_mov_b32 v5, v1
	v_mov_b32_e32 v4, v1
	s_and_saveexec_b32 s3, s2
	s_cbranch_execz .LBB8_11
; %bb.8:
	v_dual_mov_b32 v7, 0 :: v_dual_lshlrev_b32 v6, 3, v9
	v_mov_b32_e32 v10, v9
	s_mov_b32 s4, 0
	s_delay_alu instid0(VALU_DEP_2)
	v_dual_mov_b32 v4, v7 :: v_dual_mov_b32 v5, v7
	v_dual_mov_b32 v0, v7 :: v_dual_mov_b32 v1, v7
.LBB8_9:                                ; =>This Inner Loop Header: Depth=1
	global_load_b32 v11, v10, s[6:7] scale_offset
	v_lshl_add_u64 v[20:21], v[6:7], 2, s[8:9]
	s_wait_xcnt 0x0
	v_add_nc_u32_e32 v10, 32, v10
	v_add_nc_u32_e32 v6, 0x100, v6
	s_delay_alu instid0(VALU_DEP_2) | instskip(SKIP_3) | instid1(VALU_DEP_1)
	v_cmp_ge_i32_e32 vcc_lo, v10, v8
	s_or_b32 s4, vcc_lo, s4
	s_wait_loadcnt 0x0
	v_subrev_nc_u32_e32 v11, s16, v11
	v_dual_mov_b32 v13, v7 :: v_dual_lshlrev_b32 v12, 1, v11
	s_delay_alu instid0(VALU_DEP_1)
	v_lshl_add_u64 v[22:23], v[12:13], 2, s[10:11]
	s_clause 0x1
	global_load_b128 v[12:15], v[20:21], off offset:16
	global_load_b128 v[16:19], v[20:21], off
	global_load_b64 v[24:25], v[22:23], off
	s_wait_loadcnt 0x0
	v_pk_fma_f32 v[4:5], v[16:17], v[24:25], v[4:5] op_sel_hi:[1,0,1]
	v_pk_fma_f32 v[0:1], v[18:19], v[24:25], v[0:1] op_sel_hi:[1,0,1]
	s_delay_alu instid0(VALU_DEP_2) | instskip(NEXT) | instid1(VALU_DEP_2)
	v_pk_fma_f32 v[4:5], v[12:13], v[24:25], v[4:5] op_sel:[0,1,0]
	v_pk_fma_f32 v[0:1], v[14:15], v[24:25], v[0:1] op_sel:[0,1,0]
	s_and_not1_b32 exec_lo, exec_lo, s4
	s_cbranch_execnz .LBB8_9
; %bb.10:
	s_or_b32 exec_lo, exec_lo, s4
.LBB8_11:
	s_delay_alu instid0(SALU_CYCLE_1)
	s_or_b32 exec_lo, exec_lo, s3
	s_cbranch_execz .LBB8_13
	s_branch .LBB8_18
.LBB8_12:
                                        ; implicit-def: $vgpr1
                                        ; implicit-def: $vgpr5
.LBB8_13:
	v_mov_b32_e32 v1, 0
	s_delay_alu instid0(VALU_DEP_1)
	v_dual_mov_b32 v0, v1 :: v_dual_mov_b32 v5, v1
	v_mov_b32_e32 v4, v1
	s_and_saveexec_b32 s3, s2
	s_cbranch_execz .LBB8_17
; %bb.14:
	v_dual_mov_b32 v7, 0 :: v_dual_lshlrev_b32 v6, 3, v9
	s_mov_b32 s2, 0
	s_delay_alu instid0(VALU_DEP_1)
	v_dual_mov_b32 v4, v7 :: v_dual_mov_b32 v5, v7
	v_dual_mov_b32 v0, v7 :: v_dual_mov_b32 v1, v7
.LBB8_15:                               ; =>This Inner Loop Header: Depth=1
	global_load_b32 v10, v9, s[6:7] scale_offset
	v_lshl_add_u64 v[18:19], v[6:7], 2, s[8:9]
	v_add_nc_u32_e32 v6, 0x100, v6
	s_wait_loadcnt 0x0
	v_subrev_nc_u32_e32 v10, s16, v10
	s_delay_alu instid0(VALU_DEP_1)
	v_dual_mov_b32 v21, v7 :: v_dual_lshlrev_b32 v20, 1, v10
	s_clause 0x1
	global_load_b128 v[10:13], v[18:19], off
	global_load_b128 v[14:17], v[18:19], off offset:16
	v_add_nc_u32_e32 v9, 32, v9
	s_wait_xcnt 0x0
	v_lshl_add_u64 v[18:19], v[20:21], 2, s[10:11]
	global_load_b64 v[18:19], v[18:19], off
	s_wait_loadcnt 0x2
	v_dual_mov_b32 v20, v10 :: v_dual_mov_b32 v21, v12
	s_wait_loadcnt 0x1
	v_dual_mov_b32 v22, v14 :: v_dual_mov_b32 v23, v16
	v_dual_mov_b32 v12, v11 :: v_dual_mov_b32 v16, v15
	v_cmp_ge_i32_e32 vcc_lo, v9, v8
	s_wait_loadcnt 0x0
	v_pk_fma_f32 v[4:5], v[20:21], v[18:19], v[4:5] op_sel_hi:[1,0,1]
	v_pk_fma_f32 v[0:1], v[22:23], v[18:19], v[0:1] op_sel_hi:[1,0,1]
	s_or_b32 s2, vcc_lo, s2
	s_delay_alu instid0(VALU_DEP_2) | instskip(NEXT) | instid1(VALU_DEP_2)
	v_pk_fma_f32 v[4:5], v[12:13], v[18:19], v[4:5] op_sel:[0,1,0]
	v_pk_fma_f32 v[0:1], v[16:17], v[18:19], v[0:1] op_sel:[0,1,0]
	s_and_not1_b32 exec_lo, exec_lo, s2
	s_cbranch_execnz .LBB8_15
; %bb.16:
	s_or_b32 exec_lo, exec_lo, s2
.LBB8_17:
	s_delay_alu instid0(SALU_CYCLE_1)
	s_or_b32 exec_lo, exec_lo, s3
.LBB8_18:
	v_mbcnt_lo_u32_b32 v10, -1, 0
	s_mov_b32 s2, -1
	s_delay_alu instid0(VALU_DEP_1) | instskip(SKIP_1) | instid1(VALU_DEP_1)
	v_xor_b32_e32 v11, 8, v10
	v_xor_b32_e32 v6, 16, v10
	v_cmp_gt_i32_e32 vcc_lo, 32, v6
	v_cndmask_b32_e32 v6, v10, v6, vcc_lo
	s_delay_alu instid0(VALU_DEP_4) | instskip(SKIP_1) | instid1(VALU_DEP_1)
	v_cmp_gt_i32_e32 vcc_lo, 32, v11
	v_cndmask_b32_e32 v11, v10, v11, vcc_lo
	v_dual_lshlrev_b32 v11, 2, v11 :: v_dual_lshlrev_b32 v9, 2, v6
	ds_bpermute_b32 v6, v9, v4
	ds_bpermute_b32 v7, v9, v5
	;; [unrolled: 1-line block ×4, first 2 shown]
	s_wait_dscnt 0x2
	v_pk_add_f32 v[4:5], v[4:5], v[6:7]
	s_wait_dscnt 0x0
	v_pk_add_f32 v[0:1], v[0:1], v[8:9]
	ds_bpermute_b32 v6, v11, v4
	ds_bpermute_b32 v7, v11, v5
	;; [unrolled: 1-line block ×4, first 2 shown]
	v_xor_b32_e32 v11, 4, v10
	s_delay_alu instid0(VALU_DEP_1) | instskip(SKIP_1) | instid1(VALU_DEP_1)
	v_cmp_gt_i32_e32 vcc_lo, 32, v11
	v_cndmask_b32_e32 v11, v10, v11, vcc_lo
	v_lshlrev_b32_e32 v11, 2, v11
	s_wait_dscnt 0x2
	v_pk_add_f32 v[4:5], v[4:5], v[6:7]
	s_wait_dscnt 0x0
	v_pk_add_f32 v[0:1], v[0:1], v[8:9]
	ds_bpermute_b32 v6, v11, v4
	ds_bpermute_b32 v7, v11, v5
	;; [unrolled: 1-line block ×4, first 2 shown]
	v_xor_b32_e32 v11, 2, v10
	s_delay_alu instid0(VALU_DEP_1) | instskip(SKIP_1) | instid1(VALU_DEP_1)
	v_cmp_gt_i32_e32 vcc_lo, 32, v11
	v_cndmask_b32_e32 v11, v10, v11, vcc_lo
	v_lshlrev_b32_e32 v11, 2, v11
	s_wait_dscnt 0x2
	v_pk_add_f32 v[4:5], v[4:5], v[6:7]
	s_wait_dscnt 0x0
	v_pk_add_f32 v[6:7], v[0:1], v[8:9]
	ds_bpermute_b32 v0, v11, v4
	ds_bpermute_b32 v1, v11, v5
	;; [unrolled: 1-line block ×4, first 2 shown]
	v_xor_b32_e32 v11, 1, v10
	s_delay_alu instid0(VALU_DEP_1) | instskip(SKIP_2) | instid1(VALU_DEP_2)
	v_cmp_gt_i32_e32 vcc_lo, 32, v11
	v_cndmask_b32_e32 v10, v10, v11, vcc_lo
	v_cmp_eq_u32_e32 vcc_lo, 31, v3
	v_lshlrev_b32_e32 v10, 2, v10
	s_wait_dscnt 0x2
	v_pk_add_f32 v[0:1], v[4:5], v[0:1]
	s_wait_dscnt 0x0
	v_pk_add_f32 v[6:7], v[6:7], v[8:9]
	ds_bpermute_b32 v4, v10, v0
	ds_bpermute_b32 v5, v10, v1
	;; [unrolled: 1-line block ×4, first 2 shown]
	s_and_b32 exec_lo, exec_lo, vcc_lo
	s_cbranch_execz .LBB8_23
; %bb.19:
	s_load_b64 s[0:1], s[0:1], 0x38
	s_wait_dscnt 0x2
	v_pk_add_f32 v[4:5], v[0:1], v[4:5]
	s_wait_dscnt 0x0
	v_pk_add_f32 v[0:1], v[6:7], v[8:9]
	v_lshlrev_b32_e32 v2, 2, v2
	s_cmp_eq_f32 s12, 0
	s_cbranch_scc0 .LBB8_21
; %bb.20:
	s_delay_alu instid0(VALU_DEP_1)
	v_ashrrev_i32_e32 v3, 31, v2
	v_pk_mul_f32 v[6:7], s[14:15], v[4:5] op_sel_hi:[0,1]
	v_pk_mul_f32 v[8:9], s[14:15], v[0:1] op_sel_hi:[0,1]
	s_mov_b32 s2, 0
	s_wait_kmcnt 0x0
	v_lshl_add_u64 v[10:11], v[2:3], 2, s[0:1]
	global_store_b128 v[10:11], v[6:9], off
.LBB8_21:
	s_and_not1_b32 vcc_lo, exec_lo, s2
	s_cbranch_vccnz .LBB8_23
; %bb.22:
	v_ashrrev_i32_e32 v3, 31, v2
	s_wait_kmcnt 0x0
	s_delay_alu instid0(VALU_DEP_1)
	v_lshl_add_u64 v[10:11], v[2:3], 2, s[0:1]
	v_pk_mul_f32 v[2:3], s[14:15], v[4:5] op_sel_hi:[0,1]
	v_pk_mul_f32 v[4:5], s[14:15], v[0:1] op_sel_hi:[0,1]
	global_load_b128 v[6:9], v[10:11], off
	s_wait_loadcnt 0x0
	v_pk_fma_f32 v[0:1], s[12:13], v[6:7], v[2:3] op_sel_hi:[0,1,1]
	v_pk_fma_f32 v[2:3], s[12:13], v[8:9], v[4:5] op_sel_hi:[0,1,1]
	global_store_b128 v[10:11], v[0:3], off
.LBB8_23:
	s_endpgm
	.section	.rodata,"a",@progbits
	.p2align	6, 0x0
	.amdhsa_kernel _ZN9rocsparseL19gebsrmvn_4xn_kernelILj128ELj2ELj32EfEEvi20rocsparse_direction_NS_24const_host_device_scalarIT2_EEPKiS6_PKS3_S8_S4_PS3_21rocsparse_index_base_b
		.amdhsa_group_segment_fixed_size 0
		.amdhsa_private_segment_fixed_size 0
		.amdhsa_kernarg_size 72
		.amdhsa_user_sgpr_count 2
		.amdhsa_user_sgpr_dispatch_ptr 0
		.amdhsa_user_sgpr_queue_ptr 0
		.amdhsa_user_sgpr_kernarg_segment_ptr 1
		.amdhsa_user_sgpr_dispatch_id 0
		.amdhsa_user_sgpr_kernarg_preload_length 0
		.amdhsa_user_sgpr_kernarg_preload_offset 0
		.amdhsa_user_sgpr_private_segment_size 0
		.amdhsa_wavefront_size32 1
		.amdhsa_uses_dynamic_stack 0
		.amdhsa_enable_private_segment 0
		.amdhsa_system_sgpr_workgroup_id_x 1
		.amdhsa_system_sgpr_workgroup_id_y 0
		.amdhsa_system_sgpr_workgroup_id_z 0
		.amdhsa_system_sgpr_workgroup_info 0
		.amdhsa_system_vgpr_workitem_id 0
		.amdhsa_next_free_vgpr 26
		.amdhsa_next_free_sgpr 18
		.amdhsa_named_barrier_count 0
		.amdhsa_reserve_vcc 1
		.amdhsa_float_round_mode_32 0
		.amdhsa_float_round_mode_16_64 0
		.amdhsa_float_denorm_mode_32 3
		.amdhsa_float_denorm_mode_16_64 3
		.amdhsa_fp16_overflow 0
		.amdhsa_memory_ordered 1
		.amdhsa_forward_progress 1
		.amdhsa_inst_pref_size 11
		.amdhsa_round_robin_scheduling 0
		.amdhsa_exception_fp_ieee_invalid_op 0
		.amdhsa_exception_fp_denorm_src 0
		.amdhsa_exception_fp_ieee_div_zero 0
		.amdhsa_exception_fp_ieee_overflow 0
		.amdhsa_exception_fp_ieee_underflow 0
		.amdhsa_exception_fp_ieee_inexact 0
		.amdhsa_exception_int_div_zero 0
	.end_amdhsa_kernel
	.section	.text._ZN9rocsparseL19gebsrmvn_4xn_kernelILj128ELj2ELj32EfEEvi20rocsparse_direction_NS_24const_host_device_scalarIT2_EEPKiS6_PKS3_S8_S4_PS3_21rocsparse_index_base_b,"axG",@progbits,_ZN9rocsparseL19gebsrmvn_4xn_kernelILj128ELj2ELj32EfEEvi20rocsparse_direction_NS_24const_host_device_scalarIT2_EEPKiS6_PKS3_S8_S4_PS3_21rocsparse_index_base_b,comdat
.Lfunc_end8:
	.size	_ZN9rocsparseL19gebsrmvn_4xn_kernelILj128ELj2ELj32EfEEvi20rocsparse_direction_NS_24const_host_device_scalarIT2_EEPKiS6_PKS3_S8_S4_PS3_21rocsparse_index_base_b, .Lfunc_end8-_ZN9rocsparseL19gebsrmvn_4xn_kernelILj128ELj2ELj32EfEEvi20rocsparse_direction_NS_24const_host_device_scalarIT2_EEPKiS6_PKS3_S8_S4_PS3_21rocsparse_index_base_b
                                        ; -- End function
	.set _ZN9rocsparseL19gebsrmvn_4xn_kernelILj128ELj2ELj32EfEEvi20rocsparse_direction_NS_24const_host_device_scalarIT2_EEPKiS6_PKS3_S8_S4_PS3_21rocsparse_index_base_b.num_vgpr, 26
	.set _ZN9rocsparseL19gebsrmvn_4xn_kernelILj128ELj2ELj32EfEEvi20rocsparse_direction_NS_24const_host_device_scalarIT2_EEPKiS6_PKS3_S8_S4_PS3_21rocsparse_index_base_b.num_agpr, 0
	.set _ZN9rocsparseL19gebsrmvn_4xn_kernelILj128ELj2ELj32EfEEvi20rocsparse_direction_NS_24const_host_device_scalarIT2_EEPKiS6_PKS3_S8_S4_PS3_21rocsparse_index_base_b.numbered_sgpr, 18
	.set _ZN9rocsparseL19gebsrmvn_4xn_kernelILj128ELj2ELj32EfEEvi20rocsparse_direction_NS_24const_host_device_scalarIT2_EEPKiS6_PKS3_S8_S4_PS3_21rocsparse_index_base_b.num_named_barrier, 0
	.set _ZN9rocsparseL19gebsrmvn_4xn_kernelILj128ELj2ELj32EfEEvi20rocsparse_direction_NS_24const_host_device_scalarIT2_EEPKiS6_PKS3_S8_S4_PS3_21rocsparse_index_base_b.private_seg_size, 0
	.set _ZN9rocsparseL19gebsrmvn_4xn_kernelILj128ELj2ELj32EfEEvi20rocsparse_direction_NS_24const_host_device_scalarIT2_EEPKiS6_PKS3_S8_S4_PS3_21rocsparse_index_base_b.uses_vcc, 1
	.set _ZN9rocsparseL19gebsrmvn_4xn_kernelILj128ELj2ELj32EfEEvi20rocsparse_direction_NS_24const_host_device_scalarIT2_EEPKiS6_PKS3_S8_S4_PS3_21rocsparse_index_base_b.uses_flat_scratch, 0
	.set _ZN9rocsparseL19gebsrmvn_4xn_kernelILj128ELj2ELj32EfEEvi20rocsparse_direction_NS_24const_host_device_scalarIT2_EEPKiS6_PKS3_S8_S4_PS3_21rocsparse_index_base_b.has_dyn_sized_stack, 0
	.set _ZN9rocsparseL19gebsrmvn_4xn_kernelILj128ELj2ELj32EfEEvi20rocsparse_direction_NS_24const_host_device_scalarIT2_EEPKiS6_PKS3_S8_S4_PS3_21rocsparse_index_base_b.has_recursion, 0
	.set _ZN9rocsparseL19gebsrmvn_4xn_kernelILj128ELj2ELj32EfEEvi20rocsparse_direction_NS_24const_host_device_scalarIT2_EEPKiS6_PKS3_S8_S4_PS3_21rocsparse_index_base_b.has_indirect_call, 0
	.section	.AMDGPU.csdata,"",@progbits
; Kernel info:
; codeLenInByte = 1364
; TotalNumSgprs: 20
; NumVgprs: 26
; ScratchSize: 0
; MemoryBound: 0
; FloatMode: 240
; IeeeMode: 1
; LDSByteSize: 0 bytes/workgroup (compile time only)
; SGPRBlocks: 0
; VGPRBlocks: 1
; NumSGPRsForWavesPerEU: 20
; NumVGPRsForWavesPerEU: 26
; NamedBarCnt: 0
; Occupancy: 16
; WaveLimiterHint : 1
; COMPUTE_PGM_RSRC2:SCRATCH_EN: 0
; COMPUTE_PGM_RSRC2:USER_SGPR: 2
; COMPUTE_PGM_RSRC2:TRAP_HANDLER: 0
; COMPUTE_PGM_RSRC2:TGID_X_EN: 1
; COMPUTE_PGM_RSRC2:TGID_Y_EN: 0
; COMPUTE_PGM_RSRC2:TGID_Z_EN: 0
; COMPUTE_PGM_RSRC2:TIDIG_COMP_CNT: 0
	.section	.text._ZN9rocsparseL19gebsrmvn_4xn_kernelILj128ELj2ELj64EfEEvi20rocsparse_direction_NS_24const_host_device_scalarIT2_EEPKiS6_PKS3_S8_S4_PS3_21rocsparse_index_base_b,"axG",@progbits,_ZN9rocsparseL19gebsrmvn_4xn_kernelILj128ELj2ELj64EfEEvi20rocsparse_direction_NS_24const_host_device_scalarIT2_EEPKiS6_PKS3_S8_S4_PS3_21rocsparse_index_base_b,comdat
	.globl	_ZN9rocsparseL19gebsrmvn_4xn_kernelILj128ELj2ELj64EfEEvi20rocsparse_direction_NS_24const_host_device_scalarIT2_EEPKiS6_PKS3_S8_S4_PS3_21rocsparse_index_base_b ; -- Begin function _ZN9rocsparseL19gebsrmvn_4xn_kernelILj128ELj2ELj64EfEEvi20rocsparse_direction_NS_24const_host_device_scalarIT2_EEPKiS6_PKS3_S8_S4_PS3_21rocsparse_index_base_b
	.p2align	8
	.type	_ZN9rocsparseL19gebsrmvn_4xn_kernelILj128ELj2ELj64EfEEvi20rocsparse_direction_NS_24const_host_device_scalarIT2_EEPKiS6_PKS3_S8_S4_PS3_21rocsparse_index_base_b,@function
_ZN9rocsparseL19gebsrmvn_4xn_kernelILj128ELj2ELj64EfEEvi20rocsparse_direction_NS_24const_host_device_scalarIT2_EEPKiS6_PKS3_S8_S4_PS3_21rocsparse_index_base_b: ; @_ZN9rocsparseL19gebsrmvn_4xn_kernelILj128ELj2ELj64EfEEvi20rocsparse_direction_NS_24const_host_device_scalarIT2_EEPKiS6_PKS3_S8_S4_PS3_21rocsparse_index_base_b
; %bb.0:
	s_clause 0x2
	s_load_b64 s[16:17], s[0:1], 0x40
	s_load_b64 s[14:15], s[0:1], 0x8
	;; [unrolled: 1-line block ×3, first 2 shown]
	s_wait_kmcnt 0x0
	s_bitcmp1_b32 s17, 0
	s_cselect_b32 s2, -1, 0
	s_delay_alu instid0(SALU_CYCLE_1)
	s_and_b32 vcc_lo, exec_lo, s2
	s_xor_b32 s2, s2, -1
	s_cbranch_vccnz .LBB9_2
; %bb.1:
	s_load_b32 s14, s[14:15], 0x0
.LBB9_2:
	s_and_not1_b32 vcc_lo, exec_lo, s2
	s_cbranch_vccnz .LBB9_4
; %bb.3:
	s_load_b32 s12, s[12:13], 0x0
.LBB9_4:
	s_wait_kmcnt 0x0
	s_cmp_eq_f32 s14, 0
	s_cselect_b32 s2, -1, 0
	s_cmp_eq_f32 s12, 1.0
	s_cselect_b32 s3, -1, 0
	s_delay_alu instid0(SALU_CYCLE_1) | instskip(NEXT) | instid1(SALU_CYCLE_1)
	s_and_b32 s2, s2, s3
	s_and_b32 vcc_lo, exec_lo, s2
	s_cbranch_vccnz .LBB9_23
; %bb.5:
	s_load_b64 s[2:3], s[0:1], 0x0
	s_bfe_u32 s4, ttmp6, 0x4000c
	s_and_b32 s5, ttmp6, 15
	s_add_co_i32 s4, s4, 1
	s_getreg_b32 s6, hwreg(HW_REG_IB_STS2, 6, 4)
	s_mul_i32 s4, ttmp9, s4
	v_lshrrev_b32_e32 v1, 6, v0
	s_add_co_i32 s5, s5, s4
	s_cmp_eq_u32 s6, 0
	s_cselect_b32 s4, ttmp9, s5
	s_delay_alu instid0(VALU_DEP_1) | instid1(SALU_CYCLE_1)
	v_lshl_or_b32 v2, s4, 1, v1
	s_wait_kmcnt 0x0
	s_delay_alu instid0(VALU_DEP_1)
	v_cmp_gt_i32_e32 vcc_lo, s2, v2
	s_and_saveexec_b32 s2, vcc_lo
	s_cbranch_execz .LBB9_23
; %bb.6:
	s_load_b256 s[4:11], s[0:1], 0x10
	v_ashrrev_i32_e32 v3, 31, v2
	s_cmp_lg_u32 s3, 0
	s_wait_kmcnt 0x0
	s_delay_alu instid0(VALU_DEP_1)
	v_lshl_add_u64 v[4:5], v[2:3], 2, s[4:5]
	v_and_b32_e32 v3, 63, v0
	global_load_b64 v[4:5], v[4:5], off
	s_wait_loadcnt 0x0
	v_subrev_nc_u32_e32 v0, s16, v4
	v_subrev_nc_u32_e32 v8, s16, v5
	s_delay_alu instid0(VALU_DEP_2) | instskip(NEXT) | instid1(VALU_DEP_1)
	v_add_nc_u32_e32 v9, v0, v3
	v_cmp_lt_i32_e64 s2, v9, v8
	s_cbranch_scc0 .LBB9_12
; %bb.7:
	v_mov_b32_e32 v1, 0
	s_delay_alu instid0(VALU_DEP_1)
	v_dual_mov_b32 v0, v1 :: v_dual_mov_b32 v5, v1
	v_mov_b32_e32 v4, v1
	s_and_saveexec_b32 s3, s2
	s_cbranch_execz .LBB9_11
; %bb.8:
	v_dual_mov_b32 v7, 0 :: v_dual_lshlrev_b32 v6, 3, v9
	v_mov_b32_e32 v10, v9
	s_mov_b32 s4, 0
	s_delay_alu instid0(VALU_DEP_2)
	v_dual_mov_b32 v4, v7 :: v_dual_mov_b32 v1, v7
	v_dual_mov_b32 v0, v7 :: v_dual_mov_b32 v5, v7
.LBB9_9:                                ; =>This Inner Loop Header: Depth=1
	global_load_b32 v11, v10, s[6:7] scale_offset
	v_lshl_add_u64 v[20:21], v[6:7], 2, s[8:9]
	s_wait_xcnt 0x0
	v_add_nc_u32_e32 v10, 64, v10
	v_add_nc_u32_e32 v6, 0x200, v6
	s_delay_alu instid0(VALU_DEP_2) | instskip(SKIP_3) | instid1(VALU_DEP_1)
	v_cmp_ge_i32_e32 vcc_lo, v10, v8
	s_or_b32 s4, vcc_lo, s4
	s_wait_loadcnt 0x0
	v_subrev_nc_u32_e32 v11, s16, v11
	v_dual_mov_b32 v13, v7 :: v_dual_lshlrev_b32 v12, 1, v11
	s_delay_alu instid0(VALU_DEP_1)
	v_lshl_add_u64 v[22:23], v[12:13], 2, s[10:11]
	s_clause 0x1
	global_load_b128 v[12:15], v[20:21], off offset:16
	global_load_b128 v[16:19], v[20:21], off
	global_load_b64 v[24:25], v[22:23], off
	s_wait_loadcnt 0x0
	v_pk_fma_f32 v[4:5], v[16:17], v[24:25], v[4:5] op_sel_hi:[1,0,1]
	v_pk_fma_f32 v[0:1], v[18:19], v[24:25], v[0:1] op_sel_hi:[1,0,1]
	s_delay_alu instid0(VALU_DEP_2) | instskip(NEXT) | instid1(VALU_DEP_2)
	v_pk_fma_f32 v[4:5], v[12:13], v[24:25], v[4:5] op_sel:[0,1,0]
	v_pk_fma_f32 v[0:1], v[14:15], v[24:25], v[0:1] op_sel:[0,1,0]
	s_and_not1_b32 exec_lo, exec_lo, s4
	s_cbranch_execnz .LBB9_9
; %bb.10:
	s_or_b32 exec_lo, exec_lo, s4
.LBB9_11:
	s_delay_alu instid0(SALU_CYCLE_1)
	s_or_b32 exec_lo, exec_lo, s3
	s_cbranch_execz .LBB9_13
	s_branch .LBB9_18
.LBB9_12:
                                        ; implicit-def: $vgpr1
                                        ; implicit-def: $vgpr5
.LBB9_13:
	v_mov_b32_e32 v1, 0
	s_delay_alu instid0(VALU_DEP_1)
	v_dual_mov_b32 v0, v1 :: v_dual_mov_b32 v5, v1
	v_mov_b32_e32 v4, v1
	s_and_saveexec_b32 s3, s2
	s_cbranch_execz .LBB9_17
; %bb.14:
	v_dual_mov_b32 v7, 0 :: v_dual_lshlrev_b32 v6, 3, v9
	s_mov_b32 s2, 0
	s_delay_alu instid0(VALU_DEP_1)
	v_dual_mov_b32 v4, v7 :: v_dual_mov_b32 v1, v7
	v_dual_mov_b32 v0, v7 :: v_dual_mov_b32 v5, v7
.LBB9_15:                               ; =>This Inner Loop Header: Depth=1
	global_load_b32 v10, v9, s[6:7] scale_offset
	v_lshl_add_u64 v[18:19], v[6:7], 2, s[8:9]
	v_add_nc_u32_e32 v6, 0x200, v6
	s_wait_loadcnt 0x0
	v_subrev_nc_u32_e32 v10, s16, v10
	s_delay_alu instid0(VALU_DEP_1)
	v_dual_mov_b32 v21, v7 :: v_dual_lshlrev_b32 v20, 1, v10
	s_clause 0x1
	global_load_b128 v[10:13], v[18:19], off
	global_load_b128 v[14:17], v[18:19], off offset:16
	v_add_nc_u32_e32 v9, 64, v9
	s_wait_xcnt 0x0
	v_lshl_add_u64 v[18:19], v[20:21], 2, s[10:11]
	global_load_b64 v[18:19], v[18:19], off
	s_wait_loadcnt 0x2
	v_dual_mov_b32 v20, v10 :: v_dual_mov_b32 v21, v12
	s_wait_loadcnt 0x1
	v_dual_mov_b32 v22, v14 :: v_dual_mov_b32 v23, v16
	v_dual_mov_b32 v12, v11 :: v_dual_mov_b32 v16, v15
	v_cmp_ge_i32_e32 vcc_lo, v9, v8
	s_wait_loadcnt 0x0
	v_pk_fma_f32 v[4:5], v[20:21], v[18:19], v[4:5] op_sel_hi:[1,0,1]
	v_pk_fma_f32 v[0:1], v[22:23], v[18:19], v[0:1] op_sel_hi:[1,0,1]
	s_or_b32 s2, vcc_lo, s2
	s_delay_alu instid0(VALU_DEP_2) | instskip(NEXT) | instid1(VALU_DEP_2)
	v_pk_fma_f32 v[4:5], v[12:13], v[18:19], v[4:5] op_sel:[0,1,0]
	v_pk_fma_f32 v[0:1], v[16:17], v[18:19], v[0:1] op_sel:[0,1,0]
	s_and_not1_b32 exec_lo, exec_lo, s2
	s_cbranch_execnz .LBB9_15
; %bb.16:
	s_or_b32 exec_lo, exec_lo, s2
.LBB9_17:
	s_delay_alu instid0(SALU_CYCLE_1)
	s_or_b32 exec_lo, exec_lo, s3
.LBB9_18:
	v_mbcnt_lo_u32_b32 v10, -1, 0
	s_mov_b32 s2, -1
	s_delay_alu instid0(VALU_DEP_1) | instskip(SKIP_1) | instid1(VALU_DEP_1)
	v_xor_b32_e32 v11, 16, v10
	v_or_b32_e32 v6, 32, v10
	v_cmp_gt_i32_e32 vcc_lo, 32, v6
	v_cndmask_b32_e32 v6, v10, v6, vcc_lo
	s_delay_alu instid0(VALU_DEP_4) | instskip(SKIP_1) | instid1(VALU_DEP_1)
	v_cmp_gt_i32_e32 vcc_lo, 32, v11
	v_cndmask_b32_e32 v11, v10, v11, vcc_lo
	v_dual_lshlrev_b32 v11, 2, v11 :: v_dual_lshlrev_b32 v9, 2, v6
	ds_bpermute_b32 v6, v9, v4
	ds_bpermute_b32 v7, v9, v5
	;; [unrolled: 1-line block ×4, first 2 shown]
	s_wait_dscnt 0x2
	v_pk_add_f32 v[4:5], v[4:5], v[6:7]
	s_wait_dscnt 0x0
	v_pk_add_f32 v[0:1], v[0:1], v[8:9]
	ds_bpermute_b32 v6, v11, v4
	ds_bpermute_b32 v7, v11, v5
	ds_bpermute_b32 v8, v11, v0
	ds_bpermute_b32 v9, v11, v1
	v_xor_b32_e32 v11, 8, v10
	s_delay_alu instid0(VALU_DEP_1) | instskip(SKIP_1) | instid1(VALU_DEP_1)
	v_cmp_gt_i32_e32 vcc_lo, 32, v11
	v_cndmask_b32_e32 v11, v10, v11, vcc_lo
	v_lshlrev_b32_e32 v11, 2, v11
	s_wait_dscnt 0x2
	v_pk_add_f32 v[4:5], v[4:5], v[6:7]
	s_wait_dscnt 0x0
	v_pk_add_f32 v[0:1], v[0:1], v[8:9]
	ds_bpermute_b32 v6, v11, v4
	ds_bpermute_b32 v7, v11, v5
	ds_bpermute_b32 v8, v11, v0
	ds_bpermute_b32 v9, v11, v1
	v_xor_b32_e32 v11, 4, v10
	s_delay_alu instid0(VALU_DEP_1) | instskip(SKIP_1) | instid1(VALU_DEP_1)
	v_cmp_gt_i32_e32 vcc_lo, 32, v11
	v_cndmask_b32_e32 v11, v10, v11, vcc_lo
	v_lshlrev_b32_e32 v11, 2, v11
	;; [unrolled: 13-line block ×3, first 2 shown]
	s_wait_dscnt 0x2
	v_pk_add_f32 v[4:5], v[4:5], v[6:7]
	s_wait_dscnt 0x0
	v_pk_add_f32 v[6:7], v[0:1], v[8:9]
	ds_bpermute_b32 v0, v11, v4
	ds_bpermute_b32 v1, v11, v5
	;; [unrolled: 1-line block ×4, first 2 shown]
	v_xor_b32_e32 v11, 1, v10
	s_delay_alu instid0(VALU_DEP_1) | instskip(SKIP_2) | instid1(VALU_DEP_2)
	v_cmp_gt_i32_e32 vcc_lo, 32, v11
	v_cndmask_b32_e32 v10, v10, v11, vcc_lo
	v_cmp_eq_u32_e32 vcc_lo, 63, v3
	v_lshlrev_b32_e32 v10, 2, v10
	s_wait_dscnt 0x2
	v_pk_add_f32 v[0:1], v[4:5], v[0:1]
	s_wait_dscnt 0x0
	v_pk_add_f32 v[6:7], v[6:7], v[8:9]
	ds_bpermute_b32 v4, v10, v0
	ds_bpermute_b32 v5, v10, v1
	ds_bpermute_b32 v8, v10, v6
	ds_bpermute_b32 v9, v10, v7
	s_and_b32 exec_lo, exec_lo, vcc_lo
	s_cbranch_execz .LBB9_23
; %bb.19:
	s_load_b64 s[0:1], s[0:1], 0x38
	s_wait_dscnt 0x2
	v_pk_add_f32 v[4:5], v[0:1], v[4:5]
	s_wait_dscnt 0x0
	v_pk_add_f32 v[0:1], v[6:7], v[8:9]
	v_lshlrev_b32_e32 v2, 2, v2
	s_cmp_eq_f32 s12, 0
	s_cbranch_scc0 .LBB9_21
; %bb.20:
	s_delay_alu instid0(VALU_DEP_1)
	v_ashrrev_i32_e32 v3, 31, v2
	v_pk_mul_f32 v[6:7], s[14:15], v[4:5] op_sel_hi:[0,1]
	v_pk_mul_f32 v[8:9], s[14:15], v[0:1] op_sel_hi:[0,1]
	s_mov_b32 s2, 0
	s_wait_kmcnt 0x0
	v_lshl_add_u64 v[10:11], v[2:3], 2, s[0:1]
	global_store_b128 v[10:11], v[6:9], off
.LBB9_21:
	s_and_not1_b32 vcc_lo, exec_lo, s2
	s_cbranch_vccnz .LBB9_23
; %bb.22:
	v_ashrrev_i32_e32 v3, 31, v2
	s_wait_kmcnt 0x0
	s_delay_alu instid0(VALU_DEP_1)
	v_lshl_add_u64 v[10:11], v[2:3], 2, s[0:1]
	v_pk_mul_f32 v[2:3], s[14:15], v[4:5] op_sel_hi:[0,1]
	v_pk_mul_f32 v[4:5], s[14:15], v[0:1] op_sel_hi:[0,1]
	global_load_b128 v[6:9], v[10:11], off
	s_wait_loadcnt 0x0
	v_pk_fma_f32 v[0:1], s[12:13], v[6:7], v[2:3] op_sel_hi:[0,1,1]
	v_pk_fma_f32 v[2:3], s[12:13], v[8:9], v[4:5] op_sel_hi:[0,1,1]
	global_store_b128 v[10:11], v[0:3], off
.LBB9_23:
	s_endpgm
	.section	.rodata,"a",@progbits
	.p2align	6, 0x0
	.amdhsa_kernel _ZN9rocsparseL19gebsrmvn_4xn_kernelILj128ELj2ELj64EfEEvi20rocsparse_direction_NS_24const_host_device_scalarIT2_EEPKiS6_PKS3_S8_S4_PS3_21rocsparse_index_base_b
		.amdhsa_group_segment_fixed_size 0
		.amdhsa_private_segment_fixed_size 0
		.amdhsa_kernarg_size 72
		.amdhsa_user_sgpr_count 2
		.amdhsa_user_sgpr_dispatch_ptr 0
		.amdhsa_user_sgpr_queue_ptr 0
		.amdhsa_user_sgpr_kernarg_segment_ptr 1
		.amdhsa_user_sgpr_dispatch_id 0
		.amdhsa_user_sgpr_kernarg_preload_length 0
		.amdhsa_user_sgpr_kernarg_preload_offset 0
		.amdhsa_user_sgpr_private_segment_size 0
		.amdhsa_wavefront_size32 1
		.amdhsa_uses_dynamic_stack 0
		.amdhsa_enable_private_segment 0
		.amdhsa_system_sgpr_workgroup_id_x 1
		.amdhsa_system_sgpr_workgroup_id_y 0
		.amdhsa_system_sgpr_workgroup_id_z 0
		.amdhsa_system_sgpr_workgroup_info 0
		.amdhsa_system_vgpr_workitem_id 0
		.amdhsa_next_free_vgpr 26
		.amdhsa_next_free_sgpr 18
		.amdhsa_named_barrier_count 0
		.amdhsa_reserve_vcc 1
		.amdhsa_float_round_mode_32 0
		.amdhsa_float_round_mode_16_64 0
		.amdhsa_float_denorm_mode_32 3
		.amdhsa_float_denorm_mode_16_64 3
		.amdhsa_fp16_overflow 0
		.amdhsa_memory_ordered 1
		.amdhsa_forward_progress 1
		.amdhsa_inst_pref_size 12
		.amdhsa_round_robin_scheduling 0
		.amdhsa_exception_fp_ieee_invalid_op 0
		.amdhsa_exception_fp_denorm_src 0
		.amdhsa_exception_fp_ieee_div_zero 0
		.amdhsa_exception_fp_ieee_overflow 0
		.amdhsa_exception_fp_ieee_underflow 0
		.amdhsa_exception_fp_ieee_inexact 0
		.amdhsa_exception_int_div_zero 0
	.end_amdhsa_kernel
	.section	.text._ZN9rocsparseL19gebsrmvn_4xn_kernelILj128ELj2ELj64EfEEvi20rocsparse_direction_NS_24const_host_device_scalarIT2_EEPKiS6_PKS3_S8_S4_PS3_21rocsparse_index_base_b,"axG",@progbits,_ZN9rocsparseL19gebsrmvn_4xn_kernelILj128ELj2ELj64EfEEvi20rocsparse_direction_NS_24const_host_device_scalarIT2_EEPKiS6_PKS3_S8_S4_PS3_21rocsparse_index_base_b,comdat
.Lfunc_end9:
	.size	_ZN9rocsparseL19gebsrmvn_4xn_kernelILj128ELj2ELj64EfEEvi20rocsparse_direction_NS_24const_host_device_scalarIT2_EEPKiS6_PKS3_S8_S4_PS3_21rocsparse_index_base_b, .Lfunc_end9-_ZN9rocsparseL19gebsrmvn_4xn_kernelILj128ELj2ELj64EfEEvi20rocsparse_direction_NS_24const_host_device_scalarIT2_EEPKiS6_PKS3_S8_S4_PS3_21rocsparse_index_base_b
                                        ; -- End function
	.set _ZN9rocsparseL19gebsrmvn_4xn_kernelILj128ELj2ELj64EfEEvi20rocsparse_direction_NS_24const_host_device_scalarIT2_EEPKiS6_PKS3_S8_S4_PS3_21rocsparse_index_base_b.num_vgpr, 26
	.set _ZN9rocsparseL19gebsrmvn_4xn_kernelILj128ELj2ELj64EfEEvi20rocsparse_direction_NS_24const_host_device_scalarIT2_EEPKiS6_PKS3_S8_S4_PS3_21rocsparse_index_base_b.num_agpr, 0
	.set _ZN9rocsparseL19gebsrmvn_4xn_kernelILj128ELj2ELj64EfEEvi20rocsparse_direction_NS_24const_host_device_scalarIT2_EEPKiS6_PKS3_S8_S4_PS3_21rocsparse_index_base_b.numbered_sgpr, 18
	.set _ZN9rocsparseL19gebsrmvn_4xn_kernelILj128ELj2ELj64EfEEvi20rocsparse_direction_NS_24const_host_device_scalarIT2_EEPKiS6_PKS3_S8_S4_PS3_21rocsparse_index_base_b.num_named_barrier, 0
	.set _ZN9rocsparseL19gebsrmvn_4xn_kernelILj128ELj2ELj64EfEEvi20rocsparse_direction_NS_24const_host_device_scalarIT2_EEPKiS6_PKS3_S8_S4_PS3_21rocsparse_index_base_b.private_seg_size, 0
	.set _ZN9rocsparseL19gebsrmvn_4xn_kernelILj128ELj2ELj64EfEEvi20rocsparse_direction_NS_24const_host_device_scalarIT2_EEPKiS6_PKS3_S8_S4_PS3_21rocsparse_index_base_b.uses_vcc, 1
	.set _ZN9rocsparseL19gebsrmvn_4xn_kernelILj128ELj2ELj64EfEEvi20rocsparse_direction_NS_24const_host_device_scalarIT2_EEPKiS6_PKS3_S8_S4_PS3_21rocsparse_index_base_b.uses_flat_scratch, 0
	.set _ZN9rocsparseL19gebsrmvn_4xn_kernelILj128ELj2ELj64EfEEvi20rocsparse_direction_NS_24const_host_device_scalarIT2_EEPKiS6_PKS3_S8_S4_PS3_21rocsparse_index_base_b.has_dyn_sized_stack, 0
	.set _ZN9rocsparseL19gebsrmvn_4xn_kernelILj128ELj2ELj64EfEEvi20rocsparse_direction_NS_24const_host_device_scalarIT2_EEPKiS6_PKS3_S8_S4_PS3_21rocsparse_index_base_b.has_recursion, 0
	.set _ZN9rocsparseL19gebsrmvn_4xn_kernelILj128ELj2ELj64EfEEvi20rocsparse_direction_NS_24const_host_device_scalarIT2_EEPKiS6_PKS3_S8_S4_PS3_21rocsparse_index_base_b.has_indirect_call, 0
	.section	.AMDGPU.csdata,"",@progbits
; Kernel info:
; codeLenInByte = 1440
; TotalNumSgprs: 20
; NumVgprs: 26
; ScratchSize: 0
; MemoryBound: 0
; FloatMode: 240
; IeeeMode: 1
; LDSByteSize: 0 bytes/workgroup (compile time only)
; SGPRBlocks: 0
; VGPRBlocks: 1
; NumSGPRsForWavesPerEU: 20
; NumVGPRsForWavesPerEU: 26
; NamedBarCnt: 0
; Occupancy: 16
; WaveLimiterHint : 1
; COMPUTE_PGM_RSRC2:SCRATCH_EN: 0
; COMPUTE_PGM_RSRC2:USER_SGPR: 2
; COMPUTE_PGM_RSRC2:TRAP_HANDLER: 0
; COMPUTE_PGM_RSRC2:TGID_X_EN: 1
; COMPUTE_PGM_RSRC2:TGID_Y_EN: 0
; COMPUTE_PGM_RSRC2:TGID_Z_EN: 0
; COMPUTE_PGM_RSRC2:TIDIG_COMP_CNT: 0
	.section	.text._ZN9rocsparseL19gebsrmvn_4xn_kernelILj128ELj3ELj4EfEEvi20rocsparse_direction_NS_24const_host_device_scalarIT2_EEPKiS6_PKS3_S8_S4_PS3_21rocsparse_index_base_b,"axG",@progbits,_ZN9rocsparseL19gebsrmvn_4xn_kernelILj128ELj3ELj4EfEEvi20rocsparse_direction_NS_24const_host_device_scalarIT2_EEPKiS6_PKS3_S8_S4_PS3_21rocsparse_index_base_b,comdat
	.globl	_ZN9rocsparseL19gebsrmvn_4xn_kernelILj128ELj3ELj4EfEEvi20rocsparse_direction_NS_24const_host_device_scalarIT2_EEPKiS6_PKS3_S8_S4_PS3_21rocsparse_index_base_b ; -- Begin function _ZN9rocsparseL19gebsrmvn_4xn_kernelILj128ELj3ELj4EfEEvi20rocsparse_direction_NS_24const_host_device_scalarIT2_EEPKiS6_PKS3_S8_S4_PS3_21rocsparse_index_base_b
	.p2align	8
	.type	_ZN9rocsparseL19gebsrmvn_4xn_kernelILj128ELj3ELj4EfEEvi20rocsparse_direction_NS_24const_host_device_scalarIT2_EEPKiS6_PKS3_S8_S4_PS3_21rocsparse_index_base_b,@function
_ZN9rocsparseL19gebsrmvn_4xn_kernelILj128ELj3ELj4EfEEvi20rocsparse_direction_NS_24const_host_device_scalarIT2_EEPKiS6_PKS3_S8_S4_PS3_21rocsparse_index_base_b: ; @_ZN9rocsparseL19gebsrmvn_4xn_kernelILj128ELj3ELj4EfEEvi20rocsparse_direction_NS_24const_host_device_scalarIT2_EEPKiS6_PKS3_S8_S4_PS3_21rocsparse_index_base_b
; %bb.0:
	s_clause 0x2
	s_load_b64 s[16:17], s[0:1], 0x40
	s_load_b64 s[14:15], s[0:1], 0x8
	;; [unrolled: 1-line block ×3, first 2 shown]
	s_wait_kmcnt 0x0
	s_bitcmp1_b32 s17, 0
	s_cselect_b32 s2, -1, 0
	s_delay_alu instid0(SALU_CYCLE_1)
	s_and_b32 vcc_lo, exec_lo, s2
	s_xor_b32 s2, s2, -1
	s_cbranch_vccnz .LBB10_2
; %bb.1:
	s_load_b32 s14, s[14:15], 0x0
.LBB10_2:
	s_and_not1_b32 vcc_lo, exec_lo, s2
	s_cbranch_vccnz .LBB10_4
; %bb.3:
	s_load_b32 s12, s[12:13], 0x0
.LBB10_4:
	s_wait_kmcnt 0x0
	s_cmp_eq_f32 s14, 0
	s_cselect_b32 s2, -1, 0
	s_cmp_eq_f32 s12, 1.0
	s_cselect_b32 s3, -1, 0
	s_delay_alu instid0(SALU_CYCLE_1) | instskip(NEXT) | instid1(SALU_CYCLE_1)
	s_and_b32 s2, s2, s3
	s_and_b32 vcc_lo, exec_lo, s2
	s_cbranch_vccnz .LBB10_23
; %bb.5:
	s_load_b64 s[2:3], s[0:1], 0x0
	s_bfe_u32 s4, ttmp6, 0x4000c
	s_and_b32 s5, ttmp6, 15
	s_add_co_i32 s4, s4, 1
	s_getreg_b32 s6, hwreg(HW_REG_IB_STS2, 6, 4)
	s_mul_i32 s4, ttmp9, s4
	v_lshrrev_b32_e32 v1, 2, v0
	s_add_co_i32 s5, s5, s4
	s_cmp_eq_u32 s6, 0
	s_cselect_b32 s4, ttmp9, s5
	s_delay_alu instid0(VALU_DEP_1) | instid1(SALU_CYCLE_1)
	v_lshl_or_b32 v2, s4, 5, v1
	s_wait_kmcnt 0x0
	s_delay_alu instid0(VALU_DEP_1)
	v_cmp_gt_i32_e32 vcc_lo, s2, v2
	s_and_saveexec_b32 s2, vcc_lo
	s_cbranch_execz .LBB10_23
; %bb.6:
	s_load_b256 s[4:11], s[0:1], 0x10
	v_ashrrev_i32_e32 v3, 31, v2
	s_cmp_lg_u32 s3, 0
	s_wait_kmcnt 0x0
	s_delay_alu instid0(VALU_DEP_1)
	v_lshl_add_u64 v[4:5], v[2:3], 2, s[4:5]
	v_and_b32_e32 v3, 3, v0
	global_load_b64 v[4:5], v[4:5], off
	s_wait_loadcnt 0x0
	v_subrev_nc_u32_e32 v0, s16, v4
	v_subrev_nc_u32_e32 v8, s16, v5
	s_delay_alu instid0(VALU_DEP_2) | instskip(NEXT) | instid1(VALU_DEP_1)
	v_add_nc_u32_e32 v9, v0, v3
	v_cmp_lt_i32_e64 s2, v9, v8
	s_cbranch_scc0 .LBB10_12
; %bb.7:
	v_mov_b32_e32 v1, 0
	s_delay_alu instid0(VALU_DEP_1)
	v_dual_mov_b32 v0, v1 :: v_dual_mov_b32 v5, v1
	v_mov_b32_e32 v4, v1
	s_and_saveexec_b32 s3, s2
	s_cbranch_execz .LBB10_11
; %bb.8:
	v_mul_lo_u32 v6, v9, 12
	v_dual_mov_b32 v7, 0 :: v_dual_mov_b32 v10, v9
	s_mov_b32 s4, 0
	s_delay_alu instid0(VALU_DEP_1)
	v_dual_mov_b32 v4, v7 :: v_dual_mov_b32 v5, v7
	v_dual_mov_b32 v0, v7 :: v_dual_mov_b32 v1, v7
.LBB10_9:                               ; =>This Inner Loop Header: Depth=1
	global_load_b32 v11, v10, s[6:7] scale_offset
	v_lshl_add_u64 v[12:13], v[6:7], 2, s[8:9]
	v_dual_mov_b32 v17, v7 :: v_dual_add_nc_u32 v16, 4, v6
	v_dual_mov_b32 v19, v7 :: v_dual_add_nc_u32 v18, 8, v6
	global_load_b128 v[12:15], v[12:13], off
	s_wait_xcnt 0x1
	v_add_nc_u32_e32 v10, 4, v10
	v_lshl_add_u64 v[16:17], v[16:17], 2, s[8:9]
	v_add_nc_u32_e32 v6, 48, v6
	v_lshl_add_u64 v[26:27], v[18:19], 2, s[8:9]
	s_delay_alu instid0(VALU_DEP_4) | instskip(SKIP_4) | instid1(VALU_DEP_1)
	v_cmp_ge_i32_e32 vcc_lo, v10, v8
	global_load_b128 v[16:19], v[16:17], off
	s_or_b32 s4, vcc_lo, s4
	s_wait_loadcnt 0x2
	v_subrev_nc_u32_e32 v11, s16, v11
	v_lshl_add_u32 v11, v11, 1, v11
	global_load_b32 v24, v11, s[10:11] scale_offset
	s_wait_xcnt 0x0
	v_dual_add_nc_u32 v25, 1, v11 :: v_dual_add_nc_u32 v11, 2, v11
	global_load_b32 v28, v25, s[10:11] scale_offset
	global_load_b128 v[20:23], v[26:27], off
	global_load_b32 v30, v11, s[10:11] scale_offset
	s_wait_loadcnt 0x3
	v_pk_fma_f32 v[4:5], v[12:13], v[24:25], v[4:5] op_sel_hi:[1,0,1]
	v_pk_fma_f32 v[0:1], v[14:15], v[24:25], v[0:1] op_sel_hi:[1,0,1]
	s_wait_loadcnt 0x2
	s_delay_alu instid0(VALU_DEP_2) | instskip(NEXT) | instid1(VALU_DEP_2)
	v_pk_fma_f32 v[4:5], v[16:17], v[28:29], v[4:5] op_sel_hi:[1,0,1]
	v_pk_fma_f32 v[0:1], v[18:19], v[28:29], v[0:1] op_sel_hi:[1,0,1]
	s_wait_loadcnt 0x0
	s_delay_alu instid0(VALU_DEP_2) | instskip(NEXT) | instid1(VALU_DEP_2)
	v_pk_fma_f32 v[4:5], v[20:21], v[30:31], v[4:5] op_sel_hi:[1,0,1]
	v_pk_fma_f32 v[0:1], v[22:23], v[30:31], v[0:1] op_sel_hi:[1,0,1]
	s_and_not1_b32 exec_lo, exec_lo, s4
	s_cbranch_execnz .LBB10_9
; %bb.10:
	s_or_b32 exec_lo, exec_lo, s4
.LBB10_11:
	s_delay_alu instid0(SALU_CYCLE_1)
	s_or_b32 exec_lo, exec_lo, s3
	s_cbranch_execz .LBB10_13
	s_branch .LBB10_18
.LBB10_12:
                                        ; implicit-def: $vgpr1
                                        ; implicit-def: $vgpr5
.LBB10_13:
	v_mov_b32_e32 v1, 0
	s_delay_alu instid0(VALU_DEP_1)
	v_dual_mov_b32 v0, v1 :: v_dual_mov_b32 v5, v1
	v_mov_b32_e32 v4, v1
	s_and_saveexec_b32 s3, s2
	s_cbranch_execz .LBB10_17
; %bb.14:
	v_mad_u32 v10, v9, 12, 11
	v_mov_b32_e32 v7, 0
	s_mov_b32 s2, 0
	s_delay_alu instid0(VALU_DEP_1)
	v_dual_mov_b32 v4, v7 :: v_dual_mov_b32 v5, v7
	v_dual_mov_b32 v0, v7 :: v_dual_mov_b32 v1, v7
.LBB10_15:                              ; =>This Inner Loop Header: Depth=1
	global_load_b32 v11, v9, s[6:7] scale_offset
	v_dual_add_nc_u32 v6, -11, v10 :: v_dual_add_nc_u32 v16, -5, v10
	v_dual_add_nc_u32 v19, -2, v10 :: v_dual_add_nc_u32 v20, -4, v10
	v_add_nc_u32_e32 v22, -1, v10
	s_delay_alu instid0(VALU_DEP_3)
	v_lshl_add_u64 v[12:13], v[6:7], 2, s[8:9]
	v_dual_add_nc_u32 v6, -7, v10 :: v_dual_add_nc_u32 v25, -6, v10
	s_wait_xcnt 0x0
	v_dual_add_nc_u32 v29, -3, v10 :: v_dual_add_nc_u32 v9, 4, v9
	s_clause 0x2
	global_load_b128 v[12:15], v[12:13], off
	global_load_b32 v17, v6, s[8:9] scale_offset
	global_load_b32 v18, v20, s[8:9] scale_offset
	v_cmp_ge_i32_e32 vcc_lo, v9, v8
	s_or_b32 s2, vcc_lo, s2
	s_wait_loadcnt 0x3
	v_subrev_nc_u32_e32 v11, s16, v11
	s_delay_alu instid0(VALU_DEP_1)
	v_lshl_add_u32 v11, v11, 1, v11
	s_clause 0x1
	global_load_b32 v20, v16, s[8:9] scale_offset
	global_load_b32 v21, v19, s[8:9] scale_offset
	;; [unrolled: 1-line block ×4, first 2 shown]
	s_wait_loadcnt 0x6
	v_dual_mov_b32 v23, v15 :: v_dual_add_nc_u32 v16, 1, v11
	s_wait_xcnt 0x0
	v_dual_mov_b32 v22, v12 :: v_dual_add_nc_u32 v11, 2, v11
	global_load_b32 v24, v16, s[10:11] scale_offset
	s_clause 0x2
	global_load_b32 v15, v25, s[8:9] scale_offset
	global_load_b32 v26, v29, s[8:9] scale_offset
	;; [unrolled: 1-line block ×4, first 2 shown]
	s_wait_xcnt 0x1
	v_dual_mov_b32 v16, v13 :: v_dual_add_nc_u32 v10, 48, v10
	s_wait_loadcnt 0x6
	v_pk_fma_f32 v[4:5], v[22:23], v[6:7], v[4:5] op_sel_hi:[1,0,1]
	v_pk_fma_f32 v[0:1], v[20:21], v[6:7], v[0:1] op_sel_hi:[1,0,1]
	s_wait_loadcnt 0x4
	s_delay_alu instid0(VALU_DEP_2) | instskip(NEXT) | instid1(VALU_DEP_2)
	v_pk_fma_f32 v[4:5], v[16:17], v[24:25], v[4:5] op_sel_hi:[1,0,1]
	v_pk_fma_f32 v[0:1], v[18:19], v[24:25], v[0:1] op_sel_hi:[1,0,1]
	s_wait_loadcnt 0x0
	s_delay_alu instid0(VALU_DEP_2) | instskip(NEXT) | instid1(VALU_DEP_2)
	v_pk_fma_f32 v[4:5], v[14:15], v[28:29], v[4:5] op_sel_hi:[1,0,1]
	v_pk_fma_f32 v[0:1], v[26:27], v[28:29], v[0:1] op_sel_hi:[1,0,1]
	s_and_not1_b32 exec_lo, exec_lo, s2
	s_cbranch_execnz .LBB10_15
; %bb.16:
	s_or_b32 exec_lo, exec_lo, s2
.LBB10_17:
	s_delay_alu instid0(SALU_CYCLE_1)
	s_or_b32 exec_lo, exec_lo, s3
.LBB10_18:
	v_mbcnt_lo_u32_b32 v10, -1, 0
	s_mov_b32 s2, -1
	s_delay_alu instid0(VALU_DEP_1) | instskip(SKIP_1) | instid1(VALU_DEP_1)
	v_xor_b32_e32 v11, 1, v10
	v_xor_b32_e32 v6, 2, v10
	v_cmp_gt_i32_e32 vcc_lo, 32, v6
	v_cndmask_b32_e32 v6, v10, v6, vcc_lo
	s_delay_alu instid0(VALU_DEP_4) | instskip(NEXT) | instid1(VALU_DEP_2)
	v_cmp_gt_i32_e32 vcc_lo, 32, v11
	v_dual_cndmask_b32 v10, v10, v11 :: v_dual_lshlrev_b32 v9, 2, v6
	v_cmp_eq_u32_e32 vcc_lo, 3, v3
	ds_bpermute_b32 v6, v9, v4
	ds_bpermute_b32 v7, v9, v5
	;; [unrolled: 1-line block ×4, first 2 shown]
	v_lshlrev_b32_e32 v10, 2, v10
	s_wait_dscnt 0x2
	v_pk_add_f32 v[4:5], v[4:5], v[6:7]
	s_wait_dscnt 0x0
	v_pk_add_f32 v[0:1], v[0:1], v[8:9]
	ds_bpermute_b32 v8, v10, v4
	ds_bpermute_b32 v9, v10, v5
	;; [unrolled: 1-line block ×4, first 2 shown]
	s_and_b32 exec_lo, exec_lo, vcc_lo
	s_cbranch_execz .LBB10_23
; %bb.19:
	s_load_b64 s[0:1], s[0:1], 0x38
	s_wait_dscnt 0x2
	v_pk_add_f32 v[4:5], v[4:5], v[8:9]
	s_wait_dscnt 0x0
	v_pk_add_f32 v[0:1], v[0:1], v[6:7]
	v_lshlrev_b32_e32 v2, 2, v2
	s_cmp_eq_f32 s12, 0
	s_cbranch_scc0 .LBB10_21
; %bb.20:
	s_delay_alu instid0(VALU_DEP_1)
	v_ashrrev_i32_e32 v3, 31, v2
	v_pk_mul_f32 v[6:7], s[14:15], v[4:5] op_sel_hi:[0,1]
	v_pk_mul_f32 v[8:9], s[14:15], v[0:1] op_sel_hi:[0,1]
	s_mov_b32 s2, 0
	s_wait_kmcnt 0x0
	v_lshl_add_u64 v[10:11], v[2:3], 2, s[0:1]
	global_store_b128 v[10:11], v[6:9], off
.LBB10_21:
	s_and_not1_b32 vcc_lo, exec_lo, s2
	s_cbranch_vccnz .LBB10_23
; %bb.22:
	v_ashrrev_i32_e32 v3, 31, v2
	s_wait_kmcnt 0x0
	s_delay_alu instid0(VALU_DEP_1)
	v_lshl_add_u64 v[10:11], v[2:3], 2, s[0:1]
	v_pk_mul_f32 v[2:3], s[14:15], v[4:5] op_sel_hi:[0,1]
	v_pk_mul_f32 v[4:5], s[14:15], v[0:1] op_sel_hi:[0,1]
	global_load_b128 v[6:9], v[10:11], off
	s_wait_loadcnt 0x0
	v_pk_fma_f32 v[0:1], s[12:13], v[6:7], v[2:3] op_sel_hi:[0,1,1]
	v_pk_fma_f32 v[2:3], s[12:13], v[8:9], v[4:5] op_sel_hi:[0,1,1]
	global_store_b128 v[10:11], v[0:3], off
.LBB10_23:
	s_endpgm
	.section	.rodata,"a",@progbits
	.p2align	6, 0x0
	.amdhsa_kernel _ZN9rocsparseL19gebsrmvn_4xn_kernelILj128ELj3ELj4EfEEvi20rocsparse_direction_NS_24const_host_device_scalarIT2_EEPKiS6_PKS3_S8_S4_PS3_21rocsparse_index_base_b
		.amdhsa_group_segment_fixed_size 0
		.amdhsa_private_segment_fixed_size 0
		.amdhsa_kernarg_size 72
		.amdhsa_user_sgpr_count 2
		.amdhsa_user_sgpr_dispatch_ptr 0
		.amdhsa_user_sgpr_queue_ptr 0
		.amdhsa_user_sgpr_kernarg_segment_ptr 1
		.amdhsa_user_sgpr_dispatch_id 0
		.amdhsa_user_sgpr_kernarg_preload_length 0
		.amdhsa_user_sgpr_kernarg_preload_offset 0
		.amdhsa_user_sgpr_private_segment_size 0
		.amdhsa_wavefront_size32 1
		.amdhsa_uses_dynamic_stack 0
		.amdhsa_enable_private_segment 0
		.amdhsa_system_sgpr_workgroup_id_x 1
		.amdhsa_system_sgpr_workgroup_id_y 0
		.amdhsa_system_sgpr_workgroup_id_z 0
		.amdhsa_system_sgpr_workgroup_info 0
		.amdhsa_system_vgpr_workitem_id 0
		.amdhsa_next_free_vgpr 32
		.amdhsa_next_free_sgpr 18
		.amdhsa_named_barrier_count 0
		.amdhsa_reserve_vcc 1
		.amdhsa_float_round_mode_32 0
		.amdhsa_float_round_mode_16_64 0
		.amdhsa_float_denorm_mode_32 3
		.amdhsa_float_denorm_mode_16_64 3
		.amdhsa_fp16_overflow 0
		.amdhsa_memory_ordered 1
		.amdhsa_forward_progress 1
		.amdhsa_inst_pref_size 12
		.amdhsa_round_robin_scheduling 0
		.amdhsa_exception_fp_ieee_invalid_op 0
		.amdhsa_exception_fp_denorm_src 0
		.amdhsa_exception_fp_ieee_div_zero 0
		.amdhsa_exception_fp_ieee_overflow 0
		.amdhsa_exception_fp_ieee_underflow 0
		.amdhsa_exception_fp_ieee_inexact 0
		.amdhsa_exception_int_div_zero 0
	.end_amdhsa_kernel
	.section	.text._ZN9rocsparseL19gebsrmvn_4xn_kernelILj128ELj3ELj4EfEEvi20rocsparse_direction_NS_24const_host_device_scalarIT2_EEPKiS6_PKS3_S8_S4_PS3_21rocsparse_index_base_b,"axG",@progbits,_ZN9rocsparseL19gebsrmvn_4xn_kernelILj128ELj3ELj4EfEEvi20rocsparse_direction_NS_24const_host_device_scalarIT2_EEPKiS6_PKS3_S8_S4_PS3_21rocsparse_index_base_b,comdat
.Lfunc_end10:
	.size	_ZN9rocsparseL19gebsrmvn_4xn_kernelILj128ELj3ELj4EfEEvi20rocsparse_direction_NS_24const_host_device_scalarIT2_EEPKiS6_PKS3_S8_S4_PS3_21rocsparse_index_base_b, .Lfunc_end10-_ZN9rocsparseL19gebsrmvn_4xn_kernelILj128ELj3ELj4EfEEvi20rocsparse_direction_NS_24const_host_device_scalarIT2_EEPKiS6_PKS3_S8_S4_PS3_21rocsparse_index_base_b
                                        ; -- End function
	.set _ZN9rocsparseL19gebsrmvn_4xn_kernelILj128ELj3ELj4EfEEvi20rocsparse_direction_NS_24const_host_device_scalarIT2_EEPKiS6_PKS3_S8_S4_PS3_21rocsparse_index_base_b.num_vgpr, 32
	.set _ZN9rocsparseL19gebsrmvn_4xn_kernelILj128ELj3ELj4EfEEvi20rocsparse_direction_NS_24const_host_device_scalarIT2_EEPKiS6_PKS3_S8_S4_PS3_21rocsparse_index_base_b.num_agpr, 0
	.set _ZN9rocsparseL19gebsrmvn_4xn_kernelILj128ELj3ELj4EfEEvi20rocsparse_direction_NS_24const_host_device_scalarIT2_EEPKiS6_PKS3_S8_S4_PS3_21rocsparse_index_base_b.numbered_sgpr, 18
	.set _ZN9rocsparseL19gebsrmvn_4xn_kernelILj128ELj3ELj4EfEEvi20rocsparse_direction_NS_24const_host_device_scalarIT2_EEPKiS6_PKS3_S8_S4_PS3_21rocsparse_index_base_b.num_named_barrier, 0
	.set _ZN9rocsparseL19gebsrmvn_4xn_kernelILj128ELj3ELj4EfEEvi20rocsparse_direction_NS_24const_host_device_scalarIT2_EEPKiS6_PKS3_S8_S4_PS3_21rocsparse_index_base_b.private_seg_size, 0
	.set _ZN9rocsparseL19gebsrmvn_4xn_kernelILj128ELj3ELj4EfEEvi20rocsparse_direction_NS_24const_host_device_scalarIT2_EEPKiS6_PKS3_S8_S4_PS3_21rocsparse_index_base_b.uses_vcc, 1
	.set _ZN9rocsparseL19gebsrmvn_4xn_kernelILj128ELj3ELj4EfEEvi20rocsparse_direction_NS_24const_host_device_scalarIT2_EEPKiS6_PKS3_S8_S4_PS3_21rocsparse_index_base_b.uses_flat_scratch, 0
	.set _ZN9rocsparseL19gebsrmvn_4xn_kernelILj128ELj3ELj4EfEEvi20rocsparse_direction_NS_24const_host_device_scalarIT2_EEPKiS6_PKS3_S8_S4_PS3_21rocsparse_index_base_b.has_dyn_sized_stack, 0
	.set _ZN9rocsparseL19gebsrmvn_4xn_kernelILj128ELj3ELj4EfEEvi20rocsparse_direction_NS_24const_host_device_scalarIT2_EEPKiS6_PKS3_S8_S4_PS3_21rocsparse_index_base_b.has_recursion, 0
	.set _ZN9rocsparseL19gebsrmvn_4xn_kernelILj128ELj3ELj4EfEEvi20rocsparse_direction_NS_24const_host_device_scalarIT2_EEPKiS6_PKS3_S8_S4_PS3_21rocsparse_index_base_b.has_indirect_call, 0
	.section	.AMDGPU.csdata,"",@progbits
; Kernel info:
; codeLenInByte = 1416
; TotalNumSgprs: 20
; NumVgprs: 32
; ScratchSize: 0
; MemoryBound: 0
; FloatMode: 240
; IeeeMode: 1
; LDSByteSize: 0 bytes/workgroup (compile time only)
; SGPRBlocks: 0
; VGPRBlocks: 1
; NumSGPRsForWavesPerEU: 20
; NumVGPRsForWavesPerEU: 32
; NamedBarCnt: 0
; Occupancy: 16
; WaveLimiterHint : 1
; COMPUTE_PGM_RSRC2:SCRATCH_EN: 0
; COMPUTE_PGM_RSRC2:USER_SGPR: 2
; COMPUTE_PGM_RSRC2:TRAP_HANDLER: 0
; COMPUTE_PGM_RSRC2:TGID_X_EN: 1
; COMPUTE_PGM_RSRC2:TGID_Y_EN: 0
; COMPUTE_PGM_RSRC2:TGID_Z_EN: 0
; COMPUTE_PGM_RSRC2:TIDIG_COMP_CNT: 0
	.section	.text._ZN9rocsparseL19gebsrmvn_4xn_kernelILj128ELj3ELj8EfEEvi20rocsparse_direction_NS_24const_host_device_scalarIT2_EEPKiS6_PKS3_S8_S4_PS3_21rocsparse_index_base_b,"axG",@progbits,_ZN9rocsparseL19gebsrmvn_4xn_kernelILj128ELj3ELj8EfEEvi20rocsparse_direction_NS_24const_host_device_scalarIT2_EEPKiS6_PKS3_S8_S4_PS3_21rocsparse_index_base_b,comdat
	.globl	_ZN9rocsparseL19gebsrmvn_4xn_kernelILj128ELj3ELj8EfEEvi20rocsparse_direction_NS_24const_host_device_scalarIT2_EEPKiS6_PKS3_S8_S4_PS3_21rocsparse_index_base_b ; -- Begin function _ZN9rocsparseL19gebsrmvn_4xn_kernelILj128ELj3ELj8EfEEvi20rocsparse_direction_NS_24const_host_device_scalarIT2_EEPKiS6_PKS3_S8_S4_PS3_21rocsparse_index_base_b
	.p2align	8
	.type	_ZN9rocsparseL19gebsrmvn_4xn_kernelILj128ELj3ELj8EfEEvi20rocsparse_direction_NS_24const_host_device_scalarIT2_EEPKiS6_PKS3_S8_S4_PS3_21rocsparse_index_base_b,@function
_ZN9rocsparseL19gebsrmvn_4xn_kernelILj128ELj3ELj8EfEEvi20rocsparse_direction_NS_24const_host_device_scalarIT2_EEPKiS6_PKS3_S8_S4_PS3_21rocsparse_index_base_b: ; @_ZN9rocsparseL19gebsrmvn_4xn_kernelILj128ELj3ELj8EfEEvi20rocsparse_direction_NS_24const_host_device_scalarIT2_EEPKiS6_PKS3_S8_S4_PS3_21rocsparse_index_base_b
; %bb.0:
	s_clause 0x2
	s_load_b64 s[16:17], s[0:1], 0x40
	s_load_b64 s[14:15], s[0:1], 0x8
	;; [unrolled: 1-line block ×3, first 2 shown]
	s_wait_kmcnt 0x0
	s_bitcmp1_b32 s17, 0
	s_cselect_b32 s2, -1, 0
	s_delay_alu instid0(SALU_CYCLE_1)
	s_and_b32 vcc_lo, exec_lo, s2
	s_xor_b32 s2, s2, -1
	s_cbranch_vccnz .LBB11_2
; %bb.1:
	s_load_b32 s14, s[14:15], 0x0
.LBB11_2:
	s_and_not1_b32 vcc_lo, exec_lo, s2
	s_cbranch_vccnz .LBB11_4
; %bb.3:
	s_load_b32 s12, s[12:13], 0x0
.LBB11_4:
	s_wait_kmcnt 0x0
	s_cmp_eq_f32 s14, 0
	s_cselect_b32 s2, -1, 0
	s_cmp_eq_f32 s12, 1.0
	s_cselect_b32 s3, -1, 0
	s_delay_alu instid0(SALU_CYCLE_1) | instskip(NEXT) | instid1(SALU_CYCLE_1)
	s_and_b32 s2, s2, s3
	s_and_b32 vcc_lo, exec_lo, s2
	s_cbranch_vccnz .LBB11_23
; %bb.5:
	s_load_b64 s[2:3], s[0:1], 0x0
	s_bfe_u32 s4, ttmp6, 0x4000c
	s_and_b32 s5, ttmp6, 15
	s_add_co_i32 s4, s4, 1
	s_getreg_b32 s6, hwreg(HW_REG_IB_STS2, 6, 4)
	s_mul_i32 s4, ttmp9, s4
	v_lshrrev_b32_e32 v1, 3, v0
	s_add_co_i32 s5, s5, s4
	s_cmp_eq_u32 s6, 0
	s_cselect_b32 s4, ttmp9, s5
	s_delay_alu instid0(VALU_DEP_1) | instid1(SALU_CYCLE_1)
	v_lshl_or_b32 v2, s4, 4, v1
	s_wait_kmcnt 0x0
	s_delay_alu instid0(VALU_DEP_1)
	v_cmp_gt_i32_e32 vcc_lo, s2, v2
	s_and_saveexec_b32 s2, vcc_lo
	s_cbranch_execz .LBB11_23
; %bb.6:
	s_load_b256 s[4:11], s[0:1], 0x10
	v_ashrrev_i32_e32 v3, 31, v2
	s_cmp_lg_u32 s3, 0
	s_wait_kmcnt 0x0
	s_delay_alu instid0(VALU_DEP_1)
	v_lshl_add_u64 v[4:5], v[2:3], 2, s[4:5]
	v_and_b32_e32 v3, 7, v0
	global_load_b64 v[4:5], v[4:5], off
	s_wait_loadcnt 0x0
	v_subrev_nc_u32_e32 v0, s16, v4
	v_subrev_nc_u32_e32 v8, s16, v5
	s_delay_alu instid0(VALU_DEP_2) | instskip(NEXT) | instid1(VALU_DEP_1)
	v_add_nc_u32_e32 v9, v0, v3
	v_cmp_lt_i32_e64 s2, v9, v8
	s_cbranch_scc0 .LBB11_12
; %bb.7:
	v_mov_b32_e32 v1, 0
	s_delay_alu instid0(VALU_DEP_1)
	v_dual_mov_b32 v0, v1 :: v_dual_mov_b32 v5, v1
	v_mov_b32_e32 v4, v1
	s_and_saveexec_b32 s3, s2
	s_cbranch_execz .LBB11_11
; %bb.8:
	v_mul_lo_u32 v6, v9, 12
	v_dual_mov_b32 v7, 0 :: v_dual_mov_b32 v10, v9
	s_mov_b32 s4, 0
	s_delay_alu instid0(VALU_DEP_1)
	v_dual_mov_b32 v4, v7 :: v_dual_mov_b32 v5, v7
	v_dual_mov_b32 v0, v7 :: v_dual_mov_b32 v1, v7
.LBB11_9:                               ; =>This Inner Loop Header: Depth=1
	global_load_b32 v11, v10, s[6:7] scale_offset
	v_lshl_add_u64 v[12:13], v[6:7], 2, s[8:9]
	v_dual_mov_b32 v17, v7 :: v_dual_add_nc_u32 v16, 4, v6
	v_dual_mov_b32 v19, v7 :: v_dual_add_nc_u32 v18, 8, v6
	global_load_b128 v[12:15], v[12:13], off
	s_wait_xcnt 0x1
	v_add_nc_u32_e32 v10, 8, v10
	v_lshl_add_u64 v[16:17], v[16:17], 2, s[8:9]
	v_add_nc_u32_e32 v6, 0x60, v6
	v_lshl_add_u64 v[26:27], v[18:19], 2, s[8:9]
	s_delay_alu instid0(VALU_DEP_4) | instskip(SKIP_4) | instid1(VALU_DEP_1)
	v_cmp_ge_i32_e32 vcc_lo, v10, v8
	global_load_b128 v[16:19], v[16:17], off
	s_or_b32 s4, vcc_lo, s4
	s_wait_loadcnt 0x2
	v_subrev_nc_u32_e32 v11, s16, v11
	v_lshl_add_u32 v11, v11, 1, v11
	global_load_b32 v24, v11, s[10:11] scale_offset
	s_wait_xcnt 0x0
	v_dual_add_nc_u32 v25, 1, v11 :: v_dual_add_nc_u32 v11, 2, v11
	global_load_b32 v28, v25, s[10:11] scale_offset
	global_load_b128 v[20:23], v[26:27], off
	global_load_b32 v30, v11, s[10:11] scale_offset
	s_wait_loadcnt 0x3
	v_pk_fma_f32 v[4:5], v[12:13], v[24:25], v[4:5] op_sel_hi:[1,0,1]
	v_pk_fma_f32 v[0:1], v[14:15], v[24:25], v[0:1] op_sel_hi:[1,0,1]
	s_wait_loadcnt 0x2
	s_delay_alu instid0(VALU_DEP_2) | instskip(NEXT) | instid1(VALU_DEP_2)
	v_pk_fma_f32 v[4:5], v[16:17], v[28:29], v[4:5] op_sel_hi:[1,0,1]
	v_pk_fma_f32 v[0:1], v[18:19], v[28:29], v[0:1] op_sel_hi:[1,0,1]
	s_wait_loadcnt 0x0
	s_delay_alu instid0(VALU_DEP_2) | instskip(NEXT) | instid1(VALU_DEP_2)
	v_pk_fma_f32 v[4:5], v[20:21], v[30:31], v[4:5] op_sel_hi:[1,0,1]
	v_pk_fma_f32 v[0:1], v[22:23], v[30:31], v[0:1] op_sel_hi:[1,0,1]
	s_and_not1_b32 exec_lo, exec_lo, s4
	s_cbranch_execnz .LBB11_9
; %bb.10:
	s_or_b32 exec_lo, exec_lo, s4
.LBB11_11:
	s_delay_alu instid0(SALU_CYCLE_1)
	s_or_b32 exec_lo, exec_lo, s3
	s_cbranch_execz .LBB11_13
	s_branch .LBB11_18
.LBB11_12:
                                        ; implicit-def: $vgpr1
                                        ; implicit-def: $vgpr5
.LBB11_13:
	v_mov_b32_e32 v1, 0
	s_delay_alu instid0(VALU_DEP_1)
	v_dual_mov_b32 v0, v1 :: v_dual_mov_b32 v5, v1
	v_mov_b32_e32 v4, v1
	s_and_saveexec_b32 s3, s2
	s_cbranch_execz .LBB11_17
; %bb.14:
	v_mad_u32 v10, v9, 12, 11
	v_mov_b32_e32 v7, 0
	s_mov_b32 s2, 0
	s_delay_alu instid0(VALU_DEP_1)
	v_dual_mov_b32 v4, v7 :: v_dual_mov_b32 v5, v7
	v_dual_mov_b32 v0, v7 :: v_dual_mov_b32 v1, v7
.LBB11_15:                              ; =>This Inner Loop Header: Depth=1
	global_load_b32 v11, v9, s[6:7] scale_offset
	v_dual_add_nc_u32 v6, -11, v10 :: v_dual_add_nc_u32 v16, -5, v10
	v_dual_add_nc_u32 v19, -2, v10 :: v_dual_add_nc_u32 v20, -4, v10
	v_add_nc_u32_e32 v22, -1, v10
	s_delay_alu instid0(VALU_DEP_3)
	v_lshl_add_u64 v[12:13], v[6:7], 2, s[8:9]
	v_dual_add_nc_u32 v6, -7, v10 :: v_dual_add_nc_u32 v25, -6, v10
	s_wait_xcnt 0x0
	v_dual_add_nc_u32 v29, -3, v10 :: v_dual_add_nc_u32 v9, 8, v9
	s_clause 0x2
	global_load_b128 v[12:15], v[12:13], off
	global_load_b32 v17, v6, s[8:9] scale_offset
	global_load_b32 v18, v20, s[8:9] scale_offset
	v_cmp_ge_i32_e32 vcc_lo, v9, v8
	s_or_b32 s2, vcc_lo, s2
	s_wait_loadcnt 0x3
	v_subrev_nc_u32_e32 v11, s16, v11
	s_delay_alu instid0(VALU_DEP_1)
	v_lshl_add_u32 v11, v11, 1, v11
	s_clause 0x1
	global_load_b32 v20, v16, s[8:9] scale_offset
	global_load_b32 v21, v19, s[8:9] scale_offset
	;; [unrolled: 1-line block ×4, first 2 shown]
	s_wait_loadcnt 0x6
	v_dual_mov_b32 v23, v15 :: v_dual_add_nc_u32 v16, 1, v11
	s_wait_xcnt 0x0
	v_dual_mov_b32 v22, v12 :: v_dual_add_nc_u32 v11, 2, v11
	global_load_b32 v24, v16, s[10:11] scale_offset
	s_clause 0x2
	global_load_b32 v15, v25, s[8:9] scale_offset
	global_load_b32 v26, v29, s[8:9] scale_offset
	global_load_b32 v27, v10, s[8:9] scale_offset
	global_load_b32 v28, v11, s[10:11] scale_offset
	s_wait_xcnt 0x4
	v_mov_b32_e32 v16, v13
	s_wait_xcnt 0x1
	v_add_nc_u32_e32 v10, 0x60, v10
	s_wait_loadcnt 0x6
	v_pk_fma_f32 v[4:5], v[22:23], v[6:7], v[4:5] op_sel_hi:[1,0,1]
	v_pk_fma_f32 v[0:1], v[20:21], v[6:7], v[0:1] op_sel_hi:[1,0,1]
	s_wait_loadcnt 0x4
	s_delay_alu instid0(VALU_DEP_2) | instskip(NEXT) | instid1(VALU_DEP_2)
	v_pk_fma_f32 v[4:5], v[16:17], v[24:25], v[4:5] op_sel_hi:[1,0,1]
	v_pk_fma_f32 v[0:1], v[18:19], v[24:25], v[0:1] op_sel_hi:[1,0,1]
	s_wait_loadcnt 0x0
	s_delay_alu instid0(VALU_DEP_2) | instskip(NEXT) | instid1(VALU_DEP_2)
	v_pk_fma_f32 v[4:5], v[14:15], v[28:29], v[4:5] op_sel_hi:[1,0,1]
	v_pk_fma_f32 v[0:1], v[26:27], v[28:29], v[0:1] op_sel_hi:[1,0,1]
	s_and_not1_b32 exec_lo, exec_lo, s2
	s_cbranch_execnz .LBB11_15
; %bb.16:
	s_or_b32 exec_lo, exec_lo, s2
.LBB11_17:
	s_delay_alu instid0(SALU_CYCLE_1)
	s_or_b32 exec_lo, exec_lo, s3
.LBB11_18:
	v_mbcnt_lo_u32_b32 v10, -1, 0
	s_mov_b32 s2, -1
	s_delay_alu instid0(VALU_DEP_1) | instskip(SKIP_1) | instid1(VALU_DEP_1)
	v_xor_b32_e32 v11, 2, v10
	v_xor_b32_e32 v6, 4, v10
	v_cmp_gt_i32_e32 vcc_lo, 32, v6
	v_cndmask_b32_e32 v6, v10, v6, vcc_lo
	s_delay_alu instid0(VALU_DEP_4) | instskip(SKIP_1) | instid1(VALU_DEP_1)
	v_cmp_gt_i32_e32 vcc_lo, 32, v11
	v_cndmask_b32_e32 v11, v10, v11, vcc_lo
	v_dual_lshlrev_b32 v11, 2, v11 :: v_dual_lshlrev_b32 v9, 2, v6
	ds_bpermute_b32 v6, v9, v4
	ds_bpermute_b32 v7, v9, v5
	;; [unrolled: 1-line block ×4, first 2 shown]
	s_wait_dscnt 0x2
	v_pk_add_f32 v[4:5], v[4:5], v[6:7]
	s_wait_dscnt 0x0
	v_pk_add_f32 v[6:7], v[0:1], v[8:9]
	ds_bpermute_b32 v0, v11, v4
	ds_bpermute_b32 v1, v11, v5
	;; [unrolled: 1-line block ×4, first 2 shown]
	v_xor_b32_e32 v11, 1, v10
	s_delay_alu instid0(VALU_DEP_1) | instskip(SKIP_2) | instid1(VALU_DEP_2)
	v_cmp_gt_i32_e32 vcc_lo, 32, v11
	v_cndmask_b32_e32 v10, v10, v11, vcc_lo
	v_cmp_eq_u32_e32 vcc_lo, 7, v3
	v_lshlrev_b32_e32 v10, 2, v10
	s_wait_dscnt 0x2
	v_pk_add_f32 v[0:1], v[4:5], v[0:1]
	s_wait_dscnt 0x0
	v_pk_add_f32 v[6:7], v[6:7], v[8:9]
	ds_bpermute_b32 v4, v10, v0
	ds_bpermute_b32 v5, v10, v1
	;; [unrolled: 1-line block ×4, first 2 shown]
	s_and_b32 exec_lo, exec_lo, vcc_lo
	s_cbranch_execz .LBB11_23
; %bb.19:
	s_load_b64 s[0:1], s[0:1], 0x38
	s_wait_dscnt 0x2
	v_pk_add_f32 v[4:5], v[0:1], v[4:5]
	s_wait_dscnt 0x0
	v_pk_add_f32 v[0:1], v[6:7], v[8:9]
	v_lshlrev_b32_e32 v2, 2, v2
	s_cmp_eq_f32 s12, 0
	s_cbranch_scc0 .LBB11_21
; %bb.20:
	s_delay_alu instid0(VALU_DEP_1)
	v_ashrrev_i32_e32 v3, 31, v2
	v_pk_mul_f32 v[6:7], s[14:15], v[4:5] op_sel_hi:[0,1]
	v_pk_mul_f32 v[8:9], s[14:15], v[0:1] op_sel_hi:[0,1]
	s_mov_b32 s2, 0
	s_wait_kmcnt 0x0
	v_lshl_add_u64 v[10:11], v[2:3], 2, s[0:1]
	global_store_b128 v[10:11], v[6:9], off
.LBB11_21:
	s_and_not1_b32 vcc_lo, exec_lo, s2
	s_cbranch_vccnz .LBB11_23
; %bb.22:
	v_ashrrev_i32_e32 v3, 31, v2
	s_wait_kmcnt 0x0
	s_delay_alu instid0(VALU_DEP_1)
	v_lshl_add_u64 v[10:11], v[2:3], 2, s[0:1]
	v_pk_mul_f32 v[2:3], s[14:15], v[4:5] op_sel_hi:[0,1]
	v_pk_mul_f32 v[4:5], s[14:15], v[0:1] op_sel_hi:[0,1]
	global_load_b128 v[6:9], v[10:11], off
	s_wait_loadcnt 0x0
	v_pk_fma_f32 v[0:1], s[12:13], v[6:7], v[2:3] op_sel_hi:[0,1,1]
	v_pk_fma_f32 v[2:3], s[12:13], v[8:9], v[4:5] op_sel_hi:[0,1,1]
	global_store_b128 v[10:11], v[0:3], off
.LBB11_23:
	s_endpgm
	.section	.rodata,"a",@progbits
	.p2align	6, 0x0
	.amdhsa_kernel _ZN9rocsparseL19gebsrmvn_4xn_kernelILj128ELj3ELj8EfEEvi20rocsparse_direction_NS_24const_host_device_scalarIT2_EEPKiS6_PKS3_S8_S4_PS3_21rocsparse_index_base_b
		.amdhsa_group_segment_fixed_size 0
		.amdhsa_private_segment_fixed_size 0
		.amdhsa_kernarg_size 72
		.amdhsa_user_sgpr_count 2
		.amdhsa_user_sgpr_dispatch_ptr 0
		.amdhsa_user_sgpr_queue_ptr 0
		.amdhsa_user_sgpr_kernarg_segment_ptr 1
		.amdhsa_user_sgpr_dispatch_id 0
		.amdhsa_user_sgpr_kernarg_preload_length 0
		.amdhsa_user_sgpr_kernarg_preload_offset 0
		.amdhsa_user_sgpr_private_segment_size 0
		.amdhsa_wavefront_size32 1
		.amdhsa_uses_dynamic_stack 0
		.amdhsa_enable_private_segment 0
		.amdhsa_system_sgpr_workgroup_id_x 1
		.amdhsa_system_sgpr_workgroup_id_y 0
		.amdhsa_system_sgpr_workgroup_id_z 0
		.amdhsa_system_sgpr_workgroup_info 0
		.amdhsa_system_vgpr_workitem_id 0
		.amdhsa_next_free_vgpr 32
		.amdhsa_next_free_sgpr 18
		.amdhsa_named_barrier_count 0
		.amdhsa_reserve_vcc 1
		.amdhsa_float_round_mode_32 0
		.amdhsa_float_round_mode_16_64 0
		.amdhsa_float_denorm_mode_32 3
		.amdhsa_float_denorm_mode_16_64 3
		.amdhsa_fp16_overflow 0
		.amdhsa_memory_ordered 1
		.amdhsa_forward_progress 1
		.amdhsa_inst_pref_size 12
		.amdhsa_round_robin_scheduling 0
		.amdhsa_exception_fp_ieee_invalid_op 0
		.amdhsa_exception_fp_denorm_src 0
		.amdhsa_exception_fp_ieee_div_zero 0
		.amdhsa_exception_fp_ieee_overflow 0
		.amdhsa_exception_fp_ieee_underflow 0
		.amdhsa_exception_fp_ieee_inexact 0
		.amdhsa_exception_int_div_zero 0
	.end_amdhsa_kernel
	.section	.text._ZN9rocsparseL19gebsrmvn_4xn_kernelILj128ELj3ELj8EfEEvi20rocsparse_direction_NS_24const_host_device_scalarIT2_EEPKiS6_PKS3_S8_S4_PS3_21rocsparse_index_base_b,"axG",@progbits,_ZN9rocsparseL19gebsrmvn_4xn_kernelILj128ELj3ELj8EfEEvi20rocsparse_direction_NS_24const_host_device_scalarIT2_EEPKiS6_PKS3_S8_S4_PS3_21rocsparse_index_base_b,comdat
.Lfunc_end11:
	.size	_ZN9rocsparseL19gebsrmvn_4xn_kernelILj128ELj3ELj8EfEEvi20rocsparse_direction_NS_24const_host_device_scalarIT2_EEPKiS6_PKS3_S8_S4_PS3_21rocsparse_index_base_b, .Lfunc_end11-_ZN9rocsparseL19gebsrmvn_4xn_kernelILj128ELj3ELj8EfEEvi20rocsparse_direction_NS_24const_host_device_scalarIT2_EEPKiS6_PKS3_S8_S4_PS3_21rocsparse_index_base_b
                                        ; -- End function
	.set _ZN9rocsparseL19gebsrmvn_4xn_kernelILj128ELj3ELj8EfEEvi20rocsparse_direction_NS_24const_host_device_scalarIT2_EEPKiS6_PKS3_S8_S4_PS3_21rocsparse_index_base_b.num_vgpr, 32
	.set _ZN9rocsparseL19gebsrmvn_4xn_kernelILj128ELj3ELj8EfEEvi20rocsparse_direction_NS_24const_host_device_scalarIT2_EEPKiS6_PKS3_S8_S4_PS3_21rocsparse_index_base_b.num_agpr, 0
	.set _ZN9rocsparseL19gebsrmvn_4xn_kernelILj128ELj3ELj8EfEEvi20rocsparse_direction_NS_24const_host_device_scalarIT2_EEPKiS6_PKS3_S8_S4_PS3_21rocsparse_index_base_b.numbered_sgpr, 18
	.set _ZN9rocsparseL19gebsrmvn_4xn_kernelILj128ELj3ELj8EfEEvi20rocsparse_direction_NS_24const_host_device_scalarIT2_EEPKiS6_PKS3_S8_S4_PS3_21rocsparse_index_base_b.num_named_barrier, 0
	.set _ZN9rocsparseL19gebsrmvn_4xn_kernelILj128ELj3ELj8EfEEvi20rocsparse_direction_NS_24const_host_device_scalarIT2_EEPKiS6_PKS3_S8_S4_PS3_21rocsparse_index_base_b.private_seg_size, 0
	.set _ZN9rocsparseL19gebsrmvn_4xn_kernelILj128ELj3ELj8EfEEvi20rocsparse_direction_NS_24const_host_device_scalarIT2_EEPKiS6_PKS3_S8_S4_PS3_21rocsparse_index_base_b.uses_vcc, 1
	.set _ZN9rocsparseL19gebsrmvn_4xn_kernelILj128ELj3ELj8EfEEvi20rocsparse_direction_NS_24const_host_device_scalarIT2_EEPKiS6_PKS3_S8_S4_PS3_21rocsparse_index_base_b.uses_flat_scratch, 0
	.set _ZN9rocsparseL19gebsrmvn_4xn_kernelILj128ELj3ELj8EfEEvi20rocsparse_direction_NS_24const_host_device_scalarIT2_EEPKiS6_PKS3_S8_S4_PS3_21rocsparse_index_base_b.has_dyn_sized_stack, 0
	.set _ZN9rocsparseL19gebsrmvn_4xn_kernelILj128ELj3ELj8EfEEvi20rocsparse_direction_NS_24const_host_device_scalarIT2_EEPKiS6_PKS3_S8_S4_PS3_21rocsparse_index_base_b.has_recursion, 0
	.set _ZN9rocsparseL19gebsrmvn_4xn_kernelILj128ELj3ELj8EfEEvi20rocsparse_direction_NS_24const_host_device_scalarIT2_EEPKiS6_PKS3_S8_S4_PS3_21rocsparse_index_base_b.has_indirect_call, 0
	.section	.AMDGPU.csdata,"",@progbits
; Kernel info:
; codeLenInByte = 1504
; TotalNumSgprs: 20
; NumVgprs: 32
; ScratchSize: 0
; MemoryBound: 0
; FloatMode: 240
; IeeeMode: 1
; LDSByteSize: 0 bytes/workgroup (compile time only)
; SGPRBlocks: 0
; VGPRBlocks: 1
; NumSGPRsForWavesPerEU: 20
; NumVGPRsForWavesPerEU: 32
; NamedBarCnt: 0
; Occupancy: 16
; WaveLimiterHint : 1
; COMPUTE_PGM_RSRC2:SCRATCH_EN: 0
; COMPUTE_PGM_RSRC2:USER_SGPR: 2
; COMPUTE_PGM_RSRC2:TRAP_HANDLER: 0
; COMPUTE_PGM_RSRC2:TGID_X_EN: 1
; COMPUTE_PGM_RSRC2:TGID_Y_EN: 0
; COMPUTE_PGM_RSRC2:TGID_Z_EN: 0
; COMPUTE_PGM_RSRC2:TIDIG_COMP_CNT: 0
	.section	.text._ZN9rocsparseL19gebsrmvn_4xn_kernelILj128ELj3ELj16EfEEvi20rocsparse_direction_NS_24const_host_device_scalarIT2_EEPKiS6_PKS3_S8_S4_PS3_21rocsparse_index_base_b,"axG",@progbits,_ZN9rocsparseL19gebsrmvn_4xn_kernelILj128ELj3ELj16EfEEvi20rocsparse_direction_NS_24const_host_device_scalarIT2_EEPKiS6_PKS3_S8_S4_PS3_21rocsparse_index_base_b,comdat
	.globl	_ZN9rocsparseL19gebsrmvn_4xn_kernelILj128ELj3ELj16EfEEvi20rocsparse_direction_NS_24const_host_device_scalarIT2_EEPKiS6_PKS3_S8_S4_PS3_21rocsparse_index_base_b ; -- Begin function _ZN9rocsparseL19gebsrmvn_4xn_kernelILj128ELj3ELj16EfEEvi20rocsparse_direction_NS_24const_host_device_scalarIT2_EEPKiS6_PKS3_S8_S4_PS3_21rocsparse_index_base_b
	.p2align	8
	.type	_ZN9rocsparseL19gebsrmvn_4xn_kernelILj128ELj3ELj16EfEEvi20rocsparse_direction_NS_24const_host_device_scalarIT2_EEPKiS6_PKS3_S8_S4_PS3_21rocsparse_index_base_b,@function
_ZN9rocsparseL19gebsrmvn_4xn_kernelILj128ELj3ELj16EfEEvi20rocsparse_direction_NS_24const_host_device_scalarIT2_EEPKiS6_PKS3_S8_S4_PS3_21rocsparse_index_base_b: ; @_ZN9rocsparseL19gebsrmvn_4xn_kernelILj128ELj3ELj16EfEEvi20rocsparse_direction_NS_24const_host_device_scalarIT2_EEPKiS6_PKS3_S8_S4_PS3_21rocsparse_index_base_b
; %bb.0:
	s_clause 0x2
	s_load_b64 s[16:17], s[0:1], 0x40
	s_load_b64 s[14:15], s[0:1], 0x8
	;; [unrolled: 1-line block ×3, first 2 shown]
	s_wait_kmcnt 0x0
	s_bitcmp1_b32 s17, 0
	s_cselect_b32 s2, -1, 0
	s_delay_alu instid0(SALU_CYCLE_1)
	s_and_b32 vcc_lo, exec_lo, s2
	s_xor_b32 s2, s2, -1
	s_cbranch_vccnz .LBB12_2
; %bb.1:
	s_load_b32 s14, s[14:15], 0x0
.LBB12_2:
	s_and_not1_b32 vcc_lo, exec_lo, s2
	s_cbranch_vccnz .LBB12_4
; %bb.3:
	s_load_b32 s12, s[12:13], 0x0
.LBB12_4:
	s_wait_kmcnt 0x0
	s_cmp_eq_f32 s14, 0
	s_cselect_b32 s2, -1, 0
	s_cmp_eq_f32 s12, 1.0
	s_cselect_b32 s3, -1, 0
	s_delay_alu instid0(SALU_CYCLE_1) | instskip(NEXT) | instid1(SALU_CYCLE_1)
	s_and_b32 s2, s2, s3
	s_and_b32 vcc_lo, exec_lo, s2
	s_cbranch_vccnz .LBB12_23
; %bb.5:
	s_load_b64 s[2:3], s[0:1], 0x0
	s_bfe_u32 s4, ttmp6, 0x4000c
	s_and_b32 s5, ttmp6, 15
	s_add_co_i32 s4, s4, 1
	s_getreg_b32 s6, hwreg(HW_REG_IB_STS2, 6, 4)
	s_mul_i32 s4, ttmp9, s4
	v_lshrrev_b32_e32 v1, 4, v0
	s_add_co_i32 s5, s5, s4
	s_cmp_eq_u32 s6, 0
	s_cselect_b32 s4, ttmp9, s5
	s_delay_alu instid0(VALU_DEP_1) | instid1(SALU_CYCLE_1)
	v_lshl_or_b32 v2, s4, 3, v1
	s_wait_kmcnt 0x0
	s_delay_alu instid0(VALU_DEP_1)
	v_cmp_gt_i32_e32 vcc_lo, s2, v2
	s_and_saveexec_b32 s2, vcc_lo
	s_cbranch_execz .LBB12_23
; %bb.6:
	s_load_b256 s[4:11], s[0:1], 0x10
	v_ashrrev_i32_e32 v3, 31, v2
	s_cmp_lg_u32 s3, 0
	s_wait_kmcnt 0x0
	s_delay_alu instid0(VALU_DEP_1)
	v_lshl_add_u64 v[4:5], v[2:3], 2, s[4:5]
	v_and_b32_e32 v3, 15, v0
	global_load_b64 v[4:5], v[4:5], off
	s_wait_loadcnt 0x0
	v_subrev_nc_u32_e32 v0, s16, v4
	v_subrev_nc_u32_e32 v8, s16, v5
	s_delay_alu instid0(VALU_DEP_2) | instskip(NEXT) | instid1(VALU_DEP_1)
	v_add_nc_u32_e32 v9, v0, v3
	v_cmp_lt_i32_e64 s2, v9, v8
	s_cbranch_scc0 .LBB12_12
; %bb.7:
	v_mov_b32_e32 v1, 0
	s_delay_alu instid0(VALU_DEP_1)
	v_dual_mov_b32 v0, v1 :: v_dual_mov_b32 v5, v1
	v_mov_b32_e32 v4, v1
	s_and_saveexec_b32 s3, s2
	s_cbranch_execz .LBB12_11
; %bb.8:
	v_mul_lo_u32 v6, v9, 12
	v_dual_mov_b32 v7, 0 :: v_dual_mov_b32 v10, v9
	s_mov_b32 s4, 0
	s_delay_alu instid0(VALU_DEP_1)
	v_dual_mov_b32 v4, v7 :: v_dual_mov_b32 v5, v7
	v_dual_mov_b32 v0, v7 :: v_dual_mov_b32 v1, v7
.LBB12_9:                               ; =>This Inner Loop Header: Depth=1
	global_load_b32 v11, v10, s[6:7] scale_offset
	v_lshl_add_u64 v[12:13], v[6:7], 2, s[8:9]
	v_dual_mov_b32 v17, v7 :: v_dual_add_nc_u32 v16, 4, v6
	v_dual_mov_b32 v19, v7 :: v_dual_add_nc_u32 v18, 8, v6
	global_load_b128 v[12:15], v[12:13], off
	s_wait_xcnt 0x1
	v_add_nc_u32_e32 v10, 16, v10
	v_lshl_add_u64 v[16:17], v[16:17], 2, s[8:9]
	v_add_nc_u32_e32 v6, 0xc0, v6
	v_lshl_add_u64 v[26:27], v[18:19], 2, s[8:9]
	s_delay_alu instid0(VALU_DEP_4) | instskip(SKIP_4) | instid1(VALU_DEP_1)
	v_cmp_ge_i32_e32 vcc_lo, v10, v8
	global_load_b128 v[16:19], v[16:17], off
	s_or_b32 s4, vcc_lo, s4
	s_wait_loadcnt 0x2
	v_subrev_nc_u32_e32 v11, s16, v11
	v_lshl_add_u32 v11, v11, 1, v11
	global_load_b32 v24, v11, s[10:11] scale_offset
	s_wait_xcnt 0x0
	v_dual_add_nc_u32 v25, 1, v11 :: v_dual_add_nc_u32 v11, 2, v11
	global_load_b32 v28, v25, s[10:11] scale_offset
	global_load_b128 v[20:23], v[26:27], off
	global_load_b32 v30, v11, s[10:11] scale_offset
	s_wait_loadcnt 0x3
	v_pk_fma_f32 v[4:5], v[12:13], v[24:25], v[4:5] op_sel_hi:[1,0,1]
	v_pk_fma_f32 v[0:1], v[14:15], v[24:25], v[0:1] op_sel_hi:[1,0,1]
	s_wait_loadcnt 0x2
	s_delay_alu instid0(VALU_DEP_2) | instskip(NEXT) | instid1(VALU_DEP_2)
	v_pk_fma_f32 v[4:5], v[16:17], v[28:29], v[4:5] op_sel_hi:[1,0,1]
	v_pk_fma_f32 v[0:1], v[18:19], v[28:29], v[0:1] op_sel_hi:[1,0,1]
	s_wait_loadcnt 0x0
	s_delay_alu instid0(VALU_DEP_2) | instskip(NEXT) | instid1(VALU_DEP_2)
	v_pk_fma_f32 v[4:5], v[20:21], v[30:31], v[4:5] op_sel_hi:[1,0,1]
	v_pk_fma_f32 v[0:1], v[22:23], v[30:31], v[0:1] op_sel_hi:[1,0,1]
	s_and_not1_b32 exec_lo, exec_lo, s4
	s_cbranch_execnz .LBB12_9
; %bb.10:
	s_or_b32 exec_lo, exec_lo, s4
.LBB12_11:
	s_delay_alu instid0(SALU_CYCLE_1)
	s_or_b32 exec_lo, exec_lo, s3
	s_cbranch_execz .LBB12_13
	s_branch .LBB12_18
.LBB12_12:
                                        ; implicit-def: $vgpr1
                                        ; implicit-def: $vgpr5
.LBB12_13:
	v_mov_b32_e32 v1, 0
	s_delay_alu instid0(VALU_DEP_1)
	v_dual_mov_b32 v0, v1 :: v_dual_mov_b32 v5, v1
	v_mov_b32_e32 v4, v1
	s_and_saveexec_b32 s3, s2
	s_cbranch_execz .LBB12_17
; %bb.14:
	v_mad_u32 v10, v9, 12, 11
	v_mov_b32_e32 v7, 0
	s_mov_b32 s2, 0
	s_delay_alu instid0(VALU_DEP_1)
	v_dual_mov_b32 v4, v7 :: v_dual_mov_b32 v5, v7
	v_dual_mov_b32 v0, v7 :: v_dual_mov_b32 v1, v7
.LBB12_15:                              ; =>This Inner Loop Header: Depth=1
	global_load_b32 v11, v9, s[6:7] scale_offset
	v_dual_add_nc_u32 v6, -11, v10 :: v_dual_add_nc_u32 v16, -5, v10
	v_dual_add_nc_u32 v19, -2, v10 :: v_dual_add_nc_u32 v20, -4, v10
	v_add_nc_u32_e32 v22, -1, v10
	s_delay_alu instid0(VALU_DEP_3)
	v_lshl_add_u64 v[12:13], v[6:7], 2, s[8:9]
	v_dual_add_nc_u32 v6, -7, v10 :: v_dual_add_nc_u32 v25, -6, v10
	s_wait_xcnt 0x0
	v_dual_add_nc_u32 v29, -3, v10 :: v_dual_add_nc_u32 v9, 16, v9
	s_clause 0x2
	global_load_b128 v[12:15], v[12:13], off
	global_load_b32 v17, v6, s[8:9] scale_offset
	global_load_b32 v18, v20, s[8:9] scale_offset
	v_cmp_ge_i32_e32 vcc_lo, v9, v8
	s_or_b32 s2, vcc_lo, s2
	s_wait_loadcnt 0x3
	v_subrev_nc_u32_e32 v11, s16, v11
	s_delay_alu instid0(VALU_DEP_1)
	v_lshl_add_u32 v11, v11, 1, v11
	s_clause 0x1
	global_load_b32 v20, v16, s[8:9] scale_offset
	global_load_b32 v21, v19, s[8:9] scale_offset
	;; [unrolled: 1-line block ×4, first 2 shown]
	s_wait_loadcnt 0x6
	v_dual_mov_b32 v23, v15 :: v_dual_add_nc_u32 v16, 1, v11
	s_wait_xcnt 0x0
	v_dual_mov_b32 v22, v12 :: v_dual_add_nc_u32 v11, 2, v11
	global_load_b32 v24, v16, s[10:11] scale_offset
	s_clause 0x2
	global_load_b32 v15, v25, s[8:9] scale_offset
	global_load_b32 v26, v29, s[8:9] scale_offset
	;; [unrolled: 1-line block ×4, first 2 shown]
	s_wait_xcnt 0x4
	v_mov_b32_e32 v16, v13
	s_wait_xcnt 0x1
	v_add_nc_u32_e32 v10, 0xc0, v10
	s_wait_loadcnt 0x6
	v_pk_fma_f32 v[4:5], v[22:23], v[6:7], v[4:5] op_sel_hi:[1,0,1]
	v_pk_fma_f32 v[0:1], v[20:21], v[6:7], v[0:1] op_sel_hi:[1,0,1]
	s_wait_loadcnt 0x4
	s_delay_alu instid0(VALU_DEP_2) | instskip(NEXT) | instid1(VALU_DEP_2)
	v_pk_fma_f32 v[4:5], v[16:17], v[24:25], v[4:5] op_sel_hi:[1,0,1]
	v_pk_fma_f32 v[0:1], v[18:19], v[24:25], v[0:1] op_sel_hi:[1,0,1]
	s_wait_loadcnt 0x0
	s_delay_alu instid0(VALU_DEP_2) | instskip(NEXT) | instid1(VALU_DEP_2)
	v_pk_fma_f32 v[4:5], v[14:15], v[28:29], v[4:5] op_sel_hi:[1,0,1]
	v_pk_fma_f32 v[0:1], v[26:27], v[28:29], v[0:1] op_sel_hi:[1,0,1]
	s_and_not1_b32 exec_lo, exec_lo, s2
	s_cbranch_execnz .LBB12_15
; %bb.16:
	s_or_b32 exec_lo, exec_lo, s2
.LBB12_17:
	s_delay_alu instid0(SALU_CYCLE_1)
	s_or_b32 exec_lo, exec_lo, s3
.LBB12_18:
	v_mbcnt_lo_u32_b32 v10, -1, 0
	s_mov_b32 s2, -1
	s_delay_alu instid0(VALU_DEP_1) | instskip(SKIP_1) | instid1(VALU_DEP_1)
	v_xor_b32_e32 v11, 4, v10
	v_xor_b32_e32 v6, 8, v10
	v_cmp_gt_i32_e32 vcc_lo, 32, v6
	v_cndmask_b32_e32 v6, v10, v6, vcc_lo
	s_delay_alu instid0(VALU_DEP_4) | instskip(SKIP_1) | instid1(VALU_DEP_1)
	v_cmp_gt_i32_e32 vcc_lo, 32, v11
	v_cndmask_b32_e32 v11, v10, v11, vcc_lo
	v_dual_lshlrev_b32 v11, 2, v11 :: v_dual_lshlrev_b32 v9, 2, v6
	ds_bpermute_b32 v6, v9, v4
	ds_bpermute_b32 v7, v9, v5
	;; [unrolled: 1-line block ×4, first 2 shown]
	s_wait_dscnt 0x2
	v_pk_add_f32 v[4:5], v[4:5], v[6:7]
	s_wait_dscnt 0x0
	v_pk_add_f32 v[0:1], v[0:1], v[8:9]
	ds_bpermute_b32 v6, v11, v4
	ds_bpermute_b32 v7, v11, v5
	;; [unrolled: 1-line block ×4, first 2 shown]
	v_xor_b32_e32 v11, 2, v10
	s_delay_alu instid0(VALU_DEP_1) | instskip(SKIP_1) | instid1(VALU_DEP_1)
	v_cmp_gt_i32_e32 vcc_lo, 32, v11
	v_cndmask_b32_e32 v11, v10, v11, vcc_lo
	v_lshlrev_b32_e32 v11, 2, v11
	s_wait_dscnt 0x2
	v_pk_add_f32 v[4:5], v[4:5], v[6:7]
	s_wait_dscnt 0x0
	v_pk_add_f32 v[6:7], v[0:1], v[8:9]
	ds_bpermute_b32 v0, v11, v4
	ds_bpermute_b32 v1, v11, v5
	;; [unrolled: 1-line block ×4, first 2 shown]
	v_xor_b32_e32 v11, 1, v10
	s_delay_alu instid0(VALU_DEP_1) | instskip(SKIP_2) | instid1(VALU_DEP_2)
	v_cmp_gt_i32_e32 vcc_lo, 32, v11
	v_cndmask_b32_e32 v10, v10, v11, vcc_lo
	v_cmp_eq_u32_e32 vcc_lo, 15, v3
	v_lshlrev_b32_e32 v10, 2, v10
	s_wait_dscnt 0x2
	v_pk_add_f32 v[0:1], v[4:5], v[0:1]
	s_wait_dscnt 0x0
	v_pk_add_f32 v[6:7], v[6:7], v[8:9]
	ds_bpermute_b32 v4, v10, v0
	ds_bpermute_b32 v5, v10, v1
	;; [unrolled: 1-line block ×4, first 2 shown]
	s_and_b32 exec_lo, exec_lo, vcc_lo
	s_cbranch_execz .LBB12_23
; %bb.19:
	s_load_b64 s[0:1], s[0:1], 0x38
	s_wait_dscnt 0x2
	v_pk_add_f32 v[4:5], v[0:1], v[4:5]
	s_wait_dscnt 0x0
	v_pk_add_f32 v[0:1], v[6:7], v[8:9]
	v_lshlrev_b32_e32 v2, 2, v2
	s_cmp_eq_f32 s12, 0
	s_cbranch_scc0 .LBB12_21
; %bb.20:
	s_delay_alu instid0(VALU_DEP_1)
	v_ashrrev_i32_e32 v3, 31, v2
	v_pk_mul_f32 v[6:7], s[14:15], v[4:5] op_sel_hi:[0,1]
	v_pk_mul_f32 v[8:9], s[14:15], v[0:1] op_sel_hi:[0,1]
	s_mov_b32 s2, 0
	s_wait_kmcnt 0x0
	v_lshl_add_u64 v[10:11], v[2:3], 2, s[0:1]
	global_store_b128 v[10:11], v[6:9], off
.LBB12_21:
	s_and_not1_b32 vcc_lo, exec_lo, s2
	s_cbranch_vccnz .LBB12_23
; %bb.22:
	v_ashrrev_i32_e32 v3, 31, v2
	s_wait_kmcnt 0x0
	s_delay_alu instid0(VALU_DEP_1)
	v_lshl_add_u64 v[10:11], v[2:3], 2, s[0:1]
	v_pk_mul_f32 v[2:3], s[14:15], v[4:5] op_sel_hi:[0,1]
	v_pk_mul_f32 v[4:5], s[14:15], v[0:1] op_sel_hi:[0,1]
	global_load_b128 v[6:9], v[10:11], off
	s_wait_loadcnt 0x0
	v_pk_fma_f32 v[0:1], s[12:13], v[6:7], v[2:3] op_sel_hi:[0,1,1]
	v_pk_fma_f32 v[2:3], s[12:13], v[8:9], v[4:5] op_sel_hi:[0,1,1]
	global_store_b128 v[10:11], v[0:3], off
.LBB12_23:
	s_endpgm
	.section	.rodata,"a",@progbits
	.p2align	6, 0x0
	.amdhsa_kernel _ZN9rocsparseL19gebsrmvn_4xn_kernelILj128ELj3ELj16EfEEvi20rocsparse_direction_NS_24const_host_device_scalarIT2_EEPKiS6_PKS3_S8_S4_PS3_21rocsparse_index_base_b
		.amdhsa_group_segment_fixed_size 0
		.amdhsa_private_segment_fixed_size 0
		.amdhsa_kernarg_size 72
		.amdhsa_user_sgpr_count 2
		.amdhsa_user_sgpr_dispatch_ptr 0
		.amdhsa_user_sgpr_queue_ptr 0
		.amdhsa_user_sgpr_kernarg_segment_ptr 1
		.amdhsa_user_sgpr_dispatch_id 0
		.amdhsa_user_sgpr_kernarg_preload_length 0
		.amdhsa_user_sgpr_kernarg_preload_offset 0
		.amdhsa_user_sgpr_private_segment_size 0
		.amdhsa_wavefront_size32 1
		.amdhsa_uses_dynamic_stack 0
		.amdhsa_enable_private_segment 0
		.amdhsa_system_sgpr_workgroup_id_x 1
		.amdhsa_system_sgpr_workgroup_id_y 0
		.amdhsa_system_sgpr_workgroup_id_z 0
		.amdhsa_system_sgpr_workgroup_info 0
		.amdhsa_system_vgpr_workitem_id 0
		.amdhsa_next_free_vgpr 32
		.amdhsa_next_free_sgpr 18
		.amdhsa_named_barrier_count 0
		.amdhsa_reserve_vcc 1
		.amdhsa_float_round_mode_32 0
		.amdhsa_float_round_mode_16_64 0
		.amdhsa_float_denorm_mode_32 3
		.amdhsa_float_denorm_mode_16_64 3
		.amdhsa_fp16_overflow 0
		.amdhsa_memory_ordered 1
		.amdhsa_forward_progress 1
		.amdhsa_inst_pref_size 13
		.amdhsa_round_robin_scheduling 0
		.amdhsa_exception_fp_ieee_invalid_op 0
		.amdhsa_exception_fp_denorm_src 0
		.amdhsa_exception_fp_ieee_div_zero 0
		.amdhsa_exception_fp_ieee_overflow 0
		.amdhsa_exception_fp_ieee_underflow 0
		.amdhsa_exception_fp_ieee_inexact 0
		.amdhsa_exception_int_div_zero 0
	.end_amdhsa_kernel
	.section	.text._ZN9rocsparseL19gebsrmvn_4xn_kernelILj128ELj3ELj16EfEEvi20rocsparse_direction_NS_24const_host_device_scalarIT2_EEPKiS6_PKS3_S8_S4_PS3_21rocsparse_index_base_b,"axG",@progbits,_ZN9rocsparseL19gebsrmvn_4xn_kernelILj128ELj3ELj16EfEEvi20rocsparse_direction_NS_24const_host_device_scalarIT2_EEPKiS6_PKS3_S8_S4_PS3_21rocsparse_index_base_b,comdat
.Lfunc_end12:
	.size	_ZN9rocsparseL19gebsrmvn_4xn_kernelILj128ELj3ELj16EfEEvi20rocsparse_direction_NS_24const_host_device_scalarIT2_EEPKiS6_PKS3_S8_S4_PS3_21rocsparse_index_base_b, .Lfunc_end12-_ZN9rocsparseL19gebsrmvn_4xn_kernelILj128ELj3ELj16EfEEvi20rocsparse_direction_NS_24const_host_device_scalarIT2_EEPKiS6_PKS3_S8_S4_PS3_21rocsparse_index_base_b
                                        ; -- End function
	.set _ZN9rocsparseL19gebsrmvn_4xn_kernelILj128ELj3ELj16EfEEvi20rocsparse_direction_NS_24const_host_device_scalarIT2_EEPKiS6_PKS3_S8_S4_PS3_21rocsparse_index_base_b.num_vgpr, 32
	.set _ZN9rocsparseL19gebsrmvn_4xn_kernelILj128ELj3ELj16EfEEvi20rocsparse_direction_NS_24const_host_device_scalarIT2_EEPKiS6_PKS3_S8_S4_PS3_21rocsparse_index_base_b.num_agpr, 0
	.set _ZN9rocsparseL19gebsrmvn_4xn_kernelILj128ELj3ELj16EfEEvi20rocsparse_direction_NS_24const_host_device_scalarIT2_EEPKiS6_PKS3_S8_S4_PS3_21rocsparse_index_base_b.numbered_sgpr, 18
	.set _ZN9rocsparseL19gebsrmvn_4xn_kernelILj128ELj3ELj16EfEEvi20rocsparse_direction_NS_24const_host_device_scalarIT2_EEPKiS6_PKS3_S8_S4_PS3_21rocsparse_index_base_b.num_named_barrier, 0
	.set _ZN9rocsparseL19gebsrmvn_4xn_kernelILj128ELj3ELj16EfEEvi20rocsparse_direction_NS_24const_host_device_scalarIT2_EEPKiS6_PKS3_S8_S4_PS3_21rocsparse_index_base_b.private_seg_size, 0
	.set _ZN9rocsparseL19gebsrmvn_4xn_kernelILj128ELj3ELj16EfEEvi20rocsparse_direction_NS_24const_host_device_scalarIT2_EEPKiS6_PKS3_S8_S4_PS3_21rocsparse_index_base_b.uses_vcc, 1
	.set _ZN9rocsparseL19gebsrmvn_4xn_kernelILj128ELj3ELj16EfEEvi20rocsparse_direction_NS_24const_host_device_scalarIT2_EEPKiS6_PKS3_S8_S4_PS3_21rocsparse_index_base_b.uses_flat_scratch, 0
	.set _ZN9rocsparseL19gebsrmvn_4xn_kernelILj128ELj3ELj16EfEEvi20rocsparse_direction_NS_24const_host_device_scalarIT2_EEPKiS6_PKS3_S8_S4_PS3_21rocsparse_index_base_b.has_dyn_sized_stack, 0
	.set _ZN9rocsparseL19gebsrmvn_4xn_kernelILj128ELj3ELj16EfEEvi20rocsparse_direction_NS_24const_host_device_scalarIT2_EEPKiS6_PKS3_S8_S4_PS3_21rocsparse_index_base_b.has_recursion, 0
	.set _ZN9rocsparseL19gebsrmvn_4xn_kernelILj128ELj3ELj16EfEEvi20rocsparse_direction_NS_24const_host_device_scalarIT2_EEPKiS6_PKS3_S8_S4_PS3_21rocsparse_index_base_b.has_indirect_call, 0
	.section	.AMDGPU.csdata,"",@progbits
; Kernel info:
; codeLenInByte = 1580
; TotalNumSgprs: 20
; NumVgprs: 32
; ScratchSize: 0
; MemoryBound: 0
; FloatMode: 240
; IeeeMode: 1
; LDSByteSize: 0 bytes/workgroup (compile time only)
; SGPRBlocks: 0
; VGPRBlocks: 1
; NumSGPRsForWavesPerEU: 20
; NumVGPRsForWavesPerEU: 32
; NamedBarCnt: 0
; Occupancy: 16
; WaveLimiterHint : 1
; COMPUTE_PGM_RSRC2:SCRATCH_EN: 0
; COMPUTE_PGM_RSRC2:USER_SGPR: 2
; COMPUTE_PGM_RSRC2:TRAP_HANDLER: 0
; COMPUTE_PGM_RSRC2:TGID_X_EN: 1
; COMPUTE_PGM_RSRC2:TGID_Y_EN: 0
; COMPUTE_PGM_RSRC2:TGID_Z_EN: 0
; COMPUTE_PGM_RSRC2:TIDIG_COMP_CNT: 0
	.section	.text._ZN9rocsparseL19gebsrmvn_4xn_kernelILj128ELj3ELj32EfEEvi20rocsparse_direction_NS_24const_host_device_scalarIT2_EEPKiS6_PKS3_S8_S4_PS3_21rocsparse_index_base_b,"axG",@progbits,_ZN9rocsparseL19gebsrmvn_4xn_kernelILj128ELj3ELj32EfEEvi20rocsparse_direction_NS_24const_host_device_scalarIT2_EEPKiS6_PKS3_S8_S4_PS3_21rocsparse_index_base_b,comdat
	.globl	_ZN9rocsparseL19gebsrmvn_4xn_kernelILj128ELj3ELj32EfEEvi20rocsparse_direction_NS_24const_host_device_scalarIT2_EEPKiS6_PKS3_S8_S4_PS3_21rocsparse_index_base_b ; -- Begin function _ZN9rocsparseL19gebsrmvn_4xn_kernelILj128ELj3ELj32EfEEvi20rocsparse_direction_NS_24const_host_device_scalarIT2_EEPKiS6_PKS3_S8_S4_PS3_21rocsparse_index_base_b
	.p2align	8
	.type	_ZN9rocsparseL19gebsrmvn_4xn_kernelILj128ELj3ELj32EfEEvi20rocsparse_direction_NS_24const_host_device_scalarIT2_EEPKiS6_PKS3_S8_S4_PS3_21rocsparse_index_base_b,@function
_ZN9rocsparseL19gebsrmvn_4xn_kernelILj128ELj3ELj32EfEEvi20rocsparse_direction_NS_24const_host_device_scalarIT2_EEPKiS6_PKS3_S8_S4_PS3_21rocsparse_index_base_b: ; @_ZN9rocsparseL19gebsrmvn_4xn_kernelILj128ELj3ELj32EfEEvi20rocsparse_direction_NS_24const_host_device_scalarIT2_EEPKiS6_PKS3_S8_S4_PS3_21rocsparse_index_base_b
; %bb.0:
	s_clause 0x2
	s_load_b64 s[16:17], s[0:1], 0x40
	s_load_b64 s[14:15], s[0:1], 0x8
	s_load_b64 s[12:13], s[0:1], 0x30
	s_wait_kmcnt 0x0
	s_bitcmp1_b32 s17, 0
	s_cselect_b32 s2, -1, 0
	s_delay_alu instid0(SALU_CYCLE_1)
	s_and_b32 vcc_lo, exec_lo, s2
	s_xor_b32 s2, s2, -1
	s_cbranch_vccnz .LBB13_2
; %bb.1:
	s_load_b32 s14, s[14:15], 0x0
.LBB13_2:
	s_and_not1_b32 vcc_lo, exec_lo, s2
	s_cbranch_vccnz .LBB13_4
; %bb.3:
	s_load_b32 s12, s[12:13], 0x0
.LBB13_4:
	s_wait_kmcnt 0x0
	s_cmp_eq_f32 s14, 0
	s_cselect_b32 s2, -1, 0
	s_cmp_eq_f32 s12, 1.0
	s_cselect_b32 s3, -1, 0
	s_delay_alu instid0(SALU_CYCLE_1) | instskip(NEXT) | instid1(SALU_CYCLE_1)
	s_and_b32 s2, s2, s3
	s_and_b32 vcc_lo, exec_lo, s2
	s_cbranch_vccnz .LBB13_23
; %bb.5:
	s_load_b64 s[2:3], s[0:1], 0x0
	s_bfe_u32 s4, ttmp6, 0x4000c
	s_and_b32 s5, ttmp6, 15
	s_add_co_i32 s4, s4, 1
	s_getreg_b32 s6, hwreg(HW_REG_IB_STS2, 6, 4)
	s_mul_i32 s4, ttmp9, s4
	v_lshrrev_b32_e32 v1, 5, v0
	s_add_co_i32 s5, s5, s4
	s_cmp_eq_u32 s6, 0
	s_cselect_b32 s4, ttmp9, s5
	s_delay_alu instid0(VALU_DEP_1) | instid1(SALU_CYCLE_1)
	v_lshl_or_b32 v2, s4, 2, v1
	s_wait_kmcnt 0x0
	s_delay_alu instid0(VALU_DEP_1)
	v_cmp_gt_i32_e32 vcc_lo, s2, v2
	s_and_saveexec_b32 s2, vcc_lo
	s_cbranch_execz .LBB13_23
; %bb.6:
	s_load_b256 s[4:11], s[0:1], 0x10
	v_ashrrev_i32_e32 v3, 31, v2
	s_cmp_lg_u32 s3, 0
	s_wait_kmcnt 0x0
	s_delay_alu instid0(VALU_DEP_1)
	v_lshl_add_u64 v[4:5], v[2:3], 2, s[4:5]
	v_and_b32_e32 v3, 31, v0
	global_load_b64 v[4:5], v[4:5], off
	s_wait_loadcnt 0x0
	v_subrev_nc_u32_e32 v0, s16, v4
	v_subrev_nc_u32_e32 v8, s16, v5
	s_delay_alu instid0(VALU_DEP_2) | instskip(NEXT) | instid1(VALU_DEP_1)
	v_add_nc_u32_e32 v9, v0, v3
	v_cmp_lt_i32_e64 s2, v9, v8
	s_cbranch_scc0 .LBB13_12
; %bb.7:
	v_mov_b32_e32 v1, 0
	s_delay_alu instid0(VALU_DEP_1)
	v_dual_mov_b32 v0, v1 :: v_dual_mov_b32 v5, v1
	v_mov_b32_e32 v4, v1
	s_and_saveexec_b32 s3, s2
	s_cbranch_execz .LBB13_11
; %bb.8:
	v_mul_lo_u32 v6, v9, 12
	v_dual_mov_b32 v7, 0 :: v_dual_mov_b32 v10, v9
	s_mov_b32 s4, 0
	s_delay_alu instid0(VALU_DEP_1)
	v_dual_mov_b32 v4, v7 :: v_dual_mov_b32 v1, v7
	v_dual_mov_b32 v0, v7 :: v_dual_mov_b32 v5, v7
.LBB13_9:                               ; =>This Inner Loop Header: Depth=1
	global_load_b32 v11, v10, s[6:7] scale_offset
	v_lshl_add_u64 v[12:13], v[6:7], 2, s[8:9]
	v_dual_mov_b32 v17, v7 :: v_dual_add_nc_u32 v16, 4, v6
	v_dual_mov_b32 v19, v7 :: v_dual_add_nc_u32 v18, 8, v6
	global_load_b128 v[12:15], v[12:13], off
	s_wait_xcnt 0x1
	v_add_nc_u32_e32 v10, 32, v10
	v_lshl_add_u64 v[16:17], v[16:17], 2, s[8:9]
	v_add_nc_u32_e32 v6, 0x180, v6
	v_lshl_add_u64 v[26:27], v[18:19], 2, s[8:9]
	s_delay_alu instid0(VALU_DEP_4) | instskip(SKIP_4) | instid1(VALU_DEP_1)
	v_cmp_ge_i32_e32 vcc_lo, v10, v8
	global_load_b128 v[16:19], v[16:17], off
	s_or_b32 s4, vcc_lo, s4
	s_wait_loadcnt 0x2
	v_subrev_nc_u32_e32 v11, s16, v11
	v_lshl_add_u32 v11, v11, 1, v11
	global_load_b32 v24, v11, s[10:11] scale_offset
	s_wait_xcnt 0x0
	v_dual_add_nc_u32 v25, 1, v11 :: v_dual_add_nc_u32 v11, 2, v11
	global_load_b32 v28, v25, s[10:11] scale_offset
	global_load_b128 v[20:23], v[26:27], off
	global_load_b32 v30, v11, s[10:11] scale_offset
	s_wait_loadcnt 0x3
	v_pk_fma_f32 v[4:5], v[12:13], v[24:25], v[4:5] op_sel_hi:[1,0,1]
	v_pk_fma_f32 v[0:1], v[14:15], v[24:25], v[0:1] op_sel_hi:[1,0,1]
	s_wait_loadcnt 0x2
	s_delay_alu instid0(VALU_DEP_2) | instskip(NEXT) | instid1(VALU_DEP_2)
	v_pk_fma_f32 v[4:5], v[16:17], v[28:29], v[4:5] op_sel_hi:[1,0,1]
	v_pk_fma_f32 v[0:1], v[18:19], v[28:29], v[0:1] op_sel_hi:[1,0,1]
	s_wait_loadcnt 0x0
	s_delay_alu instid0(VALU_DEP_2) | instskip(NEXT) | instid1(VALU_DEP_2)
	v_pk_fma_f32 v[4:5], v[20:21], v[30:31], v[4:5] op_sel_hi:[1,0,1]
	v_pk_fma_f32 v[0:1], v[22:23], v[30:31], v[0:1] op_sel_hi:[1,0,1]
	s_and_not1_b32 exec_lo, exec_lo, s4
	s_cbranch_execnz .LBB13_9
; %bb.10:
	s_or_b32 exec_lo, exec_lo, s4
.LBB13_11:
	s_delay_alu instid0(SALU_CYCLE_1)
	s_or_b32 exec_lo, exec_lo, s3
	s_cbranch_execz .LBB13_13
	s_branch .LBB13_18
.LBB13_12:
                                        ; implicit-def: $vgpr1
                                        ; implicit-def: $vgpr5
.LBB13_13:
	v_mov_b32_e32 v1, 0
	s_delay_alu instid0(VALU_DEP_1)
	v_dual_mov_b32 v0, v1 :: v_dual_mov_b32 v5, v1
	v_mov_b32_e32 v4, v1
	s_and_saveexec_b32 s3, s2
	s_cbranch_execz .LBB13_17
; %bb.14:
	v_mad_u32 v10, v9, 12, 11
	v_dual_mov_b32 v7, 0 :: v_dual_mov_b32 v1, 0
	s_mov_b32 s2, 0
	s_delay_alu instid0(VALU_DEP_1)
	v_dual_mov_b32 v4, v7 :: v_dual_mov_b32 v0, v7
	v_mov_b32_e32 v5, v7
.LBB13_15:                              ; =>This Inner Loop Header: Depth=1
	global_load_b32 v11, v9, s[6:7] scale_offset
	v_dual_add_nc_u32 v6, -11, v10 :: v_dual_add_nc_u32 v16, -5, v10
	v_dual_add_nc_u32 v19, -2, v10 :: v_dual_add_nc_u32 v20, -4, v10
	v_add_nc_u32_e32 v22, -1, v10
	s_delay_alu instid0(VALU_DEP_3)
	v_lshl_add_u64 v[12:13], v[6:7], 2, s[8:9]
	v_dual_add_nc_u32 v6, -7, v10 :: v_dual_add_nc_u32 v25, -6, v10
	s_wait_xcnt 0x0
	v_dual_add_nc_u32 v29, -3, v10 :: v_dual_add_nc_u32 v9, 32, v9
	s_clause 0x2
	global_load_b128 v[12:15], v[12:13], off
	global_load_b32 v17, v6, s[8:9] scale_offset
	global_load_b32 v18, v20, s[8:9] scale_offset
	v_cmp_ge_i32_e32 vcc_lo, v9, v8
	s_or_b32 s2, vcc_lo, s2
	s_wait_loadcnt 0x3
	v_subrev_nc_u32_e32 v11, s16, v11
	s_delay_alu instid0(VALU_DEP_1)
	v_lshl_add_u32 v11, v11, 1, v11
	s_clause 0x1
	global_load_b32 v20, v16, s[8:9] scale_offset
	global_load_b32 v21, v19, s[8:9] scale_offset
	;; [unrolled: 1-line block ×4, first 2 shown]
	s_wait_loadcnt 0x6
	v_dual_mov_b32 v23, v15 :: v_dual_add_nc_u32 v16, 1, v11
	s_wait_xcnt 0x0
	v_dual_mov_b32 v22, v12 :: v_dual_add_nc_u32 v11, 2, v11
	global_load_b32 v24, v16, s[10:11] scale_offset
	s_clause 0x2
	global_load_b32 v15, v25, s[8:9] scale_offset
	global_load_b32 v26, v29, s[8:9] scale_offset
	;; [unrolled: 1-line block ×4, first 2 shown]
	s_wait_xcnt 0x4
	v_mov_b32_e32 v16, v13
	s_wait_xcnt 0x1
	v_add_nc_u32_e32 v10, 0x180, v10
	s_wait_loadcnt 0x6
	v_pk_fma_f32 v[4:5], v[22:23], v[6:7], v[4:5] op_sel_hi:[1,0,1]
	v_pk_fma_f32 v[0:1], v[20:21], v[6:7], v[0:1] op_sel_hi:[1,0,1]
	s_wait_loadcnt 0x4
	s_delay_alu instid0(VALU_DEP_2) | instskip(NEXT) | instid1(VALU_DEP_2)
	v_pk_fma_f32 v[4:5], v[16:17], v[24:25], v[4:5] op_sel_hi:[1,0,1]
	v_pk_fma_f32 v[0:1], v[18:19], v[24:25], v[0:1] op_sel_hi:[1,0,1]
	s_wait_loadcnt 0x0
	s_delay_alu instid0(VALU_DEP_2) | instskip(NEXT) | instid1(VALU_DEP_2)
	v_pk_fma_f32 v[4:5], v[14:15], v[28:29], v[4:5] op_sel_hi:[1,0,1]
	v_pk_fma_f32 v[0:1], v[26:27], v[28:29], v[0:1] op_sel_hi:[1,0,1]
	s_and_not1_b32 exec_lo, exec_lo, s2
	s_cbranch_execnz .LBB13_15
; %bb.16:
	s_or_b32 exec_lo, exec_lo, s2
.LBB13_17:
	s_delay_alu instid0(SALU_CYCLE_1)
	s_or_b32 exec_lo, exec_lo, s3
.LBB13_18:
	v_mbcnt_lo_u32_b32 v10, -1, 0
	s_mov_b32 s2, -1
	s_delay_alu instid0(VALU_DEP_1) | instskip(SKIP_1) | instid1(VALU_DEP_1)
	v_xor_b32_e32 v11, 8, v10
	v_xor_b32_e32 v6, 16, v10
	v_cmp_gt_i32_e32 vcc_lo, 32, v6
	v_cndmask_b32_e32 v6, v10, v6, vcc_lo
	s_delay_alu instid0(VALU_DEP_4) | instskip(SKIP_1) | instid1(VALU_DEP_1)
	v_cmp_gt_i32_e32 vcc_lo, 32, v11
	v_cndmask_b32_e32 v11, v10, v11, vcc_lo
	v_dual_lshlrev_b32 v11, 2, v11 :: v_dual_lshlrev_b32 v9, 2, v6
	ds_bpermute_b32 v6, v9, v4
	ds_bpermute_b32 v7, v9, v5
	;; [unrolled: 1-line block ×4, first 2 shown]
	s_wait_dscnt 0x2
	v_pk_add_f32 v[4:5], v[4:5], v[6:7]
	s_wait_dscnt 0x0
	v_pk_add_f32 v[0:1], v[0:1], v[8:9]
	ds_bpermute_b32 v6, v11, v4
	ds_bpermute_b32 v7, v11, v5
	;; [unrolled: 1-line block ×4, first 2 shown]
	v_xor_b32_e32 v11, 4, v10
	s_delay_alu instid0(VALU_DEP_1) | instskip(SKIP_1) | instid1(VALU_DEP_1)
	v_cmp_gt_i32_e32 vcc_lo, 32, v11
	v_cndmask_b32_e32 v11, v10, v11, vcc_lo
	v_lshlrev_b32_e32 v11, 2, v11
	s_wait_dscnt 0x2
	v_pk_add_f32 v[4:5], v[4:5], v[6:7]
	s_wait_dscnt 0x0
	v_pk_add_f32 v[0:1], v[0:1], v[8:9]
	ds_bpermute_b32 v6, v11, v4
	ds_bpermute_b32 v7, v11, v5
	;; [unrolled: 1-line block ×4, first 2 shown]
	v_xor_b32_e32 v11, 2, v10
	s_delay_alu instid0(VALU_DEP_1) | instskip(SKIP_1) | instid1(VALU_DEP_1)
	v_cmp_gt_i32_e32 vcc_lo, 32, v11
	v_cndmask_b32_e32 v11, v10, v11, vcc_lo
	v_lshlrev_b32_e32 v11, 2, v11
	s_wait_dscnt 0x2
	v_pk_add_f32 v[4:5], v[4:5], v[6:7]
	s_wait_dscnt 0x0
	v_pk_add_f32 v[6:7], v[0:1], v[8:9]
	ds_bpermute_b32 v0, v11, v4
	ds_bpermute_b32 v1, v11, v5
	;; [unrolled: 1-line block ×4, first 2 shown]
	v_xor_b32_e32 v11, 1, v10
	s_delay_alu instid0(VALU_DEP_1) | instskip(SKIP_2) | instid1(VALU_DEP_2)
	v_cmp_gt_i32_e32 vcc_lo, 32, v11
	v_cndmask_b32_e32 v10, v10, v11, vcc_lo
	v_cmp_eq_u32_e32 vcc_lo, 31, v3
	v_lshlrev_b32_e32 v10, 2, v10
	s_wait_dscnt 0x2
	v_pk_add_f32 v[0:1], v[4:5], v[0:1]
	s_wait_dscnt 0x0
	v_pk_add_f32 v[6:7], v[6:7], v[8:9]
	ds_bpermute_b32 v4, v10, v0
	ds_bpermute_b32 v5, v10, v1
	;; [unrolled: 1-line block ×4, first 2 shown]
	s_and_b32 exec_lo, exec_lo, vcc_lo
	s_cbranch_execz .LBB13_23
; %bb.19:
	s_load_b64 s[0:1], s[0:1], 0x38
	s_wait_dscnt 0x2
	v_pk_add_f32 v[4:5], v[0:1], v[4:5]
	s_wait_dscnt 0x0
	v_pk_add_f32 v[0:1], v[6:7], v[8:9]
	v_lshlrev_b32_e32 v2, 2, v2
	s_cmp_eq_f32 s12, 0
	s_cbranch_scc0 .LBB13_21
; %bb.20:
	s_delay_alu instid0(VALU_DEP_1)
	v_ashrrev_i32_e32 v3, 31, v2
	v_pk_mul_f32 v[6:7], s[14:15], v[4:5] op_sel_hi:[0,1]
	v_pk_mul_f32 v[8:9], s[14:15], v[0:1] op_sel_hi:[0,1]
	s_mov_b32 s2, 0
	s_wait_kmcnt 0x0
	v_lshl_add_u64 v[10:11], v[2:3], 2, s[0:1]
	global_store_b128 v[10:11], v[6:9], off
.LBB13_21:
	s_and_not1_b32 vcc_lo, exec_lo, s2
	s_cbranch_vccnz .LBB13_23
; %bb.22:
	v_ashrrev_i32_e32 v3, 31, v2
	s_wait_kmcnt 0x0
	s_delay_alu instid0(VALU_DEP_1)
	v_lshl_add_u64 v[10:11], v[2:3], 2, s[0:1]
	v_pk_mul_f32 v[2:3], s[14:15], v[4:5] op_sel_hi:[0,1]
	v_pk_mul_f32 v[4:5], s[14:15], v[0:1] op_sel_hi:[0,1]
	global_load_b128 v[6:9], v[10:11], off
	s_wait_loadcnt 0x0
	v_pk_fma_f32 v[0:1], s[12:13], v[6:7], v[2:3] op_sel_hi:[0,1,1]
	v_pk_fma_f32 v[2:3], s[12:13], v[8:9], v[4:5] op_sel_hi:[0,1,1]
	global_store_b128 v[10:11], v[0:3], off
.LBB13_23:
	s_endpgm
	.section	.rodata,"a",@progbits
	.p2align	6, 0x0
	.amdhsa_kernel _ZN9rocsparseL19gebsrmvn_4xn_kernelILj128ELj3ELj32EfEEvi20rocsparse_direction_NS_24const_host_device_scalarIT2_EEPKiS6_PKS3_S8_S4_PS3_21rocsparse_index_base_b
		.amdhsa_group_segment_fixed_size 0
		.amdhsa_private_segment_fixed_size 0
		.amdhsa_kernarg_size 72
		.amdhsa_user_sgpr_count 2
		.amdhsa_user_sgpr_dispatch_ptr 0
		.amdhsa_user_sgpr_queue_ptr 0
		.amdhsa_user_sgpr_kernarg_segment_ptr 1
		.amdhsa_user_sgpr_dispatch_id 0
		.amdhsa_user_sgpr_kernarg_preload_length 0
		.amdhsa_user_sgpr_kernarg_preload_offset 0
		.amdhsa_user_sgpr_private_segment_size 0
		.amdhsa_wavefront_size32 1
		.amdhsa_uses_dynamic_stack 0
		.amdhsa_enable_private_segment 0
		.amdhsa_system_sgpr_workgroup_id_x 1
		.amdhsa_system_sgpr_workgroup_id_y 0
		.amdhsa_system_sgpr_workgroup_id_z 0
		.amdhsa_system_sgpr_workgroup_info 0
		.amdhsa_system_vgpr_workitem_id 0
		.amdhsa_next_free_vgpr 32
		.amdhsa_next_free_sgpr 18
		.amdhsa_named_barrier_count 0
		.amdhsa_reserve_vcc 1
		.amdhsa_float_round_mode_32 0
		.amdhsa_float_round_mode_16_64 0
		.amdhsa_float_denorm_mode_32 3
		.amdhsa_float_denorm_mode_16_64 3
		.amdhsa_fp16_overflow 0
		.amdhsa_memory_ordered 1
		.amdhsa_forward_progress 1
		.amdhsa_inst_pref_size 13
		.amdhsa_round_robin_scheduling 0
		.amdhsa_exception_fp_ieee_invalid_op 0
		.amdhsa_exception_fp_denorm_src 0
		.amdhsa_exception_fp_ieee_div_zero 0
		.amdhsa_exception_fp_ieee_overflow 0
		.amdhsa_exception_fp_ieee_underflow 0
		.amdhsa_exception_fp_ieee_inexact 0
		.amdhsa_exception_int_div_zero 0
	.end_amdhsa_kernel
	.section	.text._ZN9rocsparseL19gebsrmvn_4xn_kernelILj128ELj3ELj32EfEEvi20rocsparse_direction_NS_24const_host_device_scalarIT2_EEPKiS6_PKS3_S8_S4_PS3_21rocsparse_index_base_b,"axG",@progbits,_ZN9rocsparseL19gebsrmvn_4xn_kernelILj128ELj3ELj32EfEEvi20rocsparse_direction_NS_24const_host_device_scalarIT2_EEPKiS6_PKS3_S8_S4_PS3_21rocsparse_index_base_b,comdat
.Lfunc_end13:
	.size	_ZN9rocsparseL19gebsrmvn_4xn_kernelILj128ELj3ELj32EfEEvi20rocsparse_direction_NS_24const_host_device_scalarIT2_EEPKiS6_PKS3_S8_S4_PS3_21rocsparse_index_base_b, .Lfunc_end13-_ZN9rocsparseL19gebsrmvn_4xn_kernelILj128ELj3ELj32EfEEvi20rocsparse_direction_NS_24const_host_device_scalarIT2_EEPKiS6_PKS3_S8_S4_PS3_21rocsparse_index_base_b
                                        ; -- End function
	.set _ZN9rocsparseL19gebsrmvn_4xn_kernelILj128ELj3ELj32EfEEvi20rocsparse_direction_NS_24const_host_device_scalarIT2_EEPKiS6_PKS3_S8_S4_PS3_21rocsparse_index_base_b.num_vgpr, 32
	.set _ZN9rocsparseL19gebsrmvn_4xn_kernelILj128ELj3ELj32EfEEvi20rocsparse_direction_NS_24const_host_device_scalarIT2_EEPKiS6_PKS3_S8_S4_PS3_21rocsparse_index_base_b.num_agpr, 0
	.set _ZN9rocsparseL19gebsrmvn_4xn_kernelILj128ELj3ELj32EfEEvi20rocsparse_direction_NS_24const_host_device_scalarIT2_EEPKiS6_PKS3_S8_S4_PS3_21rocsparse_index_base_b.numbered_sgpr, 18
	.set _ZN9rocsparseL19gebsrmvn_4xn_kernelILj128ELj3ELj32EfEEvi20rocsparse_direction_NS_24const_host_device_scalarIT2_EEPKiS6_PKS3_S8_S4_PS3_21rocsparse_index_base_b.num_named_barrier, 0
	.set _ZN9rocsparseL19gebsrmvn_4xn_kernelILj128ELj3ELj32EfEEvi20rocsparse_direction_NS_24const_host_device_scalarIT2_EEPKiS6_PKS3_S8_S4_PS3_21rocsparse_index_base_b.private_seg_size, 0
	.set _ZN9rocsparseL19gebsrmvn_4xn_kernelILj128ELj3ELj32EfEEvi20rocsparse_direction_NS_24const_host_device_scalarIT2_EEPKiS6_PKS3_S8_S4_PS3_21rocsparse_index_base_b.uses_vcc, 1
	.set _ZN9rocsparseL19gebsrmvn_4xn_kernelILj128ELj3ELj32EfEEvi20rocsparse_direction_NS_24const_host_device_scalarIT2_EEPKiS6_PKS3_S8_S4_PS3_21rocsparse_index_base_b.uses_flat_scratch, 0
	.set _ZN9rocsparseL19gebsrmvn_4xn_kernelILj128ELj3ELj32EfEEvi20rocsparse_direction_NS_24const_host_device_scalarIT2_EEPKiS6_PKS3_S8_S4_PS3_21rocsparse_index_base_b.has_dyn_sized_stack, 0
	.set _ZN9rocsparseL19gebsrmvn_4xn_kernelILj128ELj3ELj32EfEEvi20rocsparse_direction_NS_24const_host_device_scalarIT2_EEPKiS6_PKS3_S8_S4_PS3_21rocsparse_index_base_b.has_recursion, 0
	.set _ZN9rocsparseL19gebsrmvn_4xn_kernelILj128ELj3ELj32EfEEvi20rocsparse_direction_NS_24const_host_device_scalarIT2_EEPKiS6_PKS3_S8_S4_PS3_21rocsparse_index_base_b.has_indirect_call, 0
	.section	.AMDGPU.csdata,"",@progbits
; Kernel info:
; codeLenInByte = 1664
; TotalNumSgprs: 20
; NumVgprs: 32
; ScratchSize: 0
; MemoryBound: 0
; FloatMode: 240
; IeeeMode: 1
; LDSByteSize: 0 bytes/workgroup (compile time only)
; SGPRBlocks: 0
; VGPRBlocks: 1
; NumSGPRsForWavesPerEU: 20
; NumVGPRsForWavesPerEU: 32
; NamedBarCnt: 0
; Occupancy: 16
; WaveLimiterHint : 1
; COMPUTE_PGM_RSRC2:SCRATCH_EN: 0
; COMPUTE_PGM_RSRC2:USER_SGPR: 2
; COMPUTE_PGM_RSRC2:TRAP_HANDLER: 0
; COMPUTE_PGM_RSRC2:TGID_X_EN: 1
; COMPUTE_PGM_RSRC2:TGID_Y_EN: 0
; COMPUTE_PGM_RSRC2:TGID_Z_EN: 0
; COMPUTE_PGM_RSRC2:TIDIG_COMP_CNT: 0
	.section	.text._ZN9rocsparseL19gebsrmvn_4xn_kernelILj128ELj3ELj64EfEEvi20rocsparse_direction_NS_24const_host_device_scalarIT2_EEPKiS6_PKS3_S8_S4_PS3_21rocsparse_index_base_b,"axG",@progbits,_ZN9rocsparseL19gebsrmvn_4xn_kernelILj128ELj3ELj64EfEEvi20rocsparse_direction_NS_24const_host_device_scalarIT2_EEPKiS6_PKS3_S8_S4_PS3_21rocsparse_index_base_b,comdat
	.globl	_ZN9rocsparseL19gebsrmvn_4xn_kernelILj128ELj3ELj64EfEEvi20rocsparse_direction_NS_24const_host_device_scalarIT2_EEPKiS6_PKS3_S8_S4_PS3_21rocsparse_index_base_b ; -- Begin function _ZN9rocsparseL19gebsrmvn_4xn_kernelILj128ELj3ELj64EfEEvi20rocsparse_direction_NS_24const_host_device_scalarIT2_EEPKiS6_PKS3_S8_S4_PS3_21rocsparse_index_base_b
	.p2align	8
	.type	_ZN9rocsparseL19gebsrmvn_4xn_kernelILj128ELj3ELj64EfEEvi20rocsparse_direction_NS_24const_host_device_scalarIT2_EEPKiS6_PKS3_S8_S4_PS3_21rocsparse_index_base_b,@function
_ZN9rocsparseL19gebsrmvn_4xn_kernelILj128ELj3ELj64EfEEvi20rocsparse_direction_NS_24const_host_device_scalarIT2_EEPKiS6_PKS3_S8_S4_PS3_21rocsparse_index_base_b: ; @_ZN9rocsparseL19gebsrmvn_4xn_kernelILj128ELj3ELj64EfEEvi20rocsparse_direction_NS_24const_host_device_scalarIT2_EEPKiS6_PKS3_S8_S4_PS3_21rocsparse_index_base_b
; %bb.0:
	s_clause 0x2
	s_load_b64 s[16:17], s[0:1], 0x40
	s_load_b64 s[14:15], s[0:1], 0x8
	;; [unrolled: 1-line block ×3, first 2 shown]
	s_wait_kmcnt 0x0
	s_bitcmp1_b32 s17, 0
	s_cselect_b32 s2, -1, 0
	s_delay_alu instid0(SALU_CYCLE_1)
	s_and_b32 vcc_lo, exec_lo, s2
	s_xor_b32 s2, s2, -1
	s_cbranch_vccnz .LBB14_2
; %bb.1:
	s_load_b32 s14, s[14:15], 0x0
.LBB14_2:
	s_and_not1_b32 vcc_lo, exec_lo, s2
	s_cbranch_vccnz .LBB14_4
; %bb.3:
	s_load_b32 s12, s[12:13], 0x0
.LBB14_4:
	s_wait_kmcnt 0x0
	s_cmp_eq_f32 s14, 0
	s_cselect_b32 s2, -1, 0
	s_cmp_eq_f32 s12, 1.0
	s_cselect_b32 s3, -1, 0
	s_delay_alu instid0(SALU_CYCLE_1) | instskip(NEXT) | instid1(SALU_CYCLE_1)
	s_and_b32 s2, s2, s3
	s_and_b32 vcc_lo, exec_lo, s2
	s_cbranch_vccnz .LBB14_23
; %bb.5:
	s_load_b64 s[2:3], s[0:1], 0x0
	s_bfe_u32 s4, ttmp6, 0x4000c
	s_and_b32 s5, ttmp6, 15
	s_add_co_i32 s4, s4, 1
	s_getreg_b32 s6, hwreg(HW_REG_IB_STS2, 6, 4)
	s_mul_i32 s4, ttmp9, s4
	v_lshrrev_b32_e32 v1, 6, v0
	s_add_co_i32 s5, s5, s4
	s_cmp_eq_u32 s6, 0
	s_cselect_b32 s4, ttmp9, s5
	s_delay_alu instid0(VALU_DEP_1) | instid1(SALU_CYCLE_1)
	v_lshl_or_b32 v2, s4, 1, v1
	s_wait_kmcnt 0x0
	s_delay_alu instid0(VALU_DEP_1)
	v_cmp_gt_i32_e32 vcc_lo, s2, v2
	s_and_saveexec_b32 s2, vcc_lo
	s_cbranch_execz .LBB14_23
; %bb.6:
	s_load_b256 s[4:11], s[0:1], 0x10
	v_ashrrev_i32_e32 v3, 31, v2
	s_cmp_lg_u32 s3, 0
	s_wait_kmcnt 0x0
	s_delay_alu instid0(VALU_DEP_1)
	v_lshl_add_u64 v[4:5], v[2:3], 2, s[4:5]
	v_and_b32_e32 v3, 63, v0
	global_load_b64 v[4:5], v[4:5], off
	s_wait_loadcnt 0x0
	v_subrev_nc_u32_e32 v0, s16, v4
	v_subrev_nc_u32_e32 v8, s16, v5
	s_delay_alu instid0(VALU_DEP_2) | instskip(NEXT) | instid1(VALU_DEP_1)
	v_add_nc_u32_e32 v9, v0, v3
	v_cmp_lt_i32_e64 s2, v9, v8
	s_cbranch_scc0 .LBB14_12
; %bb.7:
	v_mov_b32_e32 v1, 0
	s_delay_alu instid0(VALU_DEP_1)
	v_dual_mov_b32 v0, v1 :: v_dual_mov_b32 v5, v1
	v_mov_b32_e32 v4, v1
	s_and_saveexec_b32 s3, s2
	s_cbranch_execz .LBB14_11
; %bb.8:
	v_mul_lo_u32 v6, v9, 12
	v_dual_mov_b32 v7, 0 :: v_dual_mov_b32 v10, v9
	s_mov_b32 s4, 0
	s_delay_alu instid0(VALU_DEP_1)
	v_dual_mov_b32 v0, v7 :: v_dual_mov_b32 v1, v7
	v_dual_mov_b32 v4, v7 :: v_dual_mov_b32 v5, v7
.LBB14_9:                               ; =>This Inner Loop Header: Depth=1
	global_load_b32 v11, v10, s[6:7] scale_offset
	v_lshl_add_u64 v[12:13], v[6:7], 2, s[8:9]
	v_dual_mov_b32 v17, v7 :: v_dual_add_nc_u32 v16, 4, v6
	v_dual_mov_b32 v19, v7 :: v_dual_add_nc_u32 v18, 8, v6
	global_load_b128 v[12:15], v[12:13], off
	s_wait_xcnt 0x1
	v_add_nc_u32_e32 v10, 64, v10
	v_lshl_add_u64 v[16:17], v[16:17], 2, s[8:9]
	v_add_nc_u32_e32 v6, 0x300, v6
	v_lshl_add_u64 v[26:27], v[18:19], 2, s[8:9]
	s_delay_alu instid0(VALU_DEP_4) | instskip(SKIP_4) | instid1(VALU_DEP_1)
	v_cmp_ge_i32_e32 vcc_lo, v10, v8
	global_load_b128 v[16:19], v[16:17], off
	s_or_b32 s4, vcc_lo, s4
	s_wait_loadcnt 0x2
	v_subrev_nc_u32_e32 v11, s16, v11
	v_lshl_add_u32 v11, v11, 1, v11
	global_load_b32 v24, v11, s[10:11] scale_offset
	s_wait_xcnt 0x0
	v_dual_add_nc_u32 v25, 1, v11 :: v_dual_add_nc_u32 v11, 2, v11
	global_load_b32 v28, v25, s[10:11] scale_offset
	global_load_b128 v[20:23], v[26:27], off
	global_load_b32 v30, v11, s[10:11] scale_offset
	s_wait_loadcnt 0x3
	v_pk_fma_f32 v[4:5], v[12:13], v[24:25], v[4:5] op_sel_hi:[1,0,1]
	v_pk_fma_f32 v[0:1], v[14:15], v[24:25], v[0:1] op_sel_hi:[1,0,1]
	s_wait_loadcnt 0x2
	s_delay_alu instid0(VALU_DEP_2) | instskip(NEXT) | instid1(VALU_DEP_2)
	v_pk_fma_f32 v[4:5], v[16:17], v[28:29], v[4:5] op_sel_hi:[1,0,1]
	v_pk_fma_f32 v[0:1], v[18:19], v[28:29], v[0:1] op_sel_hi:[1,0,1]
	s_wait_loadcnt 0x0
	s_delay_alu instid0(VALU_DEP_2) | instskip(NEXT) | instid1(VALU_DEP_2)
	v_pk_fma_f32 v[4:5], v[20:21], v[30:31], v[4:5] op_sel_hi:[1,0,1]
	v_pk_fma_f32 v[0:1], v[22:23], v[30:31], v[0:1] op_sel_hi:[1,0,1]
	s_and_not1_b32 exec_lo, exec_lo, s4
	s_cbranch_execnz .LBB14_9
; %bb.10:
	s_or_b32 exec_lo, exec_lo, s4
.LBB14_11:
	s_delay_alu instid0(SALU_CYCLE_1)
	s_or_b32 exec_lo, exec_lo, s3
	s_cbranch_execz .LBB14_13
	s_branch .LBB14_18
.LBB14_12:
                                        ; implicit-def: $vgpr1
                                        ; implicit-def: $vgpr5
.LBB14_13:
	v_mov_b32_e32 v1, 0
	s_delay_alu instid0(VALU_DEP_1)
	v_dual_mov_b32 v0, v1 :: v_dual_mov_b32 v5, v1
	v_mov_b32_e32 v4, v1
	s_and_saveexec_b32 s3, s2
	s_cbranch_execz .LBB14_17
; %bb.14:
	v_mad_u32 v10, v9, 12, 11
	v_mov_b32_e32 v7, 0
	s_mov_b32 s2, 0
	s_delay_alu instid0(VALU_DEP_1)
	v_dual_mov_b32 v0, v7 :: v_dual_mov_b32 v1, v7
	v_dual_mov_b32 v4, v7 :: v_dual_mov_b32 v5, v7
.LBB14_15:                              ; =>This Inner Loop Header: Depth=1
	global_load_b32 v11, v9, s[6:7] scale_offset
	v_dual_add_nc_u32 v6, -11, v10 :: v_dual_add_nc_u32 v16, -5, v10
	v_dual_add_nc_u32 v19, -2, v10 :: v_dual_add_nc_u32 v20, -4, v10
	v_add_nc_u32_e32 v22, -1, v10
	s_delay_alu instid0(VALU_DEP_3)
	v_lshl_add_u64 v[12:13], v[6:7], 2, s[8:9]
	v_dual_add_nc_u32 v6, -7, v10 :: v_dual_add_nc_u32 v25, -6, v10
	s_wait_xcnt 0x0
	v_dual_add_nc_u32 v29, -3, v10 :: v_dual_add_nc_u32 v9, 64, v9
	s_clause 0x2
	global_load_b128 v[12:15], v[12:13], off
	global_load_b32 v17, v6, s[8:9] scale_offset
	global_load_b32 v18, v20, s[8:9] scale_offset
	v_cmp_ge_i32_e32 vcc_lo, v9, v8
	s_or_b32 s2, vcc_lo, s2
	s_wait_loadcnt 0x3
	v_subrev_nc_u32_e32 v11, s16, v11
	s_delay_alu instid0(VALU_DEP_1)
	v_lshl_add_u32 v11, v11, 1, v11
	s_clause 0x1
	global_load_b32 v20, v16, s[8:9] scale_offset
	global_load_b32 v21, v19, s[8:9] scale_offset
	;; [unrolled: 1-line block ×4, first 2 shown]
	s_wait_loadcnt 0x6
	v_dual_mov_b32 v23, v15 :: v_dual_add_nc_u32 v16, 1, v11
	s_wait_xcnt 0x0
	v_dual_mov_b32 v22, v12 :: v_dual_add_nc_u32 v11, 2, v11
	global_load_b32 v24, v16, s[10:11] scale_offset
	s_clause 0x2
	global_load_b32 v15, v25, s[8:9] scale_offset
	global_load_b32 v26, v29, s[8:9] scale_offset
	;; [unrolled: 1-line block ×4, first 2 shown]
	s_wait_xcnt 0x4
	v_mov_b32_e32 v16, v13
	s_wait_xcnt 0x1
	v_add_nc_u32_e32 v10, 0x300, v10
	s_wait_loadcnt 0x6
	v_pk_fma_f32 v[4:5], v[22:23], v[6:7], v[4:5] op_sel_hi:[1,0,1]
	v_pk_fma_f32 v[0:1], v[20:21], v[6:7], v[0:1] op_sel_hi:[1,0,1]
	s_wait_loadcnt 0x4
	s_delay_alu instid0(VALU_DEP_2) | instskip(NEXT) | instid1(VALU_DEP_2)
	v_pk_fma_f32 v[4:5], v[16:17], v[24:25], v[4:5] op_sel_hi:[1,0,1]
	v_pk_fma_f32 v[0:1], v[18:19], v[24:25], v[0:1] op_sel_hi:[1,0,1]
	s_wait_loadcnt 0x0
	s_delay_alu instid0(VALU_DEP_2) | instskip(NEXT) | instid1(VALU_DEP_2)
	v_pk_fma_f32 v[4:5], v[14:15], v[28:29], v[4:5] op_sel_hi:[1,0,1]
	v_pk_fma_f32 v[0:1], v[26:27], v[28:29], v[0:1] op_sel_hi:[1,0,1]
	s_and_not1_b32 exec_lo, exec_lo, s2
	s_cbranch_execnz .LBB14_15
; %bb.16:
	s_or_b32 exec_lo, exec_lo, s2
.LBB14_17:
	s_delay_alu instid0(SALU_CYCLE_1)
	s_or_b32 exec_lo, exec_lo, s3
.LBB14_18:
	v_mbcnt_lo_u32_b32 v10, -1, 0
	s_mov_b32 s2, -1
	s_delay_alu instid0(VALU_DEP_1) | instskip(SKIP_1) | instid1(VALU_DEP_1)
	v_xor_b32_e32 v11, 16, v10
	v_or_b32_e32 v6, 32, v10
	v_cmp_gt_i32_e32 vcc_lo, 32, v6
	v_cndmask_b32_e32 v6, v10, v6, vcc_lo
	s_delay_alu instid0(VALU_DEP_4) | instskip(SKIP_1) | instid1(VALU_DEP_1)
	v_cmp_gt_i32_e32 vcc_lo, 32, v11
	v_cndmask_b32_e32 v11, v10, v11, vcc_lo
	v_dual_lshlrev_b32 v11, 2, v11 :: v_dual_lshlrev_b32 v9, 2, v6
	ds_bpermute_b32 v6, v9, v4
	ds_bpermute_b32 v7, v9, v5
	;; [unrolled: 1-line block ×4, first 2 shown]
	s_wait_dscnt 0x2
	v_pk_add_f32 v[4:5], v[4:5], v[6:7]
	s_wait_dscnt 0x0
	v_pk_add_f32 v[0:1], v[0:1], v[8:9]
	ds_bpermute_b32 v6, v11, v4
	ds_bpermute_b32 v7, v11, v5
	ds_bpermute_b32 v8, v11, v0
	ds_bpermute_b32 v9, v11, v1
	v_xor_b32_e32 v11, 8, v10
	s_delay_alu instid0(VALU_DEP_1) | instskip(SKIP_1) | instid1(VALU_DEP_1)
	v_cmp_gt_i32_e32 vcc_lo, 32, v11
	v_cndmask_b32_e32 v11, v10, v11, vcc_lo
	v_lshlrev_b32_e32 v11, 2, v11
	s_wait_dscnt 0x2
	v_pk_add_f32 v[4:5], v[4:5], v[6:7]
	s_wait_dscnt 0x0
	v_pk_add_f32 v[0:1], v[0:1], v[8:9]
	ds_bpermute_b32 v6, v11, v4
	ds_bpermute_b32 v7, v11, v5
	ds_bpermute_b32 v8, v11, v0
	ds_bpermute_b32 v9, v11, v1
	v_xor_b32_e32 v11, 4, v10
	s_delay_alu instid0(VALU_DEP_1) | instskip(SKIP_1) | instid1(VALU_DEP_1)
	v_cmp_gt_i32_e32 vcc_lo, 32, v11
	v_cndmask_b32_e32 v11, v10, v11, vcc_lo
	v_lshlrev_b32_e32 v11, 2, v11
	;; [unrolled: 13-line block ×3, first 2 shown]
	s_wait_dscnt 0x2
	v_pk_add_f32 v[4:5], v[4:5], v[6:7]
	s_wait_dscnt 0x0
	v_pk_add_f32 v[6:7], v[0:1], v[8:9]
	ds_bpermute_b32 v0, v11, v4
	ds_bpermute_b32 v1, v11, v5
	;; [unrolled: 1-line block ×4, first 2 shown]
	v_xor_b32_e32 v11, 1, v10
	s_delay_alu instid0(VALU_DEP_1) | instskip(SKIP_2) | instid1(VALU_DEP_2)
	v_cmp_gt_i32_e32 vcc_lo, 32, v11
	v_cndmask_b32_e32 v10, v10, v11, vcc_lo
	v_cmp_eq_u32_e32 vcc_lo, 63, v3
	v_lshlrev_b32_e32 v10, 2, v10
	s_wait_dscnt 0x2
	v_pk_add_f32 v[0:1], v[4:5], v[0:1]
	s_wait_dscnt 0x0
	v_pk_add_f32 v[6:7], v[6:7], v[8:9]
	ds_bpermute_b32 v4, v10, v0
	ds_bpermute_b32 v5, v10, v1
	ds_bpermute_b32 v8, v10, v6
	ds_bpermute_b32 v9, v10, v7
	s_and_b32 exec_lo, exec_lo, vcc_lo
	s_cbranch_execz .LBB14_23
; %bb.19:
	s_load_b64 s[0:1], s[0:1], 0x38
	s_wait_dscnt 0x2
	v_pk_add_f32 v[4:5], v[0:1], v[4:5]
	s_wait_dscnt 0x0
	v_pk_add_f32 v[0:1], v[6:7], v[8:9]
	v_lshlrev_b32_e32 v2, 2, v2
	s_cmp_eq_f32 s12, 0
	s_cbranch_scc0 .LBB14_21
; %bb.20:
	s_delay_alu instid0(VALU_DEP_1)
	v_ashrrev_i32_e32 v3, 31, v2
	v_pk_mul_f32 v[6:7], s[14:15], v[4:5] op_sel_hi:[0,1]
	v_pk_mul_f32 v[8:9], s[14:15], v[0:1] op_sel_hi:[0,1]
	s_mov_b32 s2, 0
	s_wait_kmcnt 0x0
	v_lshl_add_u64 v[10:11], v[2:3], 2, s[0:1]
	global_store_b128 v[10:11], v[6:9], off
.LBB14_21:
	s_and_not1_b32 vcc_lo, exec_lo, s2
	s_cbranch_vccnz .LBB14_23
; %bb.22:
	v_ashrrev_i32_e32 v3, 31, v2
	s_wait_kmcnt 0x0
	s_delay_alu instid0(VALU_DEP_1)
	v_lshl_add_u64 v[10:11], v[2:3], 2, s[0:1]
	v_pk_mul_f32 v[2:3], s[14:15], v[4:5] op_sel_hi:[0,1]
	v_pk_mul_f32 v[4:5], s[14:15], v[0:1] op_sel_hi:[0,1]
	global_load_b128 v[6:9], v[10:11], off
	s_wait_loadcnt 0x0
	v_pk_fma_f32 v[0:1], s[12:13], v[6:7], v[2:3] op_sel_hi:[0,1,1]
	v_pk_fma_f32 v[2:3], s[12:13], v[8:9], v[4:5] op_sel_hi:[0,1,1]
	global_store_b128 v[10:11], v[0:3], off
.LBB14_23:
	s_endpgm
	.section	.rodata,"a",@progbits
	.p2align	6, 0x0
	.amdhsa_kernel _ZN9rocsparseL19gebsrmvn_4xn_kernelILj128ELj3ELj64EfEEvi20rocsparse_direction_NS_24const_host_device_scalarIT2_EEPKiS6_PKS3_S8_S4_PS3_21rocsparse_index_base_b
		.amdhsa_group_segment_fixed_size 0
		.amdhsa_private_segment_fixed_size 0
		.amdhsa_kernarg_size 72
		.amdhsa_user_sgpr_count 2
		.amdhsa_user_sgpr_dispatch_ptr 0
		.amdhsa_user_sgpr_queue_ptr 0
		.amdhsa_user_sgpr_kernarg_segment_ptr 1
		.amdhsa_user_sgpr_dispatch_id 0
		.amdhsa_user_sgpr_kernarg_preload_length 0
		.amdhsa_user_sgpr_kernarg_preload_offset 0
		.amdhsa_user_sgpr_private_segment_size 0
		.amdhsa_wavefront_size32 1
		.amdhsa_uses_dynamic_stack 0
		.amdhsa_enable_private_segment 0
		.amdhsa_system_sgpr_workgroup_id_x 1
		.amdhsa_system_sgpr_workgroup_id_y 0
		.amdhsa_system_sgpr_workgroup_id_z 0
		.amdhsa_system_sgpr_workgroup_info 0
		.amdhsa_system_vgpr_workitem_id 0
		.amdhsa_next_free_vgpr 32
		.amdhsa_next_free_sgpr 18
		.amdhsa_named_barrier_count 0
		.amdhsa_reserve_vcc 1
		.amdhsa_float_round_mode_32 0
		.amdhsa_float_round_mode_16_64 0
		.amdhsa_float_denorm_mode_32 3
		.amdhsa_float_denorm_mode_16_64 3
		.amdhsa_fp16_overflow 0
		.amdhsa_memory_ordered 1
		.amdhsa_forward_progress 1
		.amdhsa_inst_pref_size 14
		.amdhsa_round_robin_scheduling 0
		.amdhsa_exception_fp_ieee_invalid_op 0
		.amdhsa_exception_fp_denorm_src 0
		.amdhsa_exception_fp_ieee_div_zero 0
		.amdhsa_exception_fp_ieee_overflow 0
		.amdhsa_exception_fp_ieee_underflow 0
		.amdhsa_exception_fp_ieee_inexact 0
		.amdhsa_exception_int_div_zero 0
	.end_amdhsa_kernel
	.section	.text._ZN9rocsparseL19gebsrmvn_4xn_kernelILj128ELj3ELj64EfEEvi20rocsparse_direction_NS_24const_host_device_scalarIT2_EEPKiS6_PKS3_S8_S4_PS3_21rocsparse_index_base_b,"axG",@progbits,_ZN9rocsparseL19gebsrmvn_4xn_kernelILj128ELj3ELj64EfEEvi20rocsparse_direction_NS_24const_host_device_scalarIT2_EEPKiS6_PKS3_S8_S4_PS3_21rocsparse_index_base_b,comdat
.Lfunc_end14:
	.size	_ZN9rocsparseL19gebsrmvn_4xn_kernelILj128ELj3ELj64EfEEvi20rocsparse_direction_NS_24const_host_device_scalarIT2_EEPKiS6_PKS3_S8_S4_PS3_21rocsparse_index_base_b, .Lfunc_end14-_ZN9rocsparseL19gebsrmvn_4xn_kernelILj128ELj3ELj64EfEEvi20rocsparse_direction_NS_24const_host_device_scalarIT2_EEPKiS6_PKS3_S8_S4_PS3_21rocsparse_index_base_b
                                        ; -- End function
	.set _ZN9rocsparseL19gebsrmvn_4xn_kernelILj128ELj3ELj64EfEEvi20rocsparse_direction_NS_24const_host_device_scalarIT2_EEPKiS6_PKS3_S8_S4_PS3_21rocsparse_index_base_b.num_vgpr, 32
	.set _ZN9rocsparseL19gebsrmvn_4xn_kernelILj128ELj3ELj64EfEEvi20rocsparse_direction_NS_24const_host_device_scalarIT2_EEPKiS6_PKS3_S8_S4_PS3_21rocsparse_index_base_b.num_agpr, 0
	.set _ZN9rocsparseL19gebsrmvn_4xn_kernelILj128ELj3ELj64EfEEvi20rocsparse_direction_NS_24const_host_device_scalarIT2_EEPKiS6_PKS3_S8_S4_PS3_21rocsparse_index_base_b.numbered_sgpr, 18
	.set _ZN9rocsparseL19gebsrmvn_4xn_kernelILj128ELj3ELj64EfEEvi20rocsparse_direction_NS_24const_host_device_scalarIT2_EEPKiS6_PKS3_S8_S4_PS3_21rocsparse_index_base_b.num_named_barrier, 0
	.set _ZN9rocsparseL19gebsrmvn_4xn_kernelILj128ELj3ELj64EfEEvi20rocsparse_direction_NS_24const_host_device_scalarIT2_EEPKiS6_PKS3_S8_S4_PS3_21rocsparse_index_base_b.private_seg_size, 0
	.set _ZN9rocsparseL19gebsrmvn_4xn_kernelILj128ELj3ELj64EfEEvi20rocsparse_direction_NS_24const_host_device_scalarIT2_EEPKiS6_PKS3_S8_S4_PS3_21rocsparse_index_base_b.uses_vcc, 1
	.set _ZN9rocsparseL19gebsrmvn_4xn_kernelILj128ELj3ELj64EfEEvi20rocsparse_direction_NS_24const_host_device_scalarIT2_EEPKiS6_PKS3_S8_S4_PS3_21rocsparse_index_base_b.uses_flat_scratch, 0
	.set _ZN9rocsparseL19gebsrmvn_4xn_kernelILj128ELj3ELj64EfEEvi20rocsparse_direction_NS_24const_host_device_scalarIT2_EEPKiS6_PKS3_S8_S4_PS3_21rocsparse_index_base_b.has_dyn_sized_stack, 0
	.set _ZN9rocsparseL19gebsrmvn_4xn_kernelILj128ELj3ELj64EfEEvi20rocsparse_direction_NS_24const_host_device_scalarIT2_EEPKiS6_PKS3_S8_S4_PS3_21rocsparse_index_base_b.has_recursion, 0
	.set _ZN9rocsparseL19gebsrmvn_4xn_kernelILj128ELj3ELj64EfEEvi20rocsparse_direction_NS_24const_host_device_scalarIT2_EEPKiS6_PKS3_S8_S4_PS3_21rocsparse_index_base_b.has_indirect_call, 0
	.section	.AMDGPU.csdata,"",@progbits
; Kernel info:
; codeLenInByte = 1732
; TotalNumSgprs: 20
; NumVgprs: 32
; ScratchSize: 0
; MemoryBound: 0
; FloatMode: 240
; IeeeMode: 1
; LDSByteSize: 0 bytes/workgroup (compile time only)
; SGPRBlocks: 0
; VGPRBlocks: 1
; NumSGPRsForWavesPerEU: 20
; NumVGPRsForWavesPerEU: 32
; NamedBarCnt: 0
; Occupancy: 16
; WaveLimiterHint : 1
; COMPUTE_PGM_RSRC2:SCRATCH_EN: 0
; COMPUTE_PGM_RSRC2:USER_SGPR: 2
; COMPUTE_PGM_RSRC2:TRAP_HANDLER: 0
; COMPUTE_PGM_RSRC2:TGID_X_EN: 1
; COMPUTE_PGM_RSRC2:TGID_Y_EN: 0
; COMPUTE_PGM_RSRC2:TGID_Z_EN: 0
; COMPUTE_PGM_RSRC2:TIDIG_COMP_CNT: 0
	.section	.text._ZN9rocsparseL19gebsrmvn_4xn_kernelILj128ELj5ELj4EfEEvi20rocsparse_direction_NS_24const_host_device_scalarIT2_EEPKiS6_PKS3_S8_S4_PS3_21rocsparse_index_base_b,"axG",@progbits,_ZN9rocsparseL19gebsrmvn_4xn_kernelILj128ELj5ELj4EfEEvi20rocsparse_direction_NS_24const_host_device_scalarIT2_EEPKiS6_PKS3_S8_S4_PS3_21rocsparse_index_base_b,comdat
	.globl	_ZN9rocsparseL19gebsrmvn_4xn_kernelILj128ELj5ELj4EfEEvi20rocsparse_direction_NS_24const_host_device_scalarIT2_EEPKiS6_PKS3_S8_S4_PS3_21rocsparse_index_base_b ; -- Begin function _ZN9rocsparseL19gebsrmvn_4xn_kernelILj128ELj5ELj4EfEEvi20rocsparse_direction_NS_24const_host_device_scalarIT2_EEPKiS6_PKS3_S8_S4_PS3_21rocsparse_index_base_b
	.p2align	8
	.type	_ZN9rocsparseL19gebsrmvn_4xn_kernelILj128ELj5ELj4EfEEvi20rocsparse_direction_NS_24const_host_device_scalarIT2_EEPKiS6_PKS3_S8_S4_PS3_21rocsparse_index_base_b,@function
_ZN9rocsparseL19gebsrmvn_4xn_kernelILj128ELj5ELj4EfEEvi20rocsparse_direction_NS_24const_host_device_scalarIT2_EEPKiS6_PKS3_S8_S4_PS3_21rocsparse_index_base_b: ; @_ZN9rocsparseL19gebsrmvn_4xn_kernelILj128ELj5ELj4EfEEvi20rocsparse_direction_NS_24const_host_device_scalarIT2_EEPKiS6_PKS3_S8_S4_PS3_21rocsparse_index_base_b
; %bb.0:
	s_clause 0x2
	s_load_b64 s[16:17], s[0:1], 0x40
	s_load_b64 s[14:15], s[0:1], 0x8
	;; [unrolled: 1-line block ×3, first 2 shown]
	s_wait_kmcnt 0x0
	s_bitcmp1_b32 s17, 0
	s_cselect_b32 s2, -1, 0
	s_delay_alu instid0(SALU_CYCLE_1)
	s_and_b32 vcc_lo, exec_lo, s2
	s_xor_b32 s2, s2, -1
	s_cbranch_vccnz .LBB15_2
; %bb.1:
	s_load_b32 s14, s[14:15], 0x0
.LBB15_2:
	s_and_not1_b32 vcc_lo, exec_lo, s2
	s_cbranch_vccnz .LBB15_4
; %bb.3:
	s_load_b32 s12, s[12:13], 0x0
.LBB15_4:
	s_wait_kmcnt 0x0
	s_cmp_eq_f32 s14, 0
	s_cselect_b32 s2, -1, 0
	s_cmp_eq_f32 s12, 1.0
	s_cselect_b32 s3, -1, 0
	s_delay_alu instid0(SALU_CYCLE_1) | instskip(NEXT) | instid1(SALU_CYCLE_1)
	s_and_b32 s2, s2, s3
	s_and_b32 vcc_lo, exec_lo, s2
	s_cbranch_vccnz .LBB15_23
; %bb.5:
	s_load_b64 s[2:3], s[0:1], 0x0
	s_bfe_u32 s4, ttmp6, 0x4000c
	s_and_b32 s5, ttmp6, 15
	s_add_co_i32 s4, s4, 1
	s_getreg_b32 s6, hwreg(HW_REG_IB_STS2, 6, 4)
	s_mul_i32 s4, ttmp9, s4
	v_lshrrev_b32_e32 v1, 2, v0
	s_add_co_i32 s5, s5, s4
	s_cmp_eq_u32 s6, 0
	s_cselect_b32 s4, ttmp9, s5
	s_delay_alu instid0(VALU_DEP_1) | instid1(SALU_CYCLE_1)
	v_lshl_or_b32 v2, s4, 5, v1
	s_wait_kmcnt 0x0
	s_delay_alu instid0(VALU_DEP_1)
	v_cmp_gt_i32_e32 vcc_lo, s2, v2
	s_and_saveexec_b32 s2, vcc_lo
	s_cbranch_execz .LBB15_23
; %bb.6:
	s_load_b256 s[4:11], s[0:1], 0x10
	v_ashrrev_i32_e32 v3, 31, v2
	s_cmp_lg_u32 s3, 0
	s_wait_kmcnt 0x0
	s_delay_alu instid0(VALU_DEP_1)
	v_lshl_add_u64 v[4:5], v[2:3], 2, s[4:5]
	v_and_b32_e32 v3, 3, v0
	global_load_b64 v[4:5], v[4:5], off
	s_wait_loadcnt 0x0
	v_subrev_nc_u32_e32 v0, s16, v4
	v_subrev_nc_u32_e32 v10, s16, v5
	s_delay_alu instid0(VALU_DEP_2) | instskip(NEXT) | instid1(VALU_DEP_1)
	v_add_nc_u32_e32 v11, v0, v3
	v_cmp_lt_i32_e64 s2, v11, v10
	s_cbranch_scc0 .LBB15_12
; %bb.7:
	v_mov_b32_e32 v1, 0
	s_delay_alu instid0(VALU_DEP_1)
	v_dual_mov_b32 v0, v1 :: v_dual_mov_b32 v5, v1
	v_mov_b32_e32 v4, v1
	s_and_saveexec_b32 s3, s2
	s_cbranch_execz .LBB15_11
; %bb.8:
	v_mad_u32 v8, v11, 20, 16
	v_dual_mov_b32 v7, 0 :: v_dual_mov_b32 v12, v11
	s_mov_b32 s4, 0
	s_delay_alu instid0(VALU_DEP_1)
	v_dual_mov_b32 v4, v7 :: v_dual_mov_b32 v5, v7
	v_dual_mov_b32 v0, v7 :: v_dual_mov_b32 v1, v7
.LBB15_9:                               ; =>This Inner Loop Header: Depth=1
	global_load_b32 v13, v12, s[6:7] scale_offset
	v_dual_mov_b32 v9, v7 :: v_dual_add_nc_u32 v6, -16, v8
	s_wait_xcnt 0x0
	v_add_nc_u32_e32 v12, 4, v12
	s_delay_alu instid0(VALU_DEP_2) | instskip(NEXT) | instid1(VALU_DEP_3)
	v_lshl_add_u64 v[22:23], v[6:7], 2, s[8:9]
	v_lshl_add_u64 v[38:39], v[8:9], 2, s[8:9]
	s_delay_alu instid0(VALU_DEP_3) | instskip(SKIP_3) | instid1(VALU_DEP_1)
	v_cmp_ge_i32_e32 vcc_lo, v12, v10
	s_or_b32 s4, vcc_lo, s4
	s_wait_loadcnt 0x0
	v_subrev_nc_u32_e32 v13, s16, v13
	v_lshl_add_u32 v13, v13, 2, v13
	s_delay_alu instid0(VALU_DEP_1) | instskip(NEXT) | instid1(VALU_DEP_1)
	v_dual_add_nc_u32 v6, -12, v8 :: v_dual_add_nc_u32 v28, 1, v13
	v_lshl_add_u64 v[24:25], v[6:7], 2, s[8:9]
	v_dual_add_nc_u32 v6, -8, v8 :: v_dual_add_nc_u32 v29, 2, v13
	s_clause 0x1
	global_load_b128 v[14:17], v[22:23], off
	global_load_b128 v[18:21], v[24:25], off
	global_load_b32 v34, v13, s[10:11] scale_offset
	v_add_nc_u32_e32 v35, 3, v13
	v_lshl_add_u64 v[26:27], v[6:7], 2, s[8:9]
	v_add_nc_u32_e32 v6, -4, v8
	global_load_b32 v36, v28, s[10:11] scale_offset
	global_load_b128 v[22:25], v[26:27], off
	v_add_nc_u32_e32 v9, 4, v13
	s_wait_xcnt 0x0
	v_lshl_add_u64 v[26:27], v[6:7], 2, s[8:9]
	global_load_b32 v6, v29, s[10:11] scale_offset
	v_add_nc_u32_e32 v8, 0x50, v8
	global_load_b128 v[26:29], v[26:27], off
	global_load_b32 v40, v35, s[10:11] scale_offset
	global_load_b128 v[30:33], v[38:39], off
	global_load_b32 v42, v9, s[10:11] scale_offset
	s_wait_loadcnt 0x7
	v_pk_fma_f32 v[4:5], v[14:15], v[34:35], v[4:5] op_sel_hi:[1,0,1]
	v_pk_fma_f32 v[0:1], v[16:17], v[34:35], v[0:1] op_sel_hi:[1,0,1]
	s_wait_loadcnt 0x6
	s_delay_alu instid0(VALU_DEP_2) | instskip(NEXT) | instid1(VALU_DEP_2)
	v_pk_fma_f32 v[4:5], v[18:19], v[36:37], v[4:5] op_sel_hi:[1,0,1]
	v_pk_fma_f32 v[0:1], v[20:21], v[36:37], v[0:1] op_sel_hi:[1,0,1]
	s_wait_loadcnt 0x4
	s_delay_alu instid0(VALU_DEP_2) | instskip(NEXT) | instid1(VALU_DEP_2)
	;; [unrolled: 4-line block ×4, first 2 shown]
	v_pk_fma_f32 v[4:5], v[30:31], v[42:43], v[4:5] op_sel_hi:[1,0,1]
	v_pk_fma_f32 v[0:1], v[32:33], v[42:43], v[0:1] op_sel_hi:[1,0,1]
	s_and_not1_b32 exec_lo, exec_lo, s4
	s_cbranch_execnz .LBB15_9
; %bb.10:
	s_or_b32 exec_lo, exec_lo, s4
.LBB15_11:
	s_delay_alu instid0(SALU_CYCLE_1)
	s_or_b32 exec_lo, exec_lo, s3
	s_cbranch_execz .LBB15_13
	s_branch .LBB15_18
.LBB15_12:
                                        ; implicit-def: $vgpr1
                                        ; implicit-def: $vgpr5
.LBB15_13:
	v_mov_b32_e32 v1, 0
	s_delay_alu instid0(VALU_DEP_1)
	v_dual_mov_b32 v0, v1 :: v_dual_mov_b32 v5, v1
	v_mov_b32_e32 v4, v1
	s_and_saveexec_b32 s3, s2
	s_cbranch_execz .LBB15_17
; %bb.14:
	v_mad_u32 v8, v11, 20, 19
	v_mov_b32_e32 v7, 0
	s_mov_b32 s2, 0
	s_delay_alu instid0(VALU_DEP_1)
	v_dual_mov_b32 v4, v7 :: v_dual_mov_b32 v5, v7
	v_dual_mov_b32 v0, v7 :: v_dual_mov_b32 v1, v7
.LBB15_15:                              ; =>This Inner Loop Header: Depth=1
	global_load_b32 v9, v11, s[6:7] scale_offset
	v_subrev_nc_u32_e32 v6, 19, v8
	v_dual_add_nc_u32 v18, -14, v8 :: v_dual_add_nc_u32 v22, -9, v8
	v_dual_add_nc_u32 v24, -4, v8 :: v_dual_add_nc_u32 v12, -13, v8
	v_dual_add_nc_u32 v13, -8, v8 :: v_dual_add_nc_u32 v14, -3, v8
	s_delay_alu instid0(VALU_DEP_4)
	v_lshl_add_u64 v[16:17], v[6:7], 2, s[8:9]
	v_dual_add_nc_u32 v15, -12, v8 :: v_dual_add_nc_u32 v28, -7, v8
	s_clause 0x5
	global_load_b32 v19, v12, s[8:9] scale_offset
	global_load_b32 v20, v13, s[8:9] scale_offset
	;; [unrolled: 1-line block ×5, first 2 shown]
	global_load_b128 v[12:15], v[16:17], off
	v_dual_add_nc_u32 v29, -2, v8 :: v_dual_add_nc_u32 v31, -11, v8
	v_dual_add_nc_u32 v32, -6, v8 :: v_dual_add_nc_u32 v33, -1, v8
	;; [unrolled: 1-line block ×3, first 2 shown]
	v_add_nc_u32_e32 v11, 4, v11
	s_delay_alu instid0(VALU_DEP_1) | instskip(SKIP_3) | instid1(VALU_DEP_1)
	v_cmp_ge_i32_e32 vcc_lo, v11, v10
	s_or_b32 s2, vcc_lo, s2
	s_wait_loadcnt 0x6
	v_subrev_nc_u32_e32 v6, s16, v9
	v_lshl_add_u32 v9, v6, 2, v6
	s_clause 0x1
	global_load_b32 v16, v22, s[8:9] scale_offset
	global_load_b32 v17, v24, s[8:9] scale_offset
	;; [unrolled: 1-line block ×3, first 2 shown]
	v_dual_add_nc_u32 v41, -5, v8 :: v_dual_add_nc_u32 v18, 1, v9
	s_clause 0x1
	global_load_b32 v26, v28, s[8:9] scale_offset
	global_load_b32 v27, v29, s[8:9] scale_offset
	;; [unrolled: 1-line block ×3, first 2 shown]
	s_clause 0x1
	global_load_b32 v29, v31, s[8:9] scale_offset
	global_load_b32 v30, v32, s[8:9] scale_offset
	s_wait_xcnt 0x2
	v_dual_add_nc_u32 v22, 2, v9 :: v_dual_add_nc_u32 v18, 3, v9
	global_load_b32 v32, v22, s[10:11] scale_offset
	s_clause 0x1
	global_load_b32 v31, v33, s[8:9] scale_offset
	global_load_b32 v34, v35, s[8:9] scale_offset
	s_wait_loadcnt 0xb
	v_dual_mov_b32 v24, v12 :: v_dual_add_nc_u32 v9, 4, v9
	global_load_b32 v36, v18, s[10:11] scale_offset
	s_clause 0x2
	global_load_b32 v35, v37, s[8:9] scale_offset
	global_load_b32 v38, v41, s[8:9] scale_offset
	;; [unrolled: 1-line block ×4, first 2 shown]
	s_wait_xcnt 0x4
	v_dual_mov_b32 v18, v13 :: v_dual_mov_b32 v22, v14
	s_wait_xcnt 0x1
	v_add_nc_u32_e32 v8, 0x50, v8
	s_wait_loadcnt 0xd
	v_pk_fma_f32 v[4:5], v[24:25], v[6:7], v[4:5] op_sel_hi:[1,0,1]
	v_pk_fma_f32 v[0:1], v[16:17], v[6:7], v[0:1] op_sel_hi:[1,0,1]
	s_wait_loadcnt 0x9
	s_delay_alu instid0(VALU_DEP_2) | instskip(NEXT) | instid1(VALU_DEP_2)
	v_pk_fma_f32 v[4:5], v[18:19], v[28:29], v[4:5] op_sel_hi:[1,0,1]
	v_pk_fma_f32 v[0:1], v[20:21], v[28:29], v[0:1] op_sel_hi:[1,0,1]
	v_mov_b32_e32 v28, v15
	s_wait_loadcnt 0x7
	s_delay_alu instid0(VALU_DEP_3) | instskip(NEXT) | instid1(VALU_DEP_3)
	v_pk_fma_f32 v[4:5], v[22:23], v[32:33], v[4:5] op_sel_hi:[1,0,1]
	v_pk_fma_f32 v[0:1], v[26:27], v[32:33], v[0:1] op_sel_hi:[1,0,1]
	s_wait_loadcnt 0x4
	s_delay_alu instid0(VALU_DEP_2) | instskip(NEXT) | instid1(VALU_DEP_2)
	v_pk_fma_f32 v[4:5], v[28:29], v[36:37], v[4:5] op_sel_hi:[1,0,1]
	v_pk_fma_f32 v[0:1], v[30:31], v[36:37], v[0:1] op_sel_hi:[1,0,1]
	s_wait_loadcnt 0x0
	s_delay_alu instid0(VALU_DEP_2) | instskip(NEXT) | instid1(VALU_DEP_2)
	v_pk_fma_f32 v[4:5], v[34:35], v[40:41], v[4:5] op_sel_hi:[1,0,1]
	v_pk_fma_f32 v[0:1], v[38:39], v[40:41], v[0:1] op_sel_hi:[1,0,1]
	s_and_not1_b32 exec_lo, exec_lo, s2
	s_cbranch_execnz .LBB15_15
; %bb.16:
	s_or_b32 exec_lo, exec_lo, s2
.LBB15_17:
	s_delay_alu instid0(SALU_CYCLE_1)
	s_or_b32 exec_lo, exec_lo, s3
.LBB15_18:
	v_mbcnt_lo_u32_b32 v10, -1, 0
	s_mov_b32 s2, -1
	s_delay_alu instid0(VALU_DEP_1) | instskip(SKIP_1) | instid1(VALU_DEP_1)
	v_xor_b32_e32 v11, 1, v10
	v_xor_b32_e32 v6, 2, v10
	v_cmp_gt_i32_e32 vcc_lo, 32, v6
	v_cndmask_b32_e32 v6, v10, v6, vcc_lo
	s_delay_alu instid0(VALU_DEP_4) | instskip(NEXT) | instid1(VALU_DEP_2)
	v_cmp_gt_i32_e32 vcc_lo, 32, v11
	v_dual_cndmask_b32 v10, v10, v11 :: v_dual_lshlrev_b32 v9, 2, v6
	v_cmp_eq_u32_e32 vcc_lo, 3, v3
	ds_bpermute_b32 v6, v9, v4
	ds_bpermute_b32 v7, v9, v5
	;; [unrolled: 1-line block ×4, first 2 shown]
	v_lshlrev_b32_e32 v10, 2, v10
	s_wait_dscnt 0x2
	v_pk_add_f32 v[4:5], v[4:5], v[6:7]
	s_wait_dscnt 0x0
	v_pk_add_f32 v[0:1], v[0:1], v[8:9]
	ds_bpermute_b32 v8, v10, v4
	ds_bpermute_b32 v9, v10, v5
	;; [unrolled: 1-line block ×4, first 2 shown]
	s_and_b32 exec_lo, exec_lo, vcc_lo
	s_cbranch_execz .LBB15_23
; %bb.19:
	s_load_b64 s[0:1], s[0:1], 0x38
	s_wait_dscnt 0x2
	v_pk_add_f32 v[4:5], v[4:5], v[8:9]
	s_wait_dscnt 0x0
	v_pk_add_f32 v[0:1], v[0:1], v[6:7]
	v_lshlrev_b32_e32 v2, 2, v2
	s_cmp_eq_f32 s12, 0
	s_cbranch_scc0 .LBB15_21
; %bb.20:
	s_delay_alu instid0(VALU_DEP_1)
	v_ashrrev_i32_e32 v3, 31, v2
	v_pk_mul_f32 v[6:7], s[14:15], v[4:5] op_sel_hi:[0,1]
	v_pk_mul_f32 v[8:9], s[14:15], v[0:1] op_sel_hi:[0,1]
	s_mov_b32 s2, 0
	s_wait_kmcnt 0x0
	v_lshl_add_u64 v[10:11], v[2:3], 2, s[0:1]
	global_store_b128 v[10:11], v[6:9], off
.LBB15_21:
	s_and_not1_b32 vcc_lo, exec_lo, s2
	s_cbranch_vccnz .LBB15_23
; %bb.22:
	v_ashrrev_i32_e32 v3, 31, v2
	s_wait_kmcnt 0x0
	s_delay_alu instid0(VALU_DEP_1)
	v_lshl_add_u64 v[10:11], v[2:3], 2, s[0:1]
	v_pk_mul_f32 v[2:3], s[14:15], v[4:5] op_sel_hi:[0,1]
	v_pk_mul_f32 v[4:5], s[14:15], v[0:1] op_sel_hi:[0,1]
	global_load_b128 v[6:9], v[10:11], off
	s_wait_loadcnt 0x0
	v_pk_fma_f32 v[0:1], s[12:13], v[6:7], v[2:3] op_sel_hi:[0,1,1]
	v_pk_fma_f32 v[2:3], s[12:13], v[8:9], v[4:5] op_sel_hi:[0,1,1]
	global_store_b128 v[10:11], v[0:3], off
.LBB15_23:
	s_endpgm
	.section	.rodata,"a",@progbits
	.p2align	6, 0x0
	.amdhsa_kernel _ZN9rocsparseL19gebsrmvn_4xn_kernelILj128ELj5ELj4EfEEvi20rocsparse_direction_NS_24const_host_device_scalarIT2_EEPKiS6_PKS3_S8_S4_PS3_21rocsparse_index_base_b
		.amdhsa_group_segment_fixed_size 0
		.amdhsa_private_segment_fixed_size 0
		.amdhsa_kernarg_size 72
		.amdhsa_user_sgpr_count 2
		.amdhsa_user_sgpr_dispatch_ptr 0
		.amdhsa_user_sgpr_queue_ptr 0
		.amdhsa_user_sgpr_kernarg_segment_ptr 1
		.amdhsa_user_sgpr_dispatch_id 0
		.amdhsa_user_sgpr_kernarg_preload_length 0
		.amdhsa_user_sgpr_kernarg_preload_offset 0
		.amdhsa_user_sgpr_private_segment_size 0
		.amdhsa_wavefront_size32 1
		.amdhsa_uses_dynamic_stack 0
		.amdhsa_enable_private_segment 0
		.amdhsa_system_sgpr_workgroup_id_x 1
		.amdhsa_system_sgpr_workgroup_id_y 0
		.amdhsa_system_sgpr_workgroup_id_z 0
		.amdhsa_system_sgpr_workgroup_info 0
		.amdhsa_system_vgpr_workitem_id 0
		.amdhsa_next_free_vgpr 44
		.amdhsa_next_free_sgpr 18
		.amdhsa_named_barrier_count 0
		.amdhsa_reserve_vcc 1
		.amdhsa_float_round_mode_32 0
		.amdhsa_float_round_mode_16_64 0
		.amdhsa_float_denorm_mode_32 3
		.amdhsa_float_denorm_mode_16_64 3
		.amdhsa_fp16_overflow 0
		.amdhsa_memory_ordered 1
		.amdhsa_forward_progress 1
		.amdhsa_inst_pref_size 15
		.amdhsa_round_robin_scheduling 0
		.amdhsa_exception_fp_ieee_invalid_op 0
		.amdhsa_exception_fp_denorm_src 0
		.amdhsa_exception_fp_ieee_div_zero 0
		.amdhsa_exception_fp_ieee_overflow 0
		.amdhsa_exception_fp_ieee_underflow 0
		.amdhsa_exception_fp_ieee_inexact 0
		.amdhsa_exception_int_div_zero 0
	.end_amdhsa_kernel
	.section	.text._ZN9rocsparseL19gebsrmvn_4xn_kernelILj128ELj5ELj4EfEEvi20rocsparse_direction_NS_24const_host_device_scalarIT2_EEPKiS6_PKS3_S8_S4_PS3_21rocsparse_index_base_b,"axG",@progbits,_ZN9rocsparseL19gebsrmvn_4xn_kernelILj128ELj5ELj4EfEEvi20rocsparse_direction_NS_24const_host_device_scalarIT2_EEPKiS6_PKS3_S8_S4_PS3_21rocsparse_index_base_b,comdat
.Lfunc_end15:
	.size	_ZN9rocsparseL19gebsrmvn_4xn_kernelILj128ELj5ELj4EfEEvi20rocsparse_direction_NS_24const_host_device_scalarIT2_EEPKiS6_PKS3_S8_S4_PS3_21rocsparse_index_base_b, .Lfunc_end15-_ZN9rocsparseL19gebsrmvn_4xn_kernelILj128ELj5ELj4EfEEvi20rocsparse_direction_NS_24const_host_device_scalarIT2_EEPKiS6_PKS3_S8_S4_PS3_21rocsparse_index_base_b
                                        ; -- End function
	.set _ZN9rocsparseL19gebsrmvn_4xn_kernelILj128ELj5ELj4EfEEvi20rocsparse_direction_NS_24const_host_device_scalarIT2_EEPKiS6_PKS3_S8_S4_PS3_21rocsparse_index_base_b.num_vgpr, 44
	.set _ZN9rocsparseL19gebsrmvn_4xn_kernelILj128ELj5ELj4EfEEvi20rocsparse_direction_NS_24const_host_device_scalarIT2_EEPKiS6_PKS3_S8_S4_PS3_21rocsparse_index_base_b.num_agpr, 0
	.set _ZN9rocsparseL19gebsrmvn_4xn_kernelILj128ELj5ELj4EfEEvi20rocsparse_direction_NS_24const_host_device_scalarIT2_EEPKiS6_PKS3_S8_S4_PS3_21rocsparse_index_base_b.numbered_sgpr, 18
	.set _ZN9rocsparseL19gebsrmvn_4xn_kernelILj128ELj5ELj4EfEEvi20rocsparse_direction_NS_24const_host_device_scalarIT2_EEPKiS6_PKS3_S8_S4_PS3_21rocsparse_index_base_b.num_named_barrier, 0
	.set _ZN9rocsparseL19gebsrmvn_4xn_kernelILj128ELj5ELj4EfEEvi20rocsparse_direction_NS_24const_host_device_scalarIT2_EEPKiS6_PKS3_S8_S4_PS3_21rocsparse_index_base_b.private_seg_size, 0
	.set _ZN9rocsparseL19gebsrmvn_4xn_kernelILj128ELj5ELj4EfEEvi20rocsparse_direction_NS_24const_host_device_scalarIT2_EEPKiS6_PKS3_S8_S4_PS3_21rocsparse_index_base_b.uses_vcc, 1
	.set _ZN9rocsparseL19gebsrmvn_4xn_kernelILj128ELj5ELj4EfEEvi20rocsparse_direction_NS_24const_host_device_scalarIT2_EEPKiS6_PKS3_S8_S4_PS3_21rocsparse_index_base_b.uses_flat_scratch, 0
	.set _ZN9rocsparseL19gebsrmvn_4xn_kernelILj128ELj5ELj4EfEEvi20rocsparse_direction_NS_24const_host_device_scalarIT2_EEPKiS6_PKS3_S8_S4_PS3_21rocsparse_index_base_b.has_dyn_sized_stack, 0
	.set _ZN9rocsparseL19gebsrmvn_4xn_kernelILj128ELj5ELj4EfEEvi20rocsparse_direction_NS_24const_host_device_scalarIT2_EEPKiS6_PKS3_S8_S4_PS3_21rocsparse_index_base_b.has_recursion, 0
	.set _ZN9rocsparseL19gebsrmvn_4xn_kernelILj128ELj5ELj4EfEEvi20rocsparse_direction_NS_24const_host_device_scalarIT2_EEPKiS6_PKS3_S8_S4_PS3_21rocsparse_index_base_b.has_indirect_call, 0
	.section	.AMDGPU.csdata,"",@progbits
; Kernel info:
; codeLenInByte = 1808
; TotalNumSgprs: 20
; NumVgprs: 44
; ScratchSize: 0
; MemoryBound: 0
; FloatMode: 240
; IeeeMode: 1
; LDSByteSize: 0 bytes/workgroup (compile time only)
; SGPRBlocks: 0
; VGPRBlocks: 2
; NumSGPRsForWavesPerEU: 20
; NumVGPRsForWavesPerEU: 44
; NamedBarCnt: 0
; Occupancy: 16
; WaveLimiterHint : 1
; COMPUTE_PGM_RSRC2:SCRATCH_EN: 0
; COMPUTE_PGM_RSRC2:USER_SGPR: 2
; COMPUTE_PGM_RSRC2:TRAP_HANDLER: 0
; COMPUTE_PGM_RSRC2:TGID_X_EN: 1
; COMPUTE_PGM_RSRC2:TGID_Y_EN: 0
; COMPUTE_PGM_RSRC2:TGID_Z_EN: 0
; COMPUTE_PGM_RSRC2:TIDIG_COMP_CNT: 0
	.section	.text._ZN9rocsparseL19gebsrmvn_4xn_kernelILj128ELj5ELj8EfEEvi20rocsparse_direction_NS_24const_host_device_scalarIT2_EEPKiS6_PKS3_S8_S4_PS3_21rocsparse_index_base_b,"axG",@progbits,_ZN9rocsparseL19gebsrmvn_4xn_kernelILj128ELj5ELj8EfEEvi20rocsparse_direction_NS_24const_host_device_scalarIT2_EEPKiS6_PKS3_S8_S4_PS3_21rocsparse_index_base_b,comdat
	.globl	_ZN9rocsparseL19gebsrmvn_4xn_kernelILj128ELj5ELj8EfEEvi20rocsparse_direction_NS_24const_host_device_scalarIT2_EEPKiS6_PKS3_S8_S4_PS3_21rocsparse_index_base_b ; -- Begin function _ZN9rocsparseL19gebsrmvn_4xn_kernelILj128ELj5ELj8EfEEvi20rocsparse_direction_NS_24const_host_device_scalarIT2_EEPKiS6_PKS3_S8_S4_PS3_21rocsparse_index_base_b
	.p2align	8
	.type	_ZN9rocsparseL19gebsrmvn_4xn_kernelILj128ELj5ELj8EfEEvi20rocsparse_direction_NS_24const_host_device_scalarIT2_EEPKiS6_PKS3_S8_S4_PS3_21rocsparse_index_base_b,@function
_ZN9rocsparseL19gebsrmvn_4xn_kernelILj128ELj5ELj8EfEEvi20rocsparse_direction_NS_24const_host_device_scalarIT2_EEPKiS6_PKS3_S8_S4_PS3_21rocsparse_index_base_b: ; @_ZN9rocsparseL19gebsrmvn_4xn_kernelILj128ELj5ELj8EfEEvi20rocsparse_direction_NS_24const_host_device_scalarIT2_EEPKiS6_PKS3_S8_S4_PS3_21rocsparse_index_base_b
; %bb.0:
	s_clause 0x2
	s_load_b64 s[16:17], s[0:1], 0x40
	s_load_b64 s[14:15], s[0:1], 0x8
	s_load_b64 s[12:13], s[0:1], 0x30
	s_wait_kmcnt 0x0
	s_bitcmp1_b32 s17, 0
	s_cselect_b32 s2, -1, 0
	s_delay_alu instid0(SALU_CYCLE_1)
	s_and_b32 vcc_lo, exec_lo, s2
	s_xor_b32 s2, s2, -1
	s_cbranch_vccnz .LBB16_2
; %bb.1:
	s_load_b32 s14, s[14:15], 0x0
.LBB16_2:
	s_and_not1_b32 vcc_lo, exec_lo, s2
	s_cbranch_vccnz .LBB16_4
; %bb.3:
	s_load_b32 s12, s[12:13], 0x0
.LBB16_4:
	s_wait_kmcnt 0x0
	s_cmp_eq_f32 s14, 0
	s_cselect_b32 s2, -1, 0
	s_cmp_eq_f32 s12, 1.0
	s_cselect_b32 s3, -1, 0
	s_delay_alu instid0(SALU_CYCLE_1) | instskip(NEXT) | instid1(SALU_CYCLE_1)
	s_and_b32 s2, s2, s3
	s_and_b32 vcc_lo, exec_lo, s2
	s_cbranch_vccnz .LBB16_23
; %bb.5:
	s_load_b64 s[2:3], s[0:1], 0x0
	s_bfe_u32 s4, ttmp6, 0x4000c
	s_and_b32 s5, ttmp6, 15
	s_add_co_i32 s4, s4, 1
	s_getreg_b32 s6, hwreg(HW_REG_IB_STS2, 6, 4)
	s_mul_i32 s4, ttmp9, s4
	v_lshrrev_b32_e32 v1, 3, v0
	s_add_co_i32 s5, s5, s4
	s_cmp_eq_u32 s6, 0
	s_cselect_b32 s4, ttmp9, s5
	s_delay_alu instid0(VALU_DEP_1) | instid1(SALU_CYCLE_1)
	v_lshl_or_b32 v2, s4, 4, v1
	s_wait_kmcnt 0x0
	s_delay_alu instid0(VALU_DEP_1)
	v_cmp_gt_i32_e32 vcc_lo, s2, v2
	s_and_saveexec_b32 s2, vcc_lo
	s_cbranch_execz .LBB16_23
; %bb.6:
	s_load_b256 s[4:11], s[0:1], 0x10
	v_ashrrev_i32_e32 v3, 31, v2
	s_cmp_lg_u32 s3, 0
	s_wait_kmcnt 0x0
	s_delay_alu instid0(VALU_DEP_1)
	v_lshl_add_u64 v[4:5], v[2:3], 2, s[4:5]
	v_and_b32_e32 v3, 7, v0
	global_load_b64 v[4:5], v[4:5], off
	s_wait_loadcnt 0x0
	v_subrev_nc_u32_e32 v0, s16, v4
	v_subrev_nc_u32_e32 v10, s16, v5
	s_delay_alu instid0(VALU_DEP_2) | instskip(NEXT) | instid1(VALU_DEP_1)
	v_add_nc_u32_e32 v11, v0, v3
	v_cmp_lt_i32_e64 s2, v11, v10
	s_cbranch_scc0 .LBB16_12
; %bb.7:
	v_mov_b32_e32 v1, 0
	s_delay_alu instid0(VALU_DEP_1)
	v_dual_mov_b32 v0, v1 :: v_dual_mov_b32 v5, v1
	v_mov_b32_e32 v4, v1
	s_and_saveexec_b32 s3, s2
	s_cbranch_execz .LBB16_11
; %bb.8:
	v_mad_u32 v8, v11, 20, 16
	v_dual_mov_b32 v7, 0 :: v_dual_mov_b32 v12, v11
	v_mov_b32_e32 v1, 0
	s_mov_b32 s4, 0
	s_delay_alu instid0(VALU_DEP_2)
	v_dual_mov_b32 v4, v7 :: v_dual_mov_b32 v0, v7
	v_mov_b32_e32 v5, v7
.LBB16_9:                               ; =>This Inner Loop Header: Depth=1
	global_load_b32 v13, v12, s[6:7] scale_offset
	v_dual_mov_b32 v9, v7 :: v_dual_add_nc_u32 v6, -16, v8
	s_wait_xcnt 0x0
	v_add_nc_u32_e32 v12, 8, v12
	s_delay_alu instid0(VALU_DEP_2) | instskip(NEXT) | instid1(VALU_DEP_3)
	v_lshl_add_u64 v[22:23], v[6:7], 2, s[8:9]
	v_lshl_add_u64 v[38:39], v[8:9], 2, s[8:9]
	s_delay_alu instid0(VALU_DEP_3) | instskip(SKIP_3) | instid1(VALU_DEP_1)
	v_cmp_ge_i32_e32 vcc_lo, v12, v10
	s_or_b32 s4, vcc_lo, s4
	s_wait_loadcnt 0x0
	v_subrev_nc_u32_e32 v13, s16, v13
	v_lshl_add_u32 v13, v13, 2, v13
	s_delay_alu instid0(VALU_DEP_1) | instskip(NEXT) | instid1(VALU_DEP_1)
	v_dual_add_nc_u32 v6, -12, v8 :: v_dual_add_nc_u32 v28, 1, v13
	v_lshl_add_u64 v[24:25], v[6:7], 2, s[8:9]
	v_dual_add_nc_u32 v6, -8, v8 :: v_dual_add_nc_u32 v29, 2, v13
	s_clause 0x1
	global_load_b128 v[14:17], v[22:23], off
	global_load_b128 v[18:21], v[24:25], off
	global_load_b32 v34, v13, s[10:11] scale_offset
	v_add_nc_u32_e32 v35, 3, v13
	v_lshl_add_u64 v[26:27], v[6:7], 2, s[8:9]
	v_add_nc_u32_e32 v6, -4, v8
	global_load_b32 v36, v28, s[10:11] scale_offset
	global_load_b128 v[22:25], v[26:27], off
	v_add_nc_u32_e32 v9, 4, v13
	s_wait_xcnt 0x0
	v_lshl_add_u64 v[26:27], v[6:7], 2, s[8:9]
	global_load_b32 v6, v29, s[10:11] scale_offset
	v_add_nc_u32_e32 v8, 0xa0, v8
	global_load_b128 v[26:29], v[26:27], off
	global_load_b32 v40, v35, s[10:11] scale_offset
	global_load_b128 v[30:33], v[38:39], off
	global_load_b32 v42, v9, s[10:11] scale_offset
	s_wait_loadcnt 0x7
	v_pk_fma_f32 v[4:5], v[14:15], v[34:35], v[4:5] op_sel_hi:[1,0,1]
	v_pk_fma_f32 v[0:1], v[16:17], v[34:35], v[0:1] op_sel_hi:[1,0,1]
	s_wait_loadcnt 0x6
	s_delay_alu instid0(VALU_DEP_2) | instskip(NEXT) | instid1(VALU_DEP_2)
	v_pk_fma_f32 v[4:5], v[18:19], v[36:37], v[4:5] op_sel_hi:[1,0,1]
	v_pk_fma_f32 v[0:1], v[20:21], v[36:37], v[0:1] op_sel_hi:[1,0,1]
	s_wait_loadcnt 0x4
	s_delay_alu instid0(VALU_DEP_2) | instskip(NEXT) | instid1(VALU_DEP_2)
	;; [unrolled: 4-line block ×4, first 2 shown]
	v_pk_fma_f32 v[4:5], v[30:31], v[42:43], v[4:5] op_sel_hi:[1,0,1]
	v_pk_fma_f32 v[0:1], v[32:33], v[42:43], v[0:1] op_sel_hi:[1,0,1]
	s_and_not1_b32 exec_lo, exec_lo, s4
	s_cbranch_execnz .LBB16_9
; %bb.10:
	s_or_b32 exec_lo, exec_lo, s4
.LBB16_11:
	s_delay_alu instid0(SALU_CYCLE_1)
	s_or_b32 exec_lo, exec_lo, s3
	s_cbranch_execz .LBB16_13
	s_branch .LBB16_18
.LBB16_12:
                                        ; implicit-def: $vgpr1
                                        ; implicit-def: $vgpr5
.LBB16_13:
	v_mov_b32_e32 v1, 0
	s_delay_alu instid0(VALU_DEP_1)
	v_dual_mov_b32 v0, v1 :: v_dual_mov_b32 v5, v1
	v_mov_b32_e32 v4, v1
	s_and_saveexec_b32 s3, s2
	s_cbranch_execz .LBB16_17
; %bb.14:
	v_mad_u32 v8, v11, 20, 19
	v_dual_mov_b32 v7, 0 :: v_dual_mov_b32 v1, 0
	s_mov_b32 s2, 0
	s_delay_alu instid0(VALU_DEP_1)
	v_dual_mov_b32 v4, v7 :: v_dual_mov_b32 v0, v7
	v_mov_b32_e32 v5, v7
.LBB16_15:                              ; =>This Inner Loop Header: Depth=1
	global_load_b32 v9, v11, s[6:7] scale_offset
	v_subrev_nc_u32_e32 v6, 19, v8
	v_dual_add_nc_u32 v18, -14, v8 :: v_dual_add_nc_u32 v22, -9, v8
	v_dual_add_nc_u32 v24, -4, v8 :: v_dual_add_nc_u32 v12, -13, v8
	;; [unrolled: 1-line block ×3, first 2 shown]
	s_delay_alu instid0(VALU_DEP_4)
	v_lshl_add_u64 v[16:17], v[6:7], 2, s[8:9]
	v_dual_add_nc_u32 v15, -12, v8 :: v_dual_add_nc_u32 v28, -7, v8
	s_clause 0x5
	global_load_b32 v19, v12, s[8:9] scale_offset
	global_load_b32 v20, v13, s[8:9] scale_offset
	;; [unrolled: 1-line block ×5, first 2 shown]
	global_load_b128 v[12:15], v[16:17], off
	v_dual_add_nc_u32 v29, -2, v8 :: v_dual_add_nc_u32 v31, -11, v8
	v_dual_add_nc_u32 v32, -6, v8 :: v_dual_add_nc_u32 v33, -1, v8
	;; [unrolled: 1-line block ×3, first 2 shown]
	v_add_nc_u32_e32 v11, 8, v11
	s_delay_alu instid0(VALU_DEP_1) | instskip(SKIP_3) | instid1(VALU_DEP_1)
	v_cmp_ge_i32_e32 vcc_lo, v11, v10
	s_or_b32 s2, vcc_lo, s2
	s_wait_loadcnt 0x6
	v_subrev_nc_u32_e32 v6, s16, v9
	v_lshl_add_u32 v9, v6, 2, v6
	s_clause 0x1
	global_load_b32 v16, v22, s[8:9] scale_offset
	global_load_b32 v17, v24, s[8:9] scale_offset
	;; [unrolled: 1-line block ×3, first 2 shown]
	v_dual_add_nc_u32 v41, -5, v8 :: v_dual_add_nc_u32 v18, 1, v9
	s_clause 0x1
	global_load_b32 v26, v28, s[8:9] scale_offset
	global_load_b32 v27, v29, s[8:9] scale_offset
	;; [unrolled: 1-line block ×3, first 2 shown]
	s_clause 0x1
	global_load_b32 v29, v31, s[8:9] scale_offset
	global_load_b32 v30, v32, s[8:9] scale_offset
	s_wait_xcnt 0x2
	v_dual_add_nc_u32 v22, 2, v9 :: v_dual_add_nc_u32 v18, 3, v9
	global_load_b32 v32, v22, s[10:11] scale_offset
	s_clause 0x1
	global_load_b32 v31, v33, s[8:9] scale_offset
	global_load_b32 v34, v35, s[8:9] scale_offset
	s_wait_loadcnt 0xb
	v_dual_mov_b32 v24, v12 :: v_dual_add_nc_u32 v9, 4, v9
	global_load_b32 v36, v18, s[10:11] scale_offset
	s_clause 0x2
	global_load_b32 v35, v37, s[8:9] scale_offset
	global_load_b32 v38, v41, s[8:9] scale_offset
	;; [unrolled: 1-line block ×4, first 2 shown]
	s_wait_xcnt 0x4
	v_dual_mov_b32 v18, v13 :: v_dual_mov_b32 v22, v14
	s_wait_xcnt 0x1
	v_add_nc_u32_e32 v8, 0xa0, v8
	s_wait_loadcnt 0xd
	v_pk_fma_f32 v[4:5], v[24:25], v[6:7], v[4:5] op_sel_hi:[1,0,1]
	v_pk_fma_f32 v[0:1], v[16:17], v[6:7], v[0:1] op_sel_hi:[1,0,1]
	s_wait_loadcnt 0x9
	s_delay_alu instid0(VALU_DEP_2) | instskip(NEXT) | instid1(VALU_DEP_2)
	v_pk_fma_f32 v[4:5], v[18:19], v[28:29], v[4:5] op_sel_hi:[1,0,1]
	v_pk_fma_f32 v[0:1], v[20:21], v[28:29], v[0:1] op_sel_hi:[1,0,1]
	v_mov_b32_e32 v28, v15
	s_wait_loadcnt 0x7
	s_delay_alu instid0(VALU_DEP_3) | instskip(NEXT) | instid1(VALU_DEP_3)
	v_pk_fma_f32 v[4:5], v[22:23], v[32:33], v[4:5] op_sel_hi:[1,0,1]
	v_pk_fma_f32 v[0:1], v[26:27], v[32:33], v[0:1] op_sel_hi:[1,0,1]
	s_wait_loadcnt 0x4
	s_delay_alu instid0(VALU_DEP_2) | instskip(NEXT) | instid1(VALU_DEP_2)
	v_pk_fma_f32 v[4:5], v[28:29], v[36:37], v[4:5] op_sel_hi:[1,0,1]
	v_pk_fma_f32 v[0:1], v[30:31], v[36:37], v[0:1] op_sel_hi:[1,0,1]
	s_wait_loadcnt 0x0
	s_delay_alu instid0(VALU_DEP_2) | instskip(NEXT) | instid1(VALU_DEP_2)
	v_pk_fma_f32 v[4:5], v[34:35], v[40:41], v[4:5] op_sel_hi:[1,0,1]
	v_pk_fma_f32 v[0:1], v[38:39], v[40:41], v[0:1] op_sel_hi:[1,0,1]
	s_and_not1_b32 exec_lo, exec_lo, s2
	s_cbranch_execnz .LBB16_15
; %bb.16:
	s_or_b32 exec_lo, exec_lo, s2
.LBB16_17:
	s_delay_alu instid0(SALU_CYCLE_1)
	s_or_b32 exec_lo, exec_lo, s3
.LBB16_18:
	v_mbcnt_lo_u32_b32 v10, -1, 0
	s_mov_b32 s2, -1
	s_delay_alu instid0(VALU_DEP_1) | instskip(SKIP_1) | instid1(VALU_DEP_1)
	v_xor_b32_e32 v11, 2, v10
	v_xor_b32_e32 v6, 4, v10
	v_cmp_gt_i32_e32 vcc_lo, 32, v6
	v_cndmask_b32_e32 v6, v10, v6, vcc_lo
	s_delay_alu instid0(VALU_DEP_4) | instskip(SKIP_1) | instid1(VALU_DEP_1)
	v_cmp_gt_i32_e32 vcc_lo, 32, v11
	v_cndmask_b32_e32 v11, v10, v11, vcc_lo
	v_dual_lshlrev_b32 v11, 2, v11 :: v_dual_lshlrev_b32 v9, 2, v6
	ds_bpermute_b32 v6, v9, v4
	ds_bpermute_b32 v7, v9, v5
	ds_bpermute_b32 v8, v9, v0
	ds_bpermute_b32 v9, v9, v1
	s_wait_dscnt 0x2
	v_pk_add_f32 v[4:5], v[4:5], v[6:7]
	s_wait_dscnt 0x0
	v_pk_add_f32 v[6:7], v[0:1], v[8:9]
	ds_bpermute_b32 v0, v11, v4
	ds_bpermute_b32 v1, v11, v5
	;; [unrolled: 1-line block ×4, first 2 shown]
	v_xor_b32_e32 v11, 1, v10
	s_delay_alu instid0(VALU_DEP_1) | instskip(SKIP_2) | instid1(VALU_DEP_2)
	v_cmp_gt_i32_e32 vcc_lo, 32, v11
	v_cndmask_b32_e32 v10, v10, v11, vcc_lo
	v_cmp_eq_u32_e32 vcc_lo, 7, v3
	v_lshlrev_b32_e32 v10, 2, v10
	s_wait_dscnt 0x2
	v_pk_add_f32 v[0:1], v[4:5], v[0:1]
	s_wait_dscnt 0x0
	v_pk_add_f32 v[6:7], v[6:7], v[8:9]
	ds_bpermute_b32 v4, v10, v0
	ds_bpermute_b32 v5, v10, v1
	;; [unrolled: 1-line block ×4, first 2 shown]
	s_and_b32 exec_lo, exec_lo, vcc_lo
	s_cbranch_execz .LBB16_23
; %bb.19:
	s_load_b64 s[0:1], s[0:1], 0x38
	s_wait_dscnt 0x2
	v_pk_add_f32 v[4:5], v[0:1], v[4:5]
	s_wait_dscnt 0x0
	v_pk_add_f32 v[0:1], v[6:7], v[8:9]
	v_lshlrev_b32_e32 v2, 2, v2
	s_cmp_eq_f32 s12, 0
	s_cbranch_scc0 .LBB16_21
; %bb.20:
	s_delay_alu instid0(VALU_DEP_1)
	v_ashrrev_i32_e32 v3, 31, v2
	v_pk_mul_f32 v[6:7], s[14:15], v[4:5] op_sel_hi:[0,1]
	v_pk_mul_f32 v[8:9], s[14:15], v[0:1] op_sel_hi:[0,1]
	s_mov_b32 s2, 0
	s_wait_kmcnt 0x0
	v_lshl_add_u64 v[10:11], v[2:3], 2, s[0:1]
	global_store_b128 v[10:11], v[6:9], off
.LBB16_21:
	s_and_not1_b32 vcc_lo, exec_lo, s2
	s_cbranch_vccnz .LBB16_23
; %bb.22:
	v_ashrrev_i32_e32 v3, 31, v2
	s_wait_kmcnt 0x0
	s_delay_alu instid0(VALU_DEP_1)
	v_lshl_add_u64 v[10:11], v[2:3], 2, s[0:1]
	v_pk_mul_f32 v[2:3], s[14:15], v[4:5] op_sel_hi:[0,1]
	v_pk_mul_f32 v[4:5], s[14:15], v[0:1] op_sel_hi:[0,1]
	global_load_b128 v[6:9], v[10:11], off
	s_wait_loadcnt 0x0
	v_pk_fma_f32 v[0:1], s[12:13], v[6:7], v[2:3] op_sel_hi:[0,1,1]
	v_pk_fma_f32 v[2:3], s[12:13], v[8:9], v[4:5] op_sel_hi:[0,1,1]
	global_store_b128 v[10:11], v[0:3], off
.LBB16_23:
	s_endpgm
	.section	.rodata,"a",@progbits
	.p2align	6, 0x0
	.amdhsa_kernel _ZN9rocsparseL19gebsrmvn_4xn_kernelILj128ELj5ELj8EfEEvi20rocsparse_direction_NS_24const_host_device_scalarIT2_EEPKiS6_PKS3_S8_S4_PS3_21rocsparse_index_base_b
		.amdhsa_group_segment_fixed_size 0
		.amdhsa_private_segment_fixed_size 0
		.amdhsa_kernarg_size 72
		.amdhsa_user_sgpr_count 2
		.amdhsa_user_sgpr_dispatch_ptr 0
		.amdhsa_user_sgpr_queue_ptr 0
		.amdhsa_user_sgpr_kernarg_segment_ptr 1
		.amdhsa_user_sgpr_dispatch_id 0
		.amdhsa_user_sgpr_kernarg_preload_length 0
		.amdhsa_user_sgpr_kernarg_preload_offset 0
		.amdhsa_user_sgpr_private_segment_size 0
		.amdhsa_wavefront_size32 1
		.amdhsa_uses_dynamic_stack 0
		.amdhsa_enable_private_segment 0
		.amdhsa_system_sgpr_workgroup_id_x 1
		.amdhsa_system_sgpr_workgroup_id_y 0
		.amdhsa_system_sgpr_workgroup_id_z 0
		.amdhsa_system_sgpr_workgroup_info 0
		.amdhsa_system_vgpr_workitem_id 0
		.amdhsa_next_free_vgpr 44
		.amdhsa_next_free_sgpr 18
		.amdhsa_named_barrier_count 0
		.amdhsa_reserve_vcc 1
		.amdhsa_float_round_mode_32 0
		.amdhsa_float_round_mode_16_64 0
		.amdhsa_float_denorm_mode_32 3
		.amdhsa_float_denorm_mode_16_64 3
		.amdhsa_fp16_overflow 0
		.amdhsa_memory_ordered 1
		.amdhsa_forward_progress 1
		.amdhsa_inst_pref_size 15
		.amdhsa_round_robin_scheduling 0
		.amdhsa_exception_fp_ieee_invalid_op 0
		.amdhsa_exception_fp_denorm_src 0
		.amdhsa_exception_fp_ieee_div_zero 0
		.amdhsa_exception_fp_ieee_overflow 0
		.amdhsa_exception_fp_ieee_underflow 0
		.amdhsa_exception_fp_ieee_inexact 0
		.amdhsa_exception_int_div_zero 0
	.end_amdhsa_kernel
	.section	.text._ZN9rocsparseL19gebsrmvn_4xn_kernelILj128ELj5ELj8EfEEvi20rocsparse_direction_NS_24const_host_device_scalarIT2_EEPKiS6_PKS3_S8_S4_PS3_21rocsparse_index_base_b,"axG",@progbits,_ZN9rocsparseL19gebsrmvn_4xn_kernelILj128ELj5ELj8EfEEvi20rocsparse_direction_NS_24const_host_device_scalarIT2_EEPKiS6_PKS3_S8_S4_PS3_21rocsparse_index_base_b,comdat
.Lfunc_end16:
	.size	_ZN9rocsparseL19gebsrmvn_4xn_kernelILj128ELj5ELj8EfEEvi20rocsparse_direction_NS_24const_host_device_scalarIT2_EEPKiS6_PKS3_S8_S4_PS3_21rocsparse_index_base_b, .Lfunc_end16-_ZN9rocsparseL19gebsrmvn_4xn_kernelILj128ELj5ELj8EfEEvi20rocsparse_direction_NS_24const_host_device_scalarIT2_EEPKiS6_PKS3_S8_S4_PS3_21rocsparse_index_base_b
                                        ; -- End function
	.set _ZN9rocsparseL19gebsrmvn_4xn_kernelILj128ELj5ELj8EfEEvi20rocsparse_direction_NS_24const_host_device_scalarIT2_EEPKiS6_PKS3_S8_S4_PS3_21rocsparse_index_base_b.num_vgpr, 44
	.set _ZN9rocsparseL19gebsrmvn_4xn_kernelILj128ELj5ELj8EfEEvi20rocsparse_direction_NS_24const_host_device_scalarIT2_EEPKiS6_PKS3_S8_S4_PS3_21rocsparse_index_base_b.num_agpr, 0
	.set _ZN9rocsparseL19gebsrmvn_4xn_kernelILj128ELj5ELj8EfEEvi20rocsparse_direction_NS_24const_host_device_scalarIT2_EEPKiS6_PKS3_S8_S4_PS3_21rocsparse_index_base_b.numbered_sgpr, 18
	.set _ZN9rocsparseL19gebsrmvn_4xn_kernelILj128ELj5ELj8EfEEvi20rocsparse_direction_NS_24const_host_device_scalarIT2_EEPKiS6_PKS3_S8_S4_PS3_21rocsparse_index_base_b.num_named_barrier, 0
	.set _ZN9rocsparseL19gebsrmvn_4xn_kernelILj128ELj5ELj8EfEEvi20rocsparse_direction_NS_24const_host_device_scalarIT2_EEPKiS6_PKS3_S8_S4_PS3_21rocsparse_index_base_b.private_seg_size, 0
	.set _ZN9rocsparseL19gebsrmvn_4xn_kernelILj128ELj5ELj8EfEEvi20rocsparse_direction_NS_24const_host_device_scalarIT2_EEPKiS6_PKS3_S8_S4_PS3_21rocsparse_index_base_b.uses_vcc, 1
	.set _ZN9rocsparseL19gebsrmvn_4xn_kernelILj128ELj5ELj8EfEEvi20rocsparse_direction_NS_24const_host_device_scalarIT2_EEPKiS6_PKS3_S8_S4_PS3_21rocsparse_index_base_b.uses_flat_scratch, 0
	.set _ZN9rocsparseL19gebsrmvn_4xn_kernelILj128ELj5ELj8EfEEvi20rocsparse_direction_NS_24const_host_device_scalarIT2_EEPKiS6_PKS3_S8_S4_PS3_21rocsparse_index_base_b.has_dyn_sized_stack, 0
	.set _ZN9rocsparseL19gebsrmvn_4xn_kernelILj128ELj5ELj8EfEEvi20rocsparse_direction_NS_24const_host_device_scalarIT2_EEPKiS6_PKS3_S8_S4_PS3_21rocsparse_index_base_b.has_recursion, 0
	.set _ZN9rocsparseL19gebsrmvn_4xn_kernelILj128ELj5ELj8EfEEvi20rocsparse_direction_NS_24const_host_device_scalarIT2_EEPKiS6_PKS3_S8_S4_PS3_21rocsparse_index_base_b.has_indirect_call, 0
	.section	.AMDGPU.csdata,"",@progbits
; Kernel info:
; codeLenInByte = 1900
; TotalNumSgprs: 20
; NumVgprs: 44
; ScratchSize: 0
; MemoryBound: 0
; FloatMode: 240
; IeeeMode: 1
; LDSByteSize: 0 bytes/workgroup (compile time only)
; SGPRBlocks: 0
; VGPRBlocks: 2
; NumSGPRsForWavesPerEU: 20
; NumVGPRsForWavesPerEU: 44
; NamedBarCnt: 0
; Occupancy: 16
; WaveLimiterHint : 1
; COMPUTE_PGM_RSRC2:SCRATCH_EN: 0
; COMPUTE_PGM_RSRC2:USER_SGPR: 2
; COMPUTE_PGM_RSRC2:TRAP_HANDLER: 0
; COMPUTE_PGM_RSRC2:TGID_X_EN: 1
; COMPUTE_PGM_RSRC2:TGID_Y_EN: 0
; COMPUTE_PGM_RSRC2:TGID_Z_EN: 0
; COMPUTE_PGM_RSRC2:TIDIG_COMP_CNT: 0
	.section	.text._ZN9rocsparseL19gebsrmvn_4xn_kernelILj128ELj5ELj16EfEEvi20rocsparse_direction_NS_24const_host_device_scalarIT2_EEPKiS6_PKS3_S8_S4_PS3_21rocsparse_index_base_b,"axG",@progbits,_ZN9rocsparseL19gebsrmvn_4xn_kernelILj128ELj5ELj16EfEEvi20rocsparse_direction_NS_24const_host_device_scalarIT2_EEPKiS6_PKS3_S8_S4_PS3_21rocsparse_index_base_b,comdat
	.globl	_ZN9rocsparseL19gebsrmvn_4xn_kernelILj128ELj5ELj16EfEEvi20rocsparse_direction_NS_24const_host_device_scalarIT2_EEPKiS6_PKS3_S8_S4_PS3_21rocsparse_index_base_b ; -- Begin function _ZN9rocsparseL19gebsrmvn_4xn_kernelILj128ELj5ELj16EfEEvi20rocsparse_direction_NS_24const_host_device_scalarIT2_EEPKiS6_PKS3_S8_S4_PS3_21rocsparse_index_base_b
	.p2align	8
	.type	_ZN9rocsparseL19gebsrmvn_4xn_kernelILj128ELj5ELj16EfEEvi20rocsparse_direction_NS_24const_host_device_scalarIT2_EEPKiS6_PKS3_S8_S4_PS3_21rocsparse_index_base_b,@function
_ZN9rocsparseL19gebsrmvn_4xn_kernelILj128ELj5ELj16EfEEvi20rocsparse_direction_NS_24const_host_device_scalarIT2_EEPKiS6_PKS3_S8_S4_PS3_21rocsparse_index_base_b: ; @_ZN9rocsparseL19gebsrmvn_4xn_kernelILj128ELj5ELj16EfEEvi20rocsparse_direction_NS_24const_host_device_scalarIT2_EEPKiS6_PKS3_S8_S4_PS3_21rocsparse_index_base_b
; %bb.0:
	s_clause 0x2
	s_load_b64 s[16:17], s[0:1], 0x40
	s_load_b64 s[14:15], s[0:1], 0x8
	s_load_b64 s[12:13], s[0:1], 0x30
	s_wait_kmcnt 0x0
	s_bitcmp1_b32 s17, 0
	s_cselect_b32 s2, -1, 0
	s_delay_alu instid0(SALU_CYCLE_1)
	s_and_b32 vcc_lo, exec_lo, s2
	s_xor_b32 s2, s2, -1
	s_cbranch_vccnz .LBB17_2
; %bb.1:
	s_load_b32 s14, s[14:15], 0x0
.LBB17_2:
	s_and_not1_b32 vcc_lo, exec_lo, s2
	s_cbranch_vccnz .LBB17_4
; %bb.3:
	s_load_b32 s12, s[12:13], 0x0
.LBB17_4:
	s_wait_kmcnt 0x0
	s_cmp_eq_f32 s14, 0
	s_cselect_b32 s2, -1, 0
	s_cmp_eq_f32 s12, 1.0
	s_cselect_b32 s3, -1, 0
	s_delay_alu instid0(SALU_CYCLE_1) | instskip(NEXT) | instid1(SALU_CYCLE_1)
	s_and_b32 s2, s2, s3
	s_and_b32 vcc_lo, exec_lo, s2
	s_cbranch_vccnz .LBB17_23
; %bb.5:
	s_load_b64 s[2:3], s[0:1], 0x0
	s_bfe_u32 s4, ttmp6, 0x4000c
	s_and_b32 s5, ttmp6, 15
	s_add_co_i32 s4, s4, 1
	s_getreg_b32 s6, hwreg(HW_REG_IB_STS2, 6, 4)
	s_mul_i32 s4, ttmp9, s4
	v_lshrrev_b32_e32 v1, 4, v0
	s_add_co_i32 s5, s5, s4
	s_cmp_eq_u32 s6, 0
	s_cselect_b32 s4, ttmp9, s5
	s_delay_alu instid0(VALU_DEP_1) | instid1(SALU_CYCLE_1)
	v_lshl_or_b32 v2, s4, 3, v1
	s_wait_kmcnt 0x0
	s_delay_alu instid0(VALU_DEP_1)
	v_cmp_gt_i32_e32 vcc_lo, s2, v2
	s_and_saveexec_b32 s2, vcc_lo
	s_cbranch_execz .LBB17_23
; %bb.6:
	s_load_b256 s[4:11], s[0:1], 0x10
	v_ashrrev_i32_e32 v3, 31, v2
	s_cmp_lg_u32 s3, 0
	s_wait_kmcnt 0x0
	s_delay_alu instid0(VALU_DEP_1)
	v_lshl_add_u64 v[4:5], v[2:3], 2, s[4:5]
	v_and_b32_e32 v3, 15, v0
	global_load_b64 v[4:5], v[4:5], off
	s_wait_loadcnt 0x0
	v_subrev_nc_u32_e32 v0, s16, v4
	v_subrev_nc_u32_e32 v10, s16, v5
	s_delay_alu instid0(VALU_DEP_2) | instskip(NEXT) | instid1(VALU_DEP_1)
	v_add_nc_u32_e32 v11, v0, v3
	v_cmp_lt_i32_e64 s2, v11, v10
	s_cbranch_scc0 .LBB17_12
; %bb.7:
	v_mov_b32_e32 v1, 0
	s_delay_alu instid0(VALU_DEP_1)
	v_dual_mov_b32 v0, v1 :: v_dual_mov_b32 v5, v1
	v_mov_b32_e32 v4, v1
	s_and_saveexec_b32 s3, s2
	s_cbranch_execz .LBB17_11
; %bb.8:
	v_mad_u32 v8, v11, 20, 16
	v_dual_mov_b32 v7, 0 :: v_dual_mov_b32 v12, v11
	s_mov_b32 s4, 0
	s_delay_alu instid0(VALU_DEP_1)
	v_dual_mov_b32 v0, v7 :: v_dual_mov_b32 v1, v7
	v_dual_mov_b32 v4, v7 :: v_dual_mov_b32 v5, v7
.LBB17_9:                               ; =>This Inner Loop Header: Depth=1
	global_load_b32 v13, v12, s[6:7] scale_offset
	v_dual_mov_b32 v9, v7 :: v_dual_add_nc_u32 v6, -16, v8
	s_wait_xcnt 0x0
	v_add_nc_u32_e32 v12, 16, v12
	s_delay_alu instid0(VALU_DEP_2) | instskip(NEXT) | instid1(VALU_DEP_3)
	v_lshl_add_u64 v[22:23], v[6:7], 2, s[8:9]
	v_lshl_add_u64 v[38:39], v[8:9], 2, s[8:9]
	s_delay_alu instid0(VALU_DEP_3) | instskip(SKIP_3) | instid1(VALU_DEP_1)
	v_cmp_ge_i32_e32 vcc_lo, v12, v10
	s_or_b32 s4, vcc_lo, s4
	s_wait_loadcnt 0x0
	v_subrev_nc_u32_e32 v13, s16, v13
	v_lshl_add_u32 v13, v13, 2, v13
	s_delay_alu instid0(VALU_DEP_1) | instskip(NEXT) | instid1(VALU_DEP_1)
	v_dual_add_nc_u32 v6, -12, v8 :: v_dual_add_nc_u32 v28, 1, v13
	v_lshl_add_u64 v[24:25], v[6:7], 2, s[8:9]
	v_dual_add_nc_u32 v6, -8, v8 :: v_dual_add_nc_u32 v29, 2, v13
	s_clause 0x1
	global_load_b128 v[14:17], v[22:23], off
	global_load_b128 v[18:21], v[24:25], off
	global_load_b32 v34, v13, s[10:11] scale_offset
	v_add_nc_u32_e32 v35, 3, v13
	v_lshl_add_u64 v[26:27], v[6:7], 2, s[8:9]
	v_add_nc_u32_e32 v6, -4, v8
	global_load_b32 v36, v28, s[10:11] scale_offset
	global_load_b128 v[22:25], v[26:27], off
	v_add_nc_u32_e32 v9, 4, v13
	s_wait_xcnt 0x0
	v_lshl_add_u64 v[26:27], v[6:7], 2, s[8:9]
	global_load_b32 v6, v29, s[10:11] scale_offset
	v_add_nc_u32_e32 v8, 0x140, v8
	global_load_b128 v[26:29], v[26:27], off
	global_load_b32 v40, v35, s[10:11] scale_offset
	global_load_b128 v[30:33], v[38:39], off
	global_load_b32 v42, v9, s[10:11] scale_offset
	s_wait_loadcnt 0x7
	v_pk_fma_f32 v[4:5], v[14:15], v[34:35], v[4:5] op_sel_hi:[1,0,1]
	v_pk_fma_f32 v[0:1], v[16:17], v[34:35], v[0:1] op_sel_hi:[1,0,1]
	s_wait_loadcnt 0x6
	s_delay_alu instid0(VALU_DEP_2) | instskip(NEXT) | instid1(VALU_DEP_2)
	v_pk_fma_f32 v[4:5], v[18:19], v[36:37], v[4:5] op_sel_hi:[1,0,1]
	v_pk_fma_f32 v[0:1], v[20:21], v[36:37], v[0:1] op_sel_hi:[1,0,1]
	s_wait_loadcnt 0x4
	s_delay_alu instid0(VALU_DEP_2) | instskip(NEXT) | instid1(VALU_DEP_2)
	v_pk_fma_f32 v[4:5], v[22:23], v[6:7], v[4:5] op_sel_hi:[1,0,1]
	v_pk_fma_f32 v[0:1], v[24:25], v[6:7], v[0:1] op_sel_hi:[1,0,1]
	s_wait_loadcnt 0x2
	s_delay_alu instid0(VALU_DEP_2) | instskip(NEXT) | instid1(VALU_DEP_2)
	v_pk_fma_f32 v[4:5], v[26:27], v[40:41], v[4:5] op_sel_hi:[1,0,1]
	v_pk_fma_f32 v[0:1], v[28:29], v[40:41], v[0:1] op_sel_hi:[1,0,1]
	s_wait_loadcnt 0x0
	s_delay_alu instid0(VALU_DEP_2) | instskip(NEXT) | instid1(VALU_DEP_2)
	v_pk_fma_f32 v[4:5], v[30:31], v[42:43], v[4:5] op_sel_hi:[1,0,1]
	v_pk_fma_f32 v[0:1], v[32:33], v[42:43], v[0:1] op_sel_hi:[1,0,1]
	s_and_not1_b32 exec_lo, exec_lo, s4
	s_cbranch_execnz .LBB17_9
; %bb.10:
	s_or_b32 exec_lo, exec_lo, s4
.LBB17_11:
	s_delay_alu instid0(SALU_CYCLE_1)
	s_or_b32 exec_lo, exec_lo, s3
	s_cbranch_execz .LBB17_13
	s_branch .LBB17_18
.LBB17_12:
                                        ; implicit-def: $vgpr1
                                        ; implicit-def: $vgpr5
.LBB17_13:
	v_mov_b32_e32 v1, 0
	s_delay_alu instid0(VALU_DEP_1)
	v_dual_mov_b32 v0, v1 :: v_dual_mov_b32 v5, v1
	v_mov_b32_e32 v4, v1
	s_and_saveexec_b32 s3, s2
	s_cbranch_execz .LBB17_17
; %bb.14:
	v_mad_u32 v8, v11, 20, 19
	v_mov_b32_e32 v7, 0
	s_mov_b32 s2, 0
	s_delay_alu instid0(VALU_DEP_1)
	v_dual_mov_b32 v0, v7 :: v_dual_mov_b32 v1, v7
	v_dual_mov_b32 v4, v7 :: v_dual_mov_b32 v5, v7
.LBB17_15:                              ; =>This Inner Loop Header: Depth=1
	global_load_b32 v9, v11, s[6:7] scale_offset
	v_subrev_nc_u32_e32 v6, 19, v8
	v_dual_add_nc_u32 v18, -14, v8 :: v_dual_add_nc_u32 v22, -9, v8
	v_dual_add_nc_u32 v24, -4, v8 :: v_dual_add_nc_u32 v12, -13, v8
	;; [unrolled: 1-line block ×3, first 2 shown]
	s_delay_alu instid0(VALU_DEP_4)
	v_lshl_add_u64 v[16:17], v[6:7], 2, s[8:9]
	v_dual_add_nc_u32 v15, -12, v8 :: v_dual_add_nc_u32 v28, -7, v8
	s_clause 0x5
	global_load_b32 v19, v12, s[8:9] scale_offset
	global_load_b32 v20, v13, s[8:9] scale_offset
	;; [unrolled: 1-line block ×5, first 2 shown]
	global_load_b128 v[12:15], v[16:17], off
	v_dual_add_nc_u32 v29, -2, v8 :: v_dual_add_nc_u32 v31, -11, v8
	v_dual_add_nc_u32 v32, -6, v8 :: v_dual_add_nc_u32 v33, -1, v8
	;; [unrolled: 1-line block ×3, first 2 shown]
	v_add_nc_u32_e32 v11, 16, v11
	s_delay_alu instid0(VALU_DEP_1) | instskip(SKIP_3) | instid1(VALU_DEP_1)
	v_cmp_ge_i32_e32 vcc_lo, v11, v10
	s_or_b32 s2, vcc_lo, s2
	s_wait_loadcnt 0x6
	v_subrev_nc_u32_e32 v6, s16, v9
	v_lshl_add_u32 v9, v6, 2, v6
	s_clause 0x1
	global_load_b32 v16, v22, s[8:9] scale_offset
	global_load_b32 v17, v24, s[8:9] scale_offset
	;; [unrolled: 1-line block ×3, first 2 shown]
	v_dual_add_nc_u32 v41, -5, v8 :: v_dual_add_nc_u32 v18, 1, v9
	s_clause 0x1
	global_load_b32 v26, v28, s[8:9] scale_offset
	global_load_b32 v27, v29, s[8:9] scale_offset
	;; [unrolled: 1-line block ×3, first 2 shown]
	s_clause 0x1
	global_load_b32 v29, v31, s[8:9] scale_offset
	global_load_b32 v30, v32, s[8:9] scale_offset
	s_wait_xcnt 0x2
	v_dual_add_nc_u32 v22, 2, v9 :: v_dual_add_nc_u32 v18, 3, v9
	global_load_b32 v32, v22, s[10:11] scale_offset
	s_clause 0x1
	global_load_b32 v31, v33, s[8:9] scale_offset
	global_load_b32 v34, v35, s[8:9] scale_offset
	s_wait_loadcnt 0xb
	v_dual_mov_b32 v24, v12 :: v_dual_add_nc_u32 v9, 4, v9
	global_load_b32 v36, v18, s[10:11] scale_offset
	s_clause 0x2
	global_load_b32 v35, v37, s[8:9] scale_offset
	global_load_b32 v38, v41, s[8:9] scale_offset
	;; [unrolled: 1-line block ×4, first 2 shown]
	s_wait_xcnt 0x4
	v_dual_mov_b32 v18, v13 :: v_dual_mov_b32 v22, v14
	s_wait_xcnt 0x1
	v_add_nc_u32_e32 v8, 0x140, v8
	s_wait_loadcnt 0xd
	v_pk_fma_f32 v[4:5], v[24:25], v[6:7], v[4:5] op_sel_hi:[1,0,1]
	v_pk_fma_f32 v[0:1], v[16:17], v[6:7], v[0:1] op_sel_hi:[1,0,1]
	s_wait_loadcnt 0x9
	s_delay_alu instid0(VALU_DEP_2) | instskip(NEXT) | instid1(VALU_DEP_2)
	v_pk_fma_f32 v[4:5], v[18:19], v[28:29], v[4:5] op_sel_hi:[1,0,1]
	v_pk_fma_f32 v[0:1], v[20:21], v[28:29], v[0:1] op_sel_hi:[1,0,1]
	v_mov_b32_e32 v28, v15
	s_wait_loadcnt 0x7
	s_delay_alu instid0(VALU_DEP_3) | instskip(NEXT) | instid1(VALU_DEP_3)
	v_pk_fma_f32 v[4:5], v[22:23], v[32:33], v[4:5] op_sel_hi:[1,0,1]
	v_pk_fma_f32 v[0:1], v[26:27], v[32:33], v[0:1] op_sel_hi:[1,0,1]
	s_wait_loadcnt 0x4
	s_delay_alu instid0(VALU_DEP_2) | instskip(NEXT) | instid1(VALU_DEP_2)
	v_pk_fma_f32 v[4:5], v[28:29], v[36:37], v[4:5] op_sel_hi:[1,0,1]
	v_pk_fma_f32 v[0:1], v[30:31], v[36:37], v[0:1] op_sel_hi:[1,0,1]
	s_wait_loadcnt 0x0
	s_delay_alu instid0(VALU_DEP_2) | instskip(NEXT) | instid1(VALU_DEP_2)
	v_pk_fma_f32 v[4:5], v[34:35], v[40:41], v[4:5] op_sel_hi:[1,0,1]
	v_pk_fma_f32 v[0:1], v[38:39], v[40:41], v[0:1] op_sel_hi:[1,0,1]
	s_and_not1_b32 exec_lo, exec_lo, s2
	s_cbranch_execnz .LBB17_15
; %bb.16:
	s_or_b32 exec_lo, exec_lo, s2
.LBB17_17:
	s_delay_alu instid0(SALU_CYCLE_1)
	s_or_b32 exec_lo, exec_lo, s3
.LBB17_18:
	v_mbcnt_lo_u32_b32 v10, -1, 0
	s_mov_b32 s2, -1
	s_delay_alu instid0(VALU_DEP_1) | instskip(SKIP_1) | instid1(VALU_DEP_1)
	v_xor_b32_e32 v11, 4, v10
	v_xor_b32_e32 v6, 8, v10
	v_cmp_gt_i32_e32 vcc_lo, 32, v6
	v_cndmask_b32_e32 v6, v10, v6, vcc_lo
	s_delay_alu instid0(VALU_DEP_4) | instskip(SKIP_1) | instid1(VALU_DEP_1)
	v_cmp_gt_i32_e32 vcc_lo, 32, v11
	v_cndmask_b32_e32 v11, v10, v11, vcc_lo
	v_dual_lshlrev_b32 v11, 2, v11 :: v_dual_lshlrev_b32 v9, 2, v6
	ds_bpermute_b32 v6, v9, v4
	ds_bpermute_b32 v7, v9, v5
	;; [unrolled: 1-line block ×4, first 2 shown]
	s_wait_dscnt 0x2
	v_pk_add_f32 v[4:5], v[4:5], v[6:7]
	s_wait_dscnt 0x0
	v_pk_add_f32 v[0:1], v[0:1], v[8:9]
	ds_bpermute_b32 v6, v11, v4
	ds_bpermute_b32 v7, v11, v5
	;; [unrolled: 1-line block ×4, first 2 shown]
	v_xor_b32_e32 v11, 2, v10
	s_delay_alu instid0(VALU_DEP_1) | instskip(SKIP_1) | instid1(VALU_DEP_1)
	v_cmp_gt_i32_e32 vcc_lo, 32, v11
	v_cndmask_b32_e32 v11, v10, v11, vcc_lo
	v_lshlrev_b32_e32 v11, 2, v11
	s_wait_dscnt 0x2
	v_pk_add_f32 v[4:5], v[4:5], v[6:7]
	s_wait_dscnt 0x0
	v_pk_add_f32 v[6:7], v[0:1], v[8:9]
	ds_bpermute_b32 v0, v11, v4
	ds_bpermute_b32 v1, v11, v5
	;; [unrolled: 1-line block ×4, first 2 shown]
	v_xor_b32_e32 v11, 1, v10
	s_delay_alu instid0(VALU_DEP_1) | instskip(SKIP_2) | instid1(VALU_DEP_2)
	v_cmp_gt_i32_e32 vcc_lo, 32, v11
	v_cndmask_b32_e32 v10, v10, v11, vcc_lo
	v_cmp_eq_u32_e32 vcc_lo, 15, v3
	v_lshlrev_b32_e32 v10, 2, v10
	s_wait_dscnt 0x2
	v_pk_add_f32 v[0:1], v[4:5], v[0:1]
	s_wait_dscnt 0x0
	v_pk_add_f32 v[6:7], v[6:7], v[8:9]
	ds_bpermute_b32 v4, v10, v0
	ds_bpermute_b32 v5, v10, v1
	;; [unrolled: 1-line block ×4, first 2 shown]
	s_and_b32 exec_lo, exec_lo, vcc_lo
	s_cbranch_execz .LBB17_23
; %bb.19:
	s_load_b64 s[0:1], s[0:1], 0x38
	s_wait_dscnt 0x2
	v_pk_add_f32 v[4:5], v[0:1], v[4:5]
	s_wait_dscnt 0x0
	v_pk_add_f32 v[0:1], v[6:7], v[8:9]
	v_lshlrev_b32_e32 v2, 2, v2
	s_cmp_eq_f32 s12, 0
	s_cbranch_scc0 .LBB17_21
; %bb.20:
	s_delay_alu instid0(VALU_DEP_1)
	v_ashrrev_i32_e32 v3, 31, v2
	v_pk_mul_f32 v[6:7], s[14:15], v[4:5] op_sel_hi:[0,1]
	v_pk_mul_f32 v[8:9], s[14:15], v[0:1] op_sel_hi:[0,1]
	s_mov_b32 s2, 0
	s_wait_kmcnt 0x0
	v_lshl_add_u64 v[10:11], v[2:3], 2, s[0:1]
	global_store_b128 v[10:11], v[6:9], off
.LBB17_21:
	s_and_not1_b32 vcc_lo, exec_lo, s2
	s_cbranch_vccnz .LBB17_23
; %bb.22:
	v_ashrrev_i32_e32 v3, 31, v2
	s_wait_kmcnt 0x0
	s_delay_alu instid0(VALU_DEP_1)
	v_lshl_add_u64 v[10:11], v[2:3], 2, s[0:1]
	v_pk_mul_f32 v[2:3], s[14:15], v[4:5] op_sel_hi:[0,1]
	v_pk_mul_f32 v[4:5], s[14:15], v[0:1] op_sel_hi:[0,1]
	global_load_b128 v[6:9], v[10:11], off
	s_wait_loadcnt 0x0
	v_pk_fma_f32 v[0:1], s[12:13], v[6:7], v[2:3] op_sel_hi:[0,1,1]
	v_pk_fma_f32 v[2:3], s[12:13], v[8:9], v[4:5] op_sel_hi:[0,1,1]
	global_store_b128 v[10:11], v[0:3], off
.LBB17_23:
	s_endpgm
	.section	.rodata,"a",@progbits
	.p2align	6, 0x0
	.amdhsa_kernel _ZN9rocsparseL19gebsrmvn_4xn_kernelILj128ELj5ELj16EfEEvi20rocsparse_direction_NS_24const_host_device_scalarIT2_EEPKiS6_PKS3_S8_S4_PS3_21rocsparse_index_base_b
		.amdhsa_group_segment_fixed_size 0
		.amdhsa_private_segment_fixed_size 0
		.amdhsa_kernarg_size 72
		.amdhsa_user_sgpr_count 2
		.amdhsa_user_sgpr_dispatch_ptr 0
		.amdhsa_user_sgpr_queue_ptr 0
		.amdhsa_user_sgpr_kernarg_segment_ptr 1
		.amdhsa_user_sgpr_dispatch_id 0
		.amdhsa_user_sgpr_kernarg_preload_length 0
		.amdhsa_user_sgpr_kernarg_preload_offset 0
		.amdhsa_user_sgpr_private_segment_size 0
		.amdhsa_wavefront_size32 1
		.amdhsa_uses_dynamic_stack 0
		.amdhsa_enable_private_segment 0
		.amdhsa_system_sgpr_workgroup_id_x 1
		.amdhsa_system_sgpr_workgroup_id_y 0
		.amdhsa_system_sgpr_workgroup_id_z 0
		.amdhsa_system_sgpr_workgroup_info 0
		.amdhsa_system_vgpr_workitem_id 0
		.amdhsa_next_free_vgpr 44
		.amdhsa_next_free_sgpr 18
		.amdhsa_named_barrier_count 0
		.amdhsa_reserve_vcc 1
		.amdhsa_float_round_mode_32 0
		.amdhsa_float_round_mode_16_64 0
		.amdhsa_float_denorm_mode_32 3
		.amdhsa_float_denorm_mode_16_64 3
		.amdhsa_fp16_overflow 0
		.amdhsa_memory_ordered 1
		.amdhsa_forward_progress 1
		.amdhsa_inst_pref_size 16
		.amdhsa_round_robin_scheduling 0
		.amdhsa_exception_fp_ieee_invalid_op 0
		.amdhsa_exception_fp_denorm_src 0
		.amdhsa_exception_fp_ieee_div_zero 0
		.amdhsa_exception_fp_ieee_overflow 0
		.amdhsa_exception_fp_ieee_underflow 0
		.amdhsa_exception_fp_ieee_inexact 0
		.amdhsa_exception_int_div_zero 0
	.end_amdhsa_kernel
	.section	.text._ZN9rocsparseL19gebsrmvn_4xn_kernelILj128ELj5ELj16EfEEvi20rocsparse_direction_NS_24const_host_device_scalarIT2_EEPKiS6_PKS3_S8_S4_PS3_21rocsparse_index_base_b,"axG",@progbits,_ZN9rocsparseL19gebsrmvn_4xn_kernelILj128ELj5ELj16EfEEvi20rocsparse_direction_NS_24const_host_device_scalarIT2_EEPKiS6_PKS3_S8_S4_PS3_21rocsparse_index_base_b,comdat
.Lfunc_end17:
	.size	_ZN9rocsparseL19gebsrmvn_4xn_kernelILj128ELj5ELj16EfEEvi20rocsparse_direction_NS_24const_host_device_scalarIT2_EEPKiS6_PKS3_S8_S4_PS3_21rocsparse_index_base_b, .Lfunc_end17-_ZN9rocsparseL19gebsrmvn_4xn_kernelILj128ELj5ELj16EfEEvi20rocsparse_direction_NS_24const_host_device_scalarIT2_EEPKiS6_PKS3_S8_S4_PS3_21rocsparse_index_base_b
                                        ; -- End function
	.set _ZN9rocsparseL19gebsrmvn_4xn_kernelILj128ELj5ELj16EfEEvi20rocsparse_direction_NS_24const_host_device_scalarIT2_EEPKiS6_PKS3_S8_S4_PS3_21rocsparse_index_base_b.num_vgpr, 44
	.set _ZN9rocsparseL19gebsrmvn_4xn_kernelILj128ELj5ELj16EfEEvi20rocsparse_direction_NS_24const_host_device_scalarIT2_EEPKiS6_PKS3_S8_S4_PS3_21rocsparse_index_base_b.num_agpr, 0
	.set _ZN9rocsparseL19gebsrmvn_4xn_kernelILj128ELj5ELj16EfEEvi20rocsparse_direction_NS_24const_host_device_scalarIT2_EEPKiS6_PKS3_S8_S4_PS3_21rocsparse_index_base_b.numbered_sgpr, 18
	.set _ZN9rocsparseL19gebsrmvn_4xn_kernelILj128ELj5ELj16EfEEvi20rocsparse_direction_NS_24const_host_device_scalarIT2_EEPKiS6_PKS3_S8_S4_PS3_21rocsparse_index_base_b.num_named_barrier, 0
	.set _ZN9rocsparseL19gebsrmvn_4xn_kernelILj128ELj5ELj16EfEEvi20rocsparse_direction_NS_24const_host_device_scalarIT2_EEPKiS6_PKS3_S8_S4_PS3_21rocsparse_index_base_b.private_seg_size, 0
	.set _ZN9rocsparseL19gebsrmvn_4xn_kernelILj128ELj5ELj16EfEEvi20rocsparse_direction_NS_24const_host_device_scalarIT2_EEPKiS6_PKS3_S8_S4_PS3_21rocsparse_index_base_b.uses_vcc, 1
	.set _ZN9rocsparseL19gebsrmvn_4xn_kernelILj128ELj5ELj16EfEEvi20rocsparse_direction_NS_24const_host_device_scalarIT2_EEPKiS6_PKS3_S8_S4_PS3_21rocsparse_index_base_b.uses_flat_scratch, 0
	.set _ZN9rocsparseL19gebsrmvn_4xn_kernelILj128ELj5ELj16EfEEvi20rocsparse_direction_NS_24const_host_device_scalarIT2_EEPKiS6_PKS3_S8_S4_PS3_21rocsparse_index_base_b.has_dyn_sized_stack, 0
	.set _ZN9rocsparseL19gebsrmvn_4xn_kernelILj128ELj5ELj16EfEEvi20rocsparse_direction_NS_24const_host_device_scalarIT2_EEPKiS6_PKS3_S8_S4_PS3_21rocsparse_index_base_b.has_recursion, 0
	.set _ZN9rocsparseL19gebsrmvn_4xn_kernelILj128ELj5ELj16EfEEvi20rocsparse_direction_NS_24const_host_device_scalarIT2_EEPKiS6_PKS3_S8_S4_PS3_21rocsparse_index_base_b.has_indirect_call, 0
	.section	.AMDGPU.csdata,"",@progbits
; Kernel info:
; codeLenInByte = 1964
; TotalNumSgprs: 20
; NumVgprs: 44
; ScratchSize: 0
; MemoryBound: 0
; FloatMode: 240
; IeeeMode: 1
; LDSByteSize: 0 bytes/workgroup (compile time only)
; SGPRBlocks: 0
; VGPRBlocks: 2
; NumSGPRsForWavesPerEU: 20
; NumVGPRsForWavesPerEU: 44
; NamedBarCnt: 0
; Occupancy: 16
; WaveLimiterHint : 1
; COMPUTE_PGM_RSRC2:SCRATCH_EN: 0
; COMPUTE_PGM_RSRC2:USER_SGPR: 2
; COMPUTE_PGM_RSRC2:TRAP_HANDLER: 0
; COMPUTE_PGM_RSRC2:TGID_X_EN: 1
; COMPUTE_PGM_RSRC2:TGID_Y_EN: 0
; COMPUTE_PGM_RSRC2:TGID_Z_EN: 0
; COMPUTE_PGM_RSRC2:TIDIG_COMP_CNT: 0
	.section	.text._ZN9rocsparseL19gebsrmvn_4xn_kernelILj128ELj5ELj32EfEEvi20rocsparse_direction_NS_24const_host_device_scalarIT2_EEPKiS6_PKS3_S8_S4_PS3_21rocsparse_index_base_b,"axG",@progbits,_ZN9rocsparseL19gebsrmvn_4xn_kernelILj128ELj5ELj32EfEEvi20rocsparse_direction_NS_24const_host_device_scalarIT2_EEPKiS6_PKS3_S8_S4_PS3_21rocsparse_index_base_b,comdat
	.globl	_ZN9rocsparseL19gebsrmvn_4xn_kernelILj128ELj5ELj32EfEEvi20rocsparse_direction_NS_24const_host_device_scalarIT2_EEPKiS6_PKS3_S8_S4_PS3_21rocsparse_index_base_b ; -- Begin function _ZN9rocsparseL19gebsrmvn_4xn_kernelILj128ELj5ELj32EfEEvi20rocsparse_direction_NS_24const_host_device_scalarIT2_EEPKiS6_PKS3_S8_S4_PS3_21rocsparse_index_base_b
	.p2align	8
	.type	_ZN9rocsparseL19gebsrmvn_4xn_kernelILj128ELj5ELj32EfEEvi20rocsparse_direction_NS_24const_host_device_scalarIT2_EEPKiS6_PKS3_S8_S4_PS3_21rocsparse_index_base_b,@function
_ZN9rocsparseL19gebsrmvn_4xn_kernelILj128ELj5ELj32EfEEvi20rocsparse_direction_NS_24const_host_device_scalarIT2_EEPKiS6_PKS3_S8_S4_PS3_21rocsparse_index_base_b: ; @_ZN9rocsparseL19gebsrmvn_4xn_kernelILj128ELj5ELj32EfEEvi20rocsparse_direction_NS_24const_host_device_scalarIT2_EEPKiS6_PKS3_S8_S4_PS3_21rocsparse_index_base_b
; %bb.0:
	s_clause 0x2
	s_load_b64 s[16:17], s[0:1], 0x40
	s_load_b64 s[14:15], s[0:1], 0x8
	;; [unrolled: 1-line block ×3, first 2 shown]
	s_wait_kmcnt 0x0
	s_bitcmp1_b32 s17, 0
	s_cselect_b32 s2, -1, 0
	s_delay_alu instid0(SALU_CYCLE_1)
	s_and_b32 vcc_lo, exec_lo, s2
	s_xor_b32 s2, s2, -1
	s_cbranch_vccnz .LBB18_2
; %bb.1:
	s_load_b32 s14, s[14:15], 0x0
.LBB18_2:
	s_and_not1_b32 vcc_lo, exec_lo, s2
	s_cbranch_vccnz .LBB18_4
; %bb.3:
	s_load_b32 s12, s[12:13], 0x0
.LBB18_4:
	s_wait_kmcnt 0x0
	s_cmp_eq_f32 s14, 0
	s_cselect_b32 s2, -1, 0
	s_cmp_eq_f32 s12, 1.0
	s_cselect_b32 s3, -1, 0
	s_delay_alu instid0(SALU_CYCLE_1) | instskip(NEXT) | instid1(SALU_CYCLE_1)
	s_and_b32 s2, s2, s3
	s_and_b32 vcc_lo, exec_lo, s2
	s_cbranch_vccnz .LBB18_23
; %bb.5:
	s_load_b64 s[2:3], s[0:1], 0x0
	s_bfe_u32 s4, ttmp6, 0x4000c
	s_and_b32 s5, ttmp6, 15
	s_add_co_i32 s4, s4, 1
	s_getreg_b32 s6, hwreg(HW_REG_IB_STS2, 6, 4)
	s_mul_i32 s4, ttmp9, s4
	v_lshrrev_b32_e32 v1, 5, v0
	s_add_co_i32 s5, s5, s4
	s_cmp_eq_u32 s6, 0
	s_cselect_b32 s4, ttmp9, s5
	s_delay_alu instid0(VALU_DEP_1) | instid1(SALU_CYCLE_1)
	v_lshl_or_b32 v2, s4, 2, v1
	s_wait_kmcnt 0x0
	s_delay_alu instid0(VALU_DEP_1)
	v_cmp_gt_i32_e32 vcc_lo, s2, v2
	s_and_saveexec_b32 s2, vcc_lo
	s_cbranch_execz .LBB18_23
; %bb.6:
	s_load_b256 s[4:11], s[0:1], 0x10
	v_ashrrev_i32_e32 v3, 31, v2
	s_cmp_lg_u32 s3, 0
	s_wait_kmcnt 0x0
	s_delay_alu instid0(VALU_DEP_1)
	v_lshl_add_u64 v[4:5], v[2:3], 2, s[4:5]
	v_and_b32_e32 v3, 31, v0
	global_load_b64 v[4:5], v[4:5], off
	s_wait_loadcnt 0x0
	v_subrev_nc_u32_e32 v0, s16, v4
	v_subrev_nc_u32_e32 v10, s16, v5
	s_delay_alu instid0(VALU_DEP_2) | instskip(NEXT) | instid1(VALU_DEP_1)
	v_add_nc_u32_e32 v11, v0, v3
	v_cmp_lt_i32_e64 s2, v11, v10
	s_cbranch_scc0 .LBB18_12
; %bb.7:
	v_mov_b32_e32 v1, 0
	s_delay_alu instid0(VALU_DEP_1)
	v_dual_mov_b32 v0, v1 :: v_dual_mov_b32 v5, v1
	v_mov_b32_e32 v4, v1
	s_and_saveexec_b32 s3, s2
	s_cbranch_execz .LBB18_11
; %bb.8:
	v_mad_u32 v8, v11, 20, 16
	v_dual_mov_b32 v7, 0 :: v_dual_mov_b32 v12, v11
	s_mov_b32 s4, 0
	s_delay_alu instid0(VALU_DEP_1)
	v_dual_mov_b32 v0, v7 :: v_dual_mov_b32 v1, v7
	v_dual_mov_b32 v4, v7 :: v_dual_mov_b32 v5, v7
.LBB18_9:                               ; =>This Inner Loop Header: Depth=1
	global_load_b32 v13, v12, s[6:7] scale_offset
	v_dual_mov_b32 v9, v7 :: v_dual_add_nc_u32 v6, -16, v8
	s_wait_xcnt 0x0
	v_add_nc_u32_e32 v12, 32, v12
	s_delay_alu instid0(VALU_DEP_2) | instskip(NEXT) | instid1(VALU_DEP_3)
	v_lshl_add_u64 v[22:23], v[6:7], 2, s[8:9]
	v_lshl_add_u64 v[38:39], v[8:9], 2, s[8:9]
	s_delay_alu instid0(VALU_DEP_3) | instskip(SKIP_3) | instid1(VALU_DEP_1)
	v_cmp_ge_i32_e32 vcc_lo, v12, v10
	s_or_b32 s4, vcc_lo, s4
	s_wait_loadcnt 0x0
	v_subrev_nc_u32_e32 v13, s16, v13
	v_lshl_add_u32 v13, v13, 2, v13
	s_delay_alu instid0(VALU_DEP_1) | instskip(NEXT) | instid1(VALU_DEP_1)
	v_dual_add_nc_u32 v6, -12, v8 :: v_dual_add_nc_u32 v28, 1, v13
	v_lshl_add_u64 v[24:25], v[6:7], 2, s[8:9]
	v_dual_add_nc_u32 v6, -8, v8 :: v_dual_add_nc_u32 v29, 2, v13
	s_clause 0x1
	global_load_b128 v[14:17], v[22:23], off
	global_load_b128 v[18:21], v[24:25], off
	global_load_b32 v34, v13, s[10:11] scale_offset
	v_add_nc_u32_e32 v35, 3, v13
	v_lshl_add_u64 v[26:27], v[6:7], 2, s[8:9]
	v_add_nc_u32_e32 v6, -4, v8
	global_load_b32 v36, v28, s[10:11] scale_offset
	global_load_b128 v[22:25], v[26:27], off
	v_add_nc_u32_e32 v9, 4, v13
	s_wait_xcnt 0x0
	v_lshl_add_u64 v[26:27], v[6:7], 2, s[8:9]
	global_load_b32 v6, v29, s[10:11] scale_offset
	v_add_nc_u32_e32 v8, 0x280, v8
	global_load_b128 v[26:29], v[26:27], off
	global_load_b32 v40, v35, s[10:11] scale_offset
	global_load_b128 v[30:33], v[38:39], off
	global_load_b32 v42, v9, s[10:11] scale_offset
	s_wait_loadcnt 0x7
	v_pk_fma_f32 v[4:5], v[14:15], v[34:35], v[4:5] op_sel_hi:[1,0,1]
	v_pk_fma_f32 v[0:1], v[16:17], v[34:35], v[0:1] op_sel_hi:[1,0,1]
	s_wait_loadcnt 0x6
	s_delay_alu instid0(VALU_DEP_2) | instskip(NEXT) | instid1(VALU_DEP_2)
	v_pk_fma_f32 v[4:5], v[18:19], v[36:37], v[4:5] op_sel_hi:[1,0,1]
	v_pk_fma_f32 v[0:1], v[20:21], v[36:37], v[0:1] op_sel_hi:[1,0,1]
	s_wait_loadcnt 0x4
	s_delay_alu instid0(VALU_DEP_2) | instskip(NEXT) | instid1(VALU_DEP_2)
	;; [unrolled: 4-line block ×4, first 2 shown]
	v_pk_fma_f32 v[4:5], v[30:31], v[42:43], v[4:5] op_sel_hi:[1,0,1]
	v_pk_fma_f32 v[0:1], v[32:33], v[42:43], v[0:1] op_sel_hi:[1,0,1]
	s_and_not1_b32 exec_lo, exec_lo, s4
	s_cbranch_execnz .LBB18_9
; %bb.10:
	s_or_b32 exec_lo, exec_lo, s4
.LBB18_11:
	s_delay_alu instid0(SALU_CYCLE_1)
	s_or_b32 exec_lo, exec_lo, s3
	s_cbranch_execz .LBB18_13
	s_branch .LBB18_18
.LBB18_12:
                                        ; implicit-def: $vgpr1
                                        ; implicit-def: $vgpr5
.LBB18_13:
	v_mov_b32_e32 v1, 0
	s_delay_alu instid0(VALU_DEP_1)
	v_dual_mov_b32 v0, v1 :: v_dual_mov_b32 v5, v1
	v_mov_b32_e32 v4, v1
	s_and_saveexec_b32 s3, s2
	s_cbranch_execz .LBB18_17
; %bb.14:
	v_mad_u32 v8, v11, 20, 19
	v_mov_b32_e32 v7, 0
	s_mov_b32 s2, 0
	s_delay_alu instid0(VALU_DEP_1)
	v_dual_mov_b32 v0, v7 :: v_dual_mov_b32 v1, v7
	v_dual_mov_b32 v4, v7 :: v_dual_mov_b32 v5, v7
.LBB18_15:                              ; =>This Inner Loop Header: Depth=1
	global_load_b32 v9, v11, s[6:7] scale_offset
	v_subrev_nc_u32_e32 v6, 19, v8
	v_dual_add_nc_u32 v18, -14, v8 :: v_dual_add_nc_u32 v22, -9, v8
	v_dual_add_nc_u32 v24, -4, v8 :: v_dual_add_nc_u32 v12, -13, v8
	;; [unrolled: 1-line block ×3, first 2 shown]
	s_delay_alu instid0(VALU_DEP_4)
	v_lshl_add_u64 v[16:17], v[6:7], 2, s[8:9]
	v_dual_add_nc_u32 v15, -12, v8 :: v_dual_add_nc_u32 v28, -7, v8
	s_clause 0x5
	global_load_b32 v19, v12, s[8:9] scale_offset
	global_load_b32 v20, v13, s[8:9] scale_offset
	;; [unrolled: 1-line block ×5, first 2 shown]
	global_load_b128 v[12:15], v[16:17], off
	v_dual_add_nc_u32 v29, -2, v8 :: v_dual_add_nc_u32 v31, -11, v8
	v_dual_add_nc_u32 v32, -6, v8 :: v_dual_add_nc_u32 v33, -1, v8
	;; [unrolled: 1-line block ×3, first 2 shown]
	v_add_nc_u32_e32 v11, 32, v11
	s_delay_alu instid0(VALU_DEP_1) | instskip(SKIP_3) | instid1(VALU_DEP_1)
	v_cmp_ge_i32_e32 vcc_lo, v11, v10
	s_or_b32 s2, vcc_lo, s2
	s_wait_loadcnt 0x6
	v_subrev_nc_u32_e32 v6, s16, v9
	v_lshl_add_u32 v9, v6, 2, v6
	s_clause 0x1
	global_load_b32 v16, v22, s[8:9] scale_offset
	global_load_b32 v17, v24, s[8:9] scale_offset
	;; [unrolled: 1-line block ×3, first 2 shown]
	v_dual_add_nc_u32 v41, -5, v8 :: v_dual_add_nc_u32 v18, 1, v9
	s_clause 0x1
	global_load_b32 v26, v28, s[8:9] scale_offset
	global_load_b32 v27, v29, s[8:9] scale_offset
	;; [unrolled: 1-line block ×3, first 2 shown]
	s_clause 0x1
	global_load_b32 v29, v31, s[8:9] scale_offset
	global_load_b32 v30, v32, s[8:9] scale_offset
	s_wait_xcnt 0x2
	v_dual_add_nc_u32 v22, 2, v9 :: v_dual_add_nc_u32 v18, 3, v9
	global_load_b32 v32, v22, s[10:11] scale_offset
	s_clause 0x1
	global_load_b32 v31, v33, s[8:9] scale_offset
	global_load_b32 v34, v35, s[8:9] scale_offset
	s_wait_loadcnt 0xb
	v_dual_mov_b32 v24, v12 :: v_dual_add_nc_u32 v9, 4, v9
	global_load_b32 v36, v18, s[10:11] scale_offset
	s_clause 0x2
	global_load_b32 v35, v37, s[8:9] scale_offset
	global_load_b32 v38, v41, s[8:9] scale_offset
	;; [unrolled: 1-line block ×4, first 2 shown]
	s_wait_xcnt 0x4
	v_dual_mov_b32 v18, v13 :: v_dual_mov_b32 v22, v14
	s_wait_xcnt 0x1
	v_add_nc_u32_e32 v8, 0x280, v8
	s_wait_loadcnt 0xd
	v_pk_fma_f32 v[4:5], v[24:25], v[6:7], v[4:5] op_sel_hi:[1,0,1]
	v_pk_fma_f32 v[0:1], v[16:17], v[6:7], v[0:1] op_sel_hi:[1,0,1]
	s_wait_loadcnt 0x9
	s_delay_alu instid0(VALU_DEP_2) | instskip(NEXT) | instid1(VALU_DEP_2)
	v_pk_fma_f32 v[4:5], v[18:19], v[28:29], v[4:5] op_sel_hi:[1,0,1]
	v_pk_fma_f32 v[0:1], v[20:21], v[28:29], v[0:1] op_sel_hi:[1,0,1]
	v_mov_b32_e32 v28, v15
	s_wait_loadcnt 0x7
	s_delay_alu instid0(VALU_DEP_3) | instskip(NEXT) | instid1(VALU_DEP_3)
	v_pk_fma_f32 v[4:5], v[22:23], v[32:33], v[4:5] op_sel_hi:[1,0,1]
	v_pk_fma_f32 v[0:1], v[26:27], v[32:33], v[0:1] op_sel_hi:[1,0,1]
	s_wait_loadcnt 0x4
	s_delay_alu instid0(VALU_DEP_2) | instskip(NEXT) | instid1(VALU_DEP_2)
	v_pk_fma_f32 v[4:5], v[28:29], v[36:37], v[4:5] op_sel_hi:[1,0,1]
	v_pk_fma_f32 v[0:1], v[30:31], v[36:37], v[0:1] op_sel_hi:[1,0,1]
	s_wait_loadcnt 0x0
	s_delay_alu instid0(VALU_DEP_2) | instskip(NEXT) | instid1(VALU_DEP_2)
	v_pk_fma_f32 v[4:5], v[34:35], v[40:41], v[4:5] op_sel_hi:[1,0,1]
	v_pk_fma_f32 v[0:1], v[38:39], v[40:41], v[0:1] op_sel_hi:[1,0,1]
	s_and_not1_b32 exec_lo, exec_lo, s2
	s_cbranch_execnz .LBB18_15
; %bb.16:
	s_or_b32 exec_lo, exec_lo, s2
.LBB18_17:
	s_delay_alu instid0(SALU_CYCLE_1)
	s_or_b32 exec_lo, exec_lo, s3
.LBB18_18:
	v_mbcnt_lo_u32_b32 v10, -1, 0
	s_mov_b32 s2, -1
	s_delay_alu instid0(VALU_DEP_1) | instskip(SKIP_1) | instid1(VALU_DEP_1)
	v_xor_b32_e32 v11, 8, v10
	v_xor_b32_e32 v6, 16, v10
	v_cmp_gt_i32_e32 vcc_lo, 32, v6
	v_cndmask_b32_e32 v6, v10, v6, vcc_lo
	s_delay_alu instid0(VALU_DEP_4) | instskip(SKIP_1) | instid1(VALU_DEP_1)
	v_cmp_gt_i32_e32 vcc_lo, 32, v11
	v_cndmask_b32_e32 v11, v10, v11, vcc_lo
	v_dual_lshlrev_b32 v11, 2, v11 :: v_dual_lshlrev_b32 v9, 2, v6
	ds_bpermute_b32 v6, v9, v4
	ds_bpermute_b32 v7, v9, v5
	;; [unrolled: 1-line block ×4, first 2 shown]
	s_wait_dscnt 0x2
	v_pk_add_f32 v[4:5], v[4:5], v[6:7]
	s_wait_dscnt 0x0
	v_pk_add_f32 v[0:1], v[0:1], v[8:9]
	ds_bpermute_b32 v6, v11, v4
	ds_bpermute_b32 v7, v11, v5
	;; [unrolled: 1-line block ×4, first 2 shown]
	v_xor_b32_e32 v11, 4, v10
	s_delay_alu instid0(VALU_DEP_1) | instskip(SKIP_1) | instid1(VALU_DEP_1)
	v_cmp_gt_i32_e32 vcc_lo, 32, v11
	v_cndmask_b32_e32 v11, v10, v11, vcc_lo
	v_lshlrev_b32_e32 v11, 2, v11
	s_wait_dscnt 0x2
	v_pk_add_f32 v[4:5], v[4:5], v[6:7]
	s_wait_dscnt 0x0
	v_pk_add_f32 v[0:1], v[0:1], v[8:9]
	ds_bpermute_b32 v6, v11, v4
	ds_bpermute_b32 v7, v11, v5
	;; [unrolled: 1-line block ×4, first 2 shown]
	v_xor_b32_e32 v11, 2, v10
	s_delay_alu instid0(VALU_DEP_1) | instskip(SKIP_1) | instid1(VALU_DEP_1)
	v_cmp_gt_i32_e32 vcc_lo, 32, v11
	v_cndmask_b32_e32 v11, v10, v11, vcc_lo
	v_lshlrev_b32_e32 v11, 2, v11
	s_wait_dscnt 0x2
	v_pk_add_f32 v[4:5], v[4:5], v[6:7]
	s_wait_dscnt 0x0
	v_pk_add_f32 v[6:7], v[0:1], v[8:9]
	ds_bpermute_b32 v0, v11, v4
	ds_bpermute_b32 v1, v11, v5
	ds_bpermute_b32 v8, v11, v6
	ds_bpermute_b32 v9, v11, v7
	v_xor_b32_e32 v11, 1, v10
	s_delay_alu instid0(VALU_DEP_1) | instskip(SKIP_2) | instid1(VALU_DEP_2)
	v_cmp_gt_i32_e32 vcc_lo, 32, v11
	v_cndmask_b32_e32 v10, v10, v11, vcc_lo
	v_cmp_eq_u32_e32 vcc_lo, 31, v3
	v_lshlrev_b32_e32 v10, 2, v10
	s_wait_dscnt 0x2
	v_pk_add_f32 v[0:1], v[4:5], v[0:1]
	s_wait_dscnt 0x0
	v_pk_add_f32 v[6:7], v[6:7], v[8:9]
	ds_bpermute_b32 v4, v10, v0
	ds_bpermute_b32 v5, v10, v1
	;; [unrolled: 1-line block ×4, first 2 shown]
	s_and_b32 exec_lo, exec_lo, vcc_lo
	s_cbranch_execz .LBB18_23
; %bb.19:
	s_load_b64 s[0:1], s[0:1], 0x38
	s_wait_dscnt 0x2
	v_pk_add_f32 v[4:5], v[0:1], v[4:5]
	s_wait_dscnt 0x0
	v_pk_add_f32 v[0:1], v[6:7], v[8:9]
	v_lshlrev_b32_e32 v2, 2, v2
	s_cmp_eq_f32 s12, 0
	s_cbranch_scc0 .LBB18_21
; %bb.20:
	s_delay_alu instid0(VALU_DEP_1)
	v_ashrrev_i32_e32 v3, 31, v2
	v_pk_mul_f32 v[6:7], s[14:15], v[4:5] op_sel_hi:[0,1]
	v_pk_mul_f32 v[8:9], s[14:15], v[0:1] op_sel_hi:[0,1]
	s_mov_b32 s2, 0
	s_wait_kmcnt 0x0
	v_lshl_add_u64 v[10:11], v[2:3], 2, s[0:1]
	global_store_b128 v[10:11], v[6:9], off
.LBB18_21:
	s_and_not1_b32 vcc_lo, exec_lo, s2
	s_cbranch_vccnz .LBB18_23
; %bb.22:
	v_ashrrev_i32_e32 v3, 31, v2
	s_wait_kmcnt 0x0
	s_delay_alu instid0(VALU_DEP_1)
	v_lshl_add_u64 v[10:11], v[2:3], 2, s[0:1]
	v_pk_mul_f32 v[2:3], s[14:15], v[4:5] op_sel_hi:[0,1]
	v_pk_mul_f32 v[4:5], s[14:15], v[0:1] op_sel_hi:[0,1]
	global_load_b128 v[6:9], v[10:11], off
	s_wait_loadcnt 0x0
	v_pk_fma_f32 v[0:1], s[12:13], v[6:7], v[2:3] op_sel_hi:[0,1,1]
	v_pk_fma_f32 v[2:3], s[12:13], v[8:9], v[4:5] op_sel_hi:[0,1,1]
	global_store_b128 v[10:11], v[0:3], off
.LBB18_23:
	s_endpgm
	.section	.rodata,"a",@progbits
	.p2align	6, 0x0
	.amdhsa_kernel _ZN9rocsparseL19gebsrmvn_4xn_kernelILj128ELj5ELj32EfEEvi20rocsparse_direction_NS_24const_host_device_scalarIT2_EEPKiS6_PKS3_S8_S4_PS3_21rocsparse_index_base_b
		.amdhsa_group_segment_fixed_size 0
		.amdhsa_private_segment_fixed_size 0
		.amdhsa_kernarg_size 72
		.amdhsa_user_sgpr_count 2
		.amdhsa_user_sgpr_dispatch_ptr 0
		.amdhsa_user_sgpr_queue_ptr 0
		.amdhsa_user_sgpr_kernarg_segment_ptr 1
		.amdhsa_user_sgpr_dispatch_id 0
		.amdhsa_user_sgpr_kernarg_preload_length 0
		.amdhsa_user_sgpr_kernarg_preload_offset 0
		.amdhsa_user_sgpr_private_segment_size 0
		.amdhsa_wavefront_size32 1
		.amdhsa_uses_dynamic_stack 0
		.amdhsa_enable_private_segment 0
		.amdhsa_system_sgpr_workgroup_id_x 1
		.amdhsa_system_sgpr_workgroup_id_y 0
		.amdhsa_system_sgpr_workgroup_id_z 0
		.amdhsa_system_sgpr_workgroup_info 0
		.amdhsa_system_vgpr_workitem_id 0
		.amdhsa_next_free_vgpr 44
		.amdhsa_next_free_sgpr 18
		.amdhsa_named_barrier_count 0
		.amdhsa_reserve_vcc 1
		.amdhsa_float_round_mode_32 0
		.amdhsa_float_round_mode_16_64 0
		.amdhsa_float_denorm_mode_32 3
		.amdhsa_float_denorm_mode_16_64 3
		.amdhsa_fp16_overflow 0
		.amdhsa_memory_ordered 1
		.amdhsa_forward_progress 1
		.amdhsa_inst_pref_size 16
		.amdhsa_round_robin_scheduling 0
		.amdhsa_exception_fp_ieee_invalid_op 0
		.amdhsa_exception_fp_denorm_src 0
		.amdhsa_exception_fp_ieee_div_zero 0
		.amdhsa_exception_fp_ieee_overflow 0
		.amdhsa_exception_fp_ieee_underflow 0
		.amdhsa_exception_fp_ieee_inexact 0
		.amdhsa_exception_int_div_zero 0
	.end_amdhsa_kernel
	.section	.text._ZN9rocsparseL19gebsrmvn_4xn_kernelILj128ELj5ELj32EfEEvi20rocsparse_direction_NS_24const_host_device_scalarIT2_EEPKiS6_PKS3_S8_S4_PS3_21rocsparse_index_base_b,"axG",@progbits,_ZN9rocsparseL19gebsrmvn_4xn_kernelILj128ELj5ELj32EfEEvi20rocsparse_direction_NS_24const_host_device_scalarIT2_EEPKiS6_PKS3_S8_S4_PS3_21rocsparse_index_base_b,comdat
.Lfunc_end18:
	.size	_ZN9rocsparseL19gebsrmvn_4xn_kernelILj128ELj5ELj32EfEEvi20rocsparse_direction_NS_24const_host_device_scalarIT2_EEPKiS6_PKS3_S8_S4_PS3_21rocsparse_index_base_b, .Lfunc_end18-_ZN9rocsparseL19gebsrmvn_4xn_kernelILj128ELj5ELj32EfEEvi20rocsparse_direction_NS_24const_host_device_scalarIT2_EEPKiS6_PKS3_S8_S4_PS3_21rocsparse_index_base_b
                                        ; -- End function
	.set _ZN9rocsparseL19gebsrmvn_4xn_kernelILj128ELj5ELj32EfEEvi20rocsparse_direction_NS_24const_host_device_scalarIT2_EEPKiS6_PKS3_S8_S4_PS3_21rocsparse_index_base_b.num_vgpr, 44
	.set _ZN9rocsparseL19gebsrmvn_4xn_kernelILj128ELj5ELj32EfEEvi20rocsparse_direction_NS_24const_host_device_scalarIT2_EEPKiS6_PKS3_S8_S4_PS3_21rocsparse_index_base_b.num_agpr, 0
	.set _ZN9rocsparseL19gebsrmvn_4xn_kernelILj128ELj5ELj32EfEEvi20rocsparse_direction_NS_24const_host_device_scalarIT2_EEPKiS6_PKS3_S8_S4_PS3_21rocsparse_index_base_b.numbered_sgpr, 18
	.set _ZN9rocsparseL19gebsrmvn_4xn_kernelILj128ELj5ELj32EfEEvi20rocsparse_direction_NS_24const_host_device_scalarIT2_EEPKiS6_PKS3_S8_S4_PS3_21rocsparse_index_base_b.num_named_barrier, 0
	.set _ZN9rocsparseL19gebsrmvn_4xn_kernelILj128ELj5ELj32EfEEvi20rocsparse_direction_NS_24const_host_device_scalarIT2_EEPKiS6_PKS3_S8_S4_PS3_21rocsparse_index_base_b.private_seg_size, 0
	.set _ZN9rocsparseL19gebsrmvn_4xn_kernelILj128ELj5ELj32EfEEvi20rocsparse_direction_NS_24const_host_device_scalarIT2_EEPKiS6_PKS3_S8_S4_PS3_21rocsparse_index_base_b.uses_vcc, 1
	.set _ZN9rocsparseL19gebsrmvn_4xn_kernelILj128ELj5ELj32EfEEvi20rocsparse_direction_NS_24const_host_device_scalarIT2_EEPKiS6_PKS3_S8_S4_PS3_21rocsparse_index_base_b.uses_flat_scratch, 0
	.set _ZN9rocsparseL19gebsrmvn_4xn_kernelILj128ELj5ELj32EfEEvi20rocsparse_direction_NS_24const_host_device_scalarIT2_EEPKiS6_PKS3_S8_S4_PS3_21rocsparse_index_base_b.has_dyn_sized_stack, 0
	.set _ZN9rocsparseL19gebsrmvn_4xn_kernelILj128ELj5ELj32EfEEvi20rocsparse_direction_NS_24const_host_device_scalarIT2_EEPKiS6_PKS3_S8_S4_PS3_21rocsparse_index_base_b.has_recursion, 0
	.set _ZN9rocsparseL19gebsrmvn_4xn_kernelILj128ELj5ELj32EfEEvi20rocsparse_direction_NS_24const_host_device_scalarIT2_EEPKiS6_PKS3_S8_S4_PS3_21rocsparse_index_base_b.has_indirect_call, 0
	.section	.AMDGPU.csdata,"",@progbits
; Kernel info:
; codeLenInByte = 2040
; TotalNumSgprs: 20
; NumVgprs: 44
; ScratchSize: 0
; MemoryBound: 0
; FloatMode: 240
; IeeeMode: 1
; LDSByteSize: 0 bytes/workgroup (compile time only)
; SGPRBlocks: 0
; VGPRBlocks: 2
; NumSGPRsForWavesPerEU: 20
; NumVGPRsForWavesPerEU: 44
; NamedBarCnt: 0
; Occupancy: 16
; WaveLimiterHint : 1
; COMPUTE_PGM_RSRC2:SCRATCH_EN: 0
; COMPUTE_PGM_RSRC2:USER_SGPR: 2
; COMPUTE_PGM_RSRC2:TRAP_HANDLER: 0
; COMPUTE_PGM_RSRC2:TGID_X_EN: 1
; COMPUTE_PGM_RSRC2:TGID_Y_EN: 0
; COMPUTE_PGM_RSRC2:TGID_Z_EN: 0
; COMPUTE_PGM_RSRC2:TIDIG_COMP_CNT: 0
	.section	.text._ZN9rocsparseL19gebsrmvn_4xn_kernelILj128ELj5ELj64EfEEvi20rocsparse_direction_NS_24const_host_device_scalarIT2_EEPKiS6_PKS3_S8_S4_PS3_21rocsparse_index_base_b,"axG",@progbits,_ZN9rocsparseL19gebsrmvn_4xn_kernelILj128ELj5ELj64EfEEvi20rocsparse_direction_NS_24const_host_device_scalarIT2_EEPKiS6_PKS3_S8_S4_PS3_21rocsparse_index_base_b,comdat
	.globl	_ZN9rocsparseL19gebsrmvn_4xn_kernelILj128ELj5ELj64EfEEvi20rocsparse_direction_NS_24const_host_device_scalarIT2_EEPKiS6_PKS3_S8_S4_PS3_21rocsparse_index_base_b ; -- Begin function _ZN9rocsparseL19gebsrmvn_4xn_kernelILj128ELj5ELj64EfEEvi20rocsparse_direction_NS_24const_host_device_scalarIT2_EEPKiS6_PKS3_S8_S4_PS3_21rocsparse_index_base_b
	.p2align	8
	.type	_ZN9rocsparseL19gebsrmvn_4xn_kernelILj128ELj5ELj64EfEEvi20rocsparse_direction_NS_24const_host_device_scalarIT2_EEPKiS6_PKS3_S8_S4_PS3_21rocsparse_index_base_b,@function
_ZN9rocsparseL19gebsrmvn_4xn_kernelILj128ELj5ELj64EfEEvi20rocsparse_direction_NS_24const_host_device_scalarIT2_EEPKiS6_PKS3_S8_S4_PS3_21rocsparse_index_base_b: ; @_ZN9rocsparseL19gebsrmvn_4xn_kernelILj128ELj5ELj64EfEEvi20rocsparse_direction_NS_24const_host_device_scalarIT2_EEPKiS6_PKS3_S8_S4_PS3_21rocsparse_index_base_b
; %bb.0:
	s_clause 0x2
	s_load_b64 s[16:17], s[0:1], 0x40
	s_load_b64 s[14:15], s[0:1], 0x8
	;; [unrolled: 1-line block ×3, first 2 shown]
	s_wait_kmcnt 0x0
	s_bitcmp1_b32 s17, 0
	s_cselect_b32 s2, -1, 0
	s_delay_alu instid0(SALU_CYCLE_1)
	s_and_b32 vcc_lo, exec_lo, s2
	s_xor_b32 s2, s2, -1
	s_cbranch_vccnz .LBB19_2
; %bb.1:
	s_load_b32 s14, s[14:15], 0x0
.LBB19_2:
	s_and_not1_b32 vcc_lo, exec_lo, s2
	s_cbranch_vccnz .LBB19_4
; %bb.3:
	s_load_b32 s12, s[12:13], 0x0
.LBB19_4:
	s_wait_kmcnt 0x0
	s_cmp_eq_f32 s14, 0
	s_cselect_b32 s2, -1, 0
	s_cmp_eq_f32 s12, 1.0
	s_cselect_b32 s3, -1, 0
	s_delay_alu instid0(SALU_CYCLE_1) | instskip(NEXT) | instid1(SALU_CYCLE_1)
	s_and_b32 s2, s2, s3
	s_and_b32 vcc_lo, exec_lo, s2
	s_cbranch_vccnz .LBB19_23
; %bb.5:
	s_load_b64 s[2:3], s[0:1], 0x0
	s_bfe_u32 s4, ttmp6, 0x4000c
	s_and_b32 s5, ttmp6, 15
	s_add_co_i32 s4, s4, 1
	s_getreg_b32 s6, hwreg(HW_REG_IB_STS2, 6, 4)
	s_mul_i32 s4, ttmp9, s4
	v_lshrrev_b32_e32 v1, 6, v0
	s_add_co_i32 s5, s5, s4
	s_cmp_eq_u32 s6, 0
	s_cselect_b32 s4, ttmp9, s5
	s_delay_alu instid0(VALU_DEP_1) | instid1(SALU_CYCLE_1)
	v_lshl_or_b32 v2, s4, 1, v1
	s_wait_kmcnt 0x0
	s_delay_alu instid0(VALU_DEP_1)
	v_cmp_gt_i32_e32 vcc_lo, s2, v2
	s_and_saveexec_b32 s2, vcc_lo
	s_cbranch_execz .LBB19_23
; %bb.6:
	s_load_b256 s[4:11], s[0:1], 0x10
	v_ashrrev_i32_e32 v3, 31, v2
	s_cmp_lg_u32 s3, 0
	s_wait_kmcnt 0x0
	s_delay_alu instid0(VALU_DEP_1)
	v_lshl_add_u64 v[4:5], v[2:3], 2, s[4:5]
	v_and_b32_e32 v3, 63, v0
	global_load_b64 v[4:5], v[4:5], off
	s_wait_loadcnt 0x0
	v_subrev_nc_u32_e32 v0, s16, v4
	v_subrev_nc_u32_e32 v10, s16, v5
	s_delay_alu instid0(VALU_DEP_2) | instskip(NEXT) | instid1(VALU_DEP_1)
	v_add_nc_u32_e32 v11, v0, v3
	v_cmp_lt_i32_e64 s2, v11, v10
	s_cbranch_scc0 .LBB19_12
; %bb.7:
	v_mov_b32_e32 v1, 0
	s_delay_alu instid0(VALU_DEP_1)
	v_dual_mov_b32 v0, v1 :: v_dual_mov_b32 v5, v1
	v_mov_b32_e32 v4, v1
	s_and_saveexec_b32 s3, s2
	s_cbranch_execz .LBB19_11
; %bb.8:
	v_mad_u32 v8, v11, 20, 16
	v_dual_mov_b32 v7, 0 :: v_dual_mov_b32 v12, v11
	s_mov_b32 s4, 0
	s_delay_alu instid0(VALU_DEP_1)
	v_dual_mov_b32 v0, v7 :: v_dual_mov_b32 v1, v7
	v_dual_mov_b32 v4, v7 :: v_dual_mov_b32 v5, v7
.LBB19_9:                               ; =>This Inner Loop Header: Depth=1
	global_load_b32 v13, v12, s[6:7] scale_offset
	v_dual_mov_b32 v9, v7 :: v_dual_add_nc_u32 v6, -16, v8
	s_wait_xcnt 0x0
	v_add_nc_u32_e32 v12, 64, v12
	s_delay_alu instid0(VALU_DEP_2) | instskip(NEXT) | instid1(VALU_DEP_3)
	v_lshl_add_u64 v[22:23], v[6:7], 2, s[8:9]
	v_lshl_add_u64 v[38:39], v[8:9], 2, s[8:9]
	s_delay_alu instid0(VALU_DEP_3) | instskip(SKIP_3) | instid1(VALU_DEP_1)
	v_cmp_ge_i32_e32 vcc_lo, v12, v10
	s_or_b32 s4, vcc_lo, s4
	s_wait_loadcnt 0x0
	v_subrev_nc_u32_e32 v13, s16, v13
	v_lshl_add_u32 v13, v13, 2, v13
	s_delay_alu instid0(VALU_DEP_1) | instskip(NEXT) | instid1(VALU_DEP_1)
	v_dual_add_nc_u32 v6, -12, v8 :: v_dual_add_nc_u32 v28, 1, v13
	v_lshl_add_u64 v[24:25], v[6:7], 2, s[8:9]
	v_dual_add_nc_u32 v6, -8, v8 :: v_dual_add_nc_u32 v29, 2, v13
	s_clause 0x1
	global_load_b128 v[14:17], v[22:23], off
	global_load_b128 v[18:21], v[24:25], off
	global_load_b32 v34, v13, s[10:11] scale_offset
	v_add_nc_u32_e32 v35, 3, v13
	v_lshl_add_u64 v[26:27], v[6:7], 2, s[8:9]
	v_add_nc_u32_e32 v6, -4, v8
	global_load_b32 v36, v28, s[10:11] scale_offset
	global_load_b128 v[22:25], v[26:27], off
	v_add_nc_u32_e32 v9, 4, v13
	s_wait_xcnt 0x0
	v_lshl_add_u64 v[26:27], v[6:7], 2, s[8:9]
	global_load_b32 v6, v29, s[10:11] scale_offset
	v_add_nc_u32_e32 v8, 0x500, v8
	global_load_b128 v[26:29], v[26:27], off
	global_load_b32 v40, v35, s[10:11] scale_offset
	global_load_b128 v[30:33], v[38:39], off
	global_load_b32 v42, v9, s[10:11] scale_offset
	s_wait_loadcnt 0x7
	v_pk_fma_f32 v[4:5], v[14:15], v[34:35], v[4:5] op_sel_hi:[1,0,1]
	v_pk_fma_f32 v[0:1], v[16:17], v[34:35], v[0:1] op_sel_hi:[1,0,1]
	s_wait_loadcnt 0x6
	s_delay_alu instid0(VALU_DEP_2) | instskip(NEXT) | instid1(VALU_DEP_2)
	v_pk_fma_f32 v[4:5], v[18:19], v[36:37], v[4:5] op_sel_hi:[1,0,1]
	v_pk_fma_f32 v[0:1], v[20:21], v[36:37], v[0:1] op_sel_hi:[1,0,1]
	s_wait_loadcnt 0x4
	s_delay_alu instid0(VALU_DEP_2) | instskip(NEXT) | instid1(VALU_DEP_2)
	;; [unrolled: 4-line block ×4, first 2 shown]
	v_pk_fma_f32 v[4:5], v[30:31], v[42:43], v[4:5] op_sel_hi:[1,0,1]
	v_pk_fma_f32 v[0:1], v[32:33], v[42:43], v[0:1] op_sel_hi:[1,0,1]
	s_and_not1_b32 exec_lo, exec_lo, s4
	s_cbranch_execnz .LBB19_9
; %bb.10:
	s_or_b32 exec_lo, exec_lo, s4
.LBB19_11:
	s_delay_alu instid0(SALU_CYCLE_1)
	s_or_b32 exec_lo, exec_lo, s3
	s_cbranch_execz .LBB19_13
	s_branch .LBB19_18
.LBB19_12:
                                        ; implicit-def: $vgpr1
                                        ; implicit-def: $vgpr5
.LBB19_13:
	v_mov_b32_e32 v1, 0
	s_delay_alu instid0(VALU_DEP_1)
	v_dual_mov_b32 v0, v1 :: v_dual_mov_b32 v5, v1
	v_mov_b32_e32 v4, v1
	s_and_saveexec_b32 s3, s2
	s_cbranch_execz .LBB19_17
; %bb.14:
	v_mad_u32 v8, v11, 20, 19
	v_mov_b32_e32 v7, 0
	s_mov_b32 s2, 0
	s_delay_alu instid0(VALU_DEP_1)
	v_dual_mov_b32 v0, v7 :: v_dual_mov_b32 v1, v7
	v_dual_mov_b32 v4, v7 :: v_dual_mov_b32 v5, v7
.LBB19_15:                              ; =>This Inner Loop Header: Depth=1
	global_load_b32 v9, v11, s[6:7] scale_offset
	v_subrev_nc_u32_e32 v6, 19, v8
	v_dual_add_nc_u32 v18, -14, v8 :: v_dual_add_nc_u32 v22, -9, v8
	v_dual_add_nc_u32 v24, -4, v8 :: v_dual_add_nc_u32 v12, -13, v8
	;; [unrolled: 1-line block ×3, first 2 shown]
	s_delay_alu instid0(VALU_DEP_4)
	v_lshl_add_u64 v[16:17], v[6:7], 2, s[8:9]
	v_dual_add_nc_u32 v15, -12, v8 :: v_dual_add_nc_u32 v28, -7, v8
	s_clause 0x5
	global_load_b32 v19, v12, s[8:9] scale_offset
	global_load_b32 v20, v13, s[8:9] scale_offset
	;; [unrolled: 1-line block ×5, first 2 shown]
	global_load_b128 v[12:15], v[16:17], off
	v_dual_add_nc_u32 v29, -2, v8 :: v_dual_add_nc_u32 v31, -11, v8
	v_dual_add_nc_u32 v32, -6, v8 :: v_dual_add_nc_u32 v33, -1, v8
	;; [unrolled: 1-line block ×3, first 2 shown]
	v_add_nc_u32_e32 v11, 64, v11
	s_delay_alu instid0(VALU_DEP_1) | instskip(SKIP_3) | instid1(VALU_DEP_1)
	v_cmp_ge_i32_e32 vcc_lo, v11, v10
	s_or_b32 s2, vcc_lo, s2
	s_wait_loadcnt 0x6
	v_subrev_nc_u32_e32 v6, s16, v9
	v_lshl_add_u32 v9, v6, 2, v6
	s_clause 0x1
	global_load_b32 v16, v22, s[8:9] scale_offset
	global_load_b32 v17, v24, s[8:9] scale_offset
	;; [unrolled: 1-line block ×3, first 2 shown]
	v_dual_add_nc_u32 v41, -5, v8 :: v_dual_add_nc_u32 v18, 1, v9
	s_clause 0x1
	global_load_b32 v26, v28, s[8:9] scale_offset
	global_load_b32 v27, v29, s[8:9] scale_offset
	;; [unrolled: 1-line block ×3, first 2 shown]
	s_clause 0x1
	global_load_b32 v29, v31, s[8:9] scale_offset
	global_load_b32 v30, v32, s[8:9] scale_offset
	s_wait_xcnt 0x2
	v_dual_add_nc_u32 v22, 2, v9 :: v_dual_add_nc_u32 v18, 3, v9
	global_load_b32 v32, v22, s[10:11] scale_offset
	s_clause 0x1
	global_load_b32 v31, v33, s[8:9] scale_offset
	global_load_b32 v34, v35, s[8:9] scale_offset
	s_wait_loadcnt 0xb
	v_dual_mov_b32 v24, v12 :: v_dual_add_nc_u32 v9, 4, v9
	global_load_b32 v36, v18, s[10:11] scale_offset
	s_clause 0x2
	global_load_b32 v35, v37, s[8:9] scale_offset
	global_load_b32 v38, v41, s[8:9] scale_offset
	;; [unrolled: 1-line block ×4, first 2 shown]
	s_wait_xcnt 0x4
	v_dual_mov_b32 v18, v13 :: v_dual_mov_b32 v22, v14
	s_wait_xcnt 0x1
	v_add_nc_u32_e32 v8, 0x500, v8
	s_wait_loadcnt 0xd
	v_pk_fma_f32 v[4:5], v[24:25], v[6:7], v[4:5] op_sel_hi:[1,0,1]
	v_pk_fma_f32 v[0:1], v[16:17], v[6:7], v[0:1] op_sel_hi:[1,0,1]
	s_wait_loadcnt 0x9
	s_delay_alu instid0(VALU_DEP_2) | instskip(NEXT) | instid1(VALU_DEP_2)
	v_pk_fma_f32 v[4:5], v[18:19], v[28:29], v[4:5] op_sel_hi:[1,0,1]
	v_pk_fma_f32 v[0:1], v[20:21], v[28:29], v[0:1] op_sel_hi:[1,0,1]
	v_mov_b32_e32 v28, v15
	s_wait_loadcnt 0x7
	s_delay_alu instid0(VALU_DEP_3) | instskip(NEXT) | instid1(VALU_DEP_3)
	v_pk_fma_f32 v[4:5], v[22:23], v[32:33], v[4:5] op_sel_hi:[1,0,1]
	v_pk_fma_f32 v[0:1], v[26:27], v[32:33], v[0:1] op_sel_hi:[1,0,1]
	s_wait_loadcnt 0x4
	s_delay_alu instid0(VALU_DEP_2) | instskip(NEXT) | instid1(VALU_DEP_2)
	v_pk_fma_f32 v[4:5], v[28:29], v[36:37], v[4:5] op_sel_hi:[1,0,1]
	v_pk_fma_f32 v[0:1], v[30:31], v[36:37], v[0:1] op_sel_hi:[1,0,1]
	s_wait_loadcnt 0x0
	s_delay_alu instid0(VALU_DEP_2) | instskip(NEXT) | instid1(VALU_DEP_2)
	v_pk_fma_f32 v[4:5], v[34:35], v[40:41], v[4:5] op_sel_hi:[1,0,1]
	v_pk_fma_f32 v[0:1], v[38:39], v[40:41], v[0:1] op_sel_hi:[1,0,1]
	s_and_not1_b32 exec_lo, exec_lo, s2
	s_cbranch_execnz .LBB19_15
; %bb.16:
	s_or_b32 exec_lo, exec_lo, s2
.LBB19_17:
	s_delay_alu instid0(SALU_CYCLE_1)
	s_or_b32 exec_lo, exec_lo, s3
.LBB19_18:
	v_mbcnt_lo_u32_b32 v10, -1, 0
	s_mov_b32 s2, -1
	s_delay_alu instid0(VALU_DEP_1) | instskip(SKIP_1) | instid1(VALU_DEP_1)
	v_xor_b32_e32 v11, 16, v10
	v_or_b32_e32 v6, 32, v10
	v_cmp_gt_i32_e32 vcc_lo, 32, v6
	v_cndmask_b32_e32 v6, v10, v6, vcc_lo
	s_delay_alu instid0(VALU_DEP_4) | instskip(SKIP_1) | instid1(VALU_DEP_1)
	v_cmp_gt_i32_e32 vcc_lo, 32, v11
	v_cndmask_b32_e32 v11, v10, v11, vcc_lo
	v_dual_lshlrev_b32 v11, 2, v11 :: v_dual_lshlrev_b32 v9, 2, v6
	ds_bpermute_b32 v6, v9, v4
	ds_bpermute_b32 v7, v9, v5
	;; [unrolled: 1-line block ×4, first 2 shown]
	s_wait_dscnt 0x2
	v_pk_add_f32 v[4:5], v[4:5], v[6:7]
	s_wait_dscnt 0x0
	v_pk_add_f32 v[0:1], v[0:1], v[8:9]
	ds_bpermute_b32 v6, v11, v4
	ds_bpermute_b32 v7, v11, v5
	ds_bpermute_b32 v8, v11, v0
	ds_bpermute_b32 v9, v11, v1
	v_xor_b32_e32 v11, 8, v10
	s_delay_alu instid0(VALU_DEP_1) | instskip(SKIP_1) | instid1(VALU_DEP_1)
	v_cmp_gt_i32_e32 vcc_lo, 32, v11
	v_cndmask_b32_e32 v11, v10, v11, vcc_lo
	v_lshlrev_b32_e32 v11, 2, v11
	s_wait_dscnt 0x2
	v_pk_add_f32 v[4:5], v[4:5], v[6:7]
	s_wait_dscnt 0x0
	v_pk_add_f32 v[0:1], v[0:1], v[8:9]
	ds_bpermute_b32 v6, v11, v4
	ds_bpermute_b32 v7, v11, v5
	ds_bpermute_b32 v8, v11, v0
	ds_bpermute_b32 v9, v11, v1
	v_xor_b32_e32 v11, 4, v10
	s_delay_alu instid0(VALU_DEP_1) | instskip(SKIP_1) | instid1(VALU_DEP_1)
	v_cmp_gt_i32_e32 vcc_lo, 32, v11
	v_cndmask_b32_e32 v11, v10, v11, vcc_lo
	v_lshlrev_b32_e32 v11, 2, v11
	;; [unrolled: 13-line block ×3, first 2 shown]
	s_wait_dscnt 0x2
	v_pk_add_f32 v[4:5], v[4:5], v[6:7]
	s_wait_dscnt 0x0
	v_pk_add_f32 v[6:7], v[0:1], v[8:9]
	ds_bpermute_b32 v0, v11, v4
	ds_bpermute_b32 v1, v11, v5
	;; [unrolled: 1-line block ×4, first 2 shown]
	v_xor_b32_e32 v11, 1, v10
	s_delay_alu instid0(VALU_DEP_1) | instskip(SKIP_2) | instid1(VALU_DEP_2)
	v_cmp_gt_i32_e32 vcc_lo, 32, v11
	v_cndmask_b32_e32 v10, v10, v11, vcc_lo
	v_cmp_eq_u32_e32 vcc_lo, 63, v3
	v_lshlrev_b32_e32 v10, 2, v10
	s_wait_dscnt 0x2
	v_pk_add_f32 v[0:1], v[4:5], v[0:1]
	s_wait_dscnt 0x0
	v_pk_add_f32 v[6:7], v[6:7], v[8:9]
	ds_bpermute_b32 v4, v10, v0
	ds_bpermute_b32 v5, v10, v1
	;; [unrolled: 1-line block ×4, first 2 shown]
	s_and_b32 exec_lo, exec_lo, vcc_lo
	s_cbranch_execz .LBB19_23
; %bb.19:
	s_load_b64 s[0:1], s[0:1], 0x38
	s_wait_dscnt 0x2
	v_pk_add_f32 v[4:5], v[0:1], v[4:5]
	s_wait_dscnt 0x0
	v_pk_add_f32 v[0:1], v[6:7], v[8:9]
	v_lshlrev_b32_e32 v2, 2, v2
	s_cmp_eq_f32 s12, 0
	s_cbranch_scc0 .LBB19_21
; %bb.20:
	s_delay_alu instid0(VALU_DEP_1)
	v_ashrrev_i32_e32 v3, 31, v2
	v_pk_mul_f32 v[6:7], s[14:15], v[4:5] op_sel_hi:[0,1]
	v_pk_mul_f32 v[8:9], s[14:15], v[0:1] op_sel_hi:[0,1]
	s_mov_b32 s2, 0
	s_wait_kmcnt 0x0
	v_lshl_add_u64 v[10:11], v[2:3], 2, s[0:1]
	global_store_b128 v[10:11], v[6:9], off
.LBB19_21:
	s_and_not1_b32 vcc_lo, exec_lo, s2
	s_cbranch_vccnz .LBB19_23
; %bb.22:
	v_ashrrev_i32_e32 v3, 31, v2
	s_wait_kmcnt 0x0
	s_delay_alu instid0(VALU_DEP_1)
	v_lshl_add_u64 v[10:11], v[2:3], 2, s[0:1]
	v_pk_mul_f32 v[2:3], s[14:15], v[4:5] op_sel_hi:[0,1]
	v_pk_mul_f32 v[4:5], s[14:15], v[0:1] op_sel_hi:[0,1]
	global_load_b128 v[6:9], v[10:11], off
	s_wait_loadcnt 0x0
	v_pk_fma_f32 v[0:1], s[12:13], v[6:7], v[2:3] op_sel_hi:[0,1,1]
	v_pk_fma_f32 v[2:3], s[12:13], v[8:9], v[4:5] op_sel_hi:[0,1,1]
	global_store_b128 v[10:11], v[0:3], off
.LBB19_23:
	s_endpgm
	.section	.rodata,"a",@progbits
	.p2align	6, 0x0
	.amdhsa_kernel _ZN9rocsparseL19gebsrmvn_4xn_kernelILj128ELj5ELj64EfEEvi20rocsparse_direction_NS_24const_host_device_scalarIT2_EEPKiS6_PKS3_S8_S4_PS3_21rocsparse_index_base_b
		.amdhsa_group_segment_fixed_size 0
		.amdhsa_private_segment_fixed_size 0
		.amdhsa_kernarg_size 72
		.amdhsa_user_sgpr_count 2
		.amdhsa_user_sgpr_dispatch_ptr 0
		.amdhsa_user_sgpr_queue_ptr 0
		.amdhsa_user_sgpr_kernarg_segment_ptr 1
		.amdhsa_user_sgpr_dispatch_id 0
		.amdhsa_user_sgpr_kernarg_preload_length 0
		.amdhsa_user_sgpr_kernarg_preload_offset 0
		.amdhsa_user_sgpr_private_segment_size 0
		.amdhsa_wavefront_size32 1
		.amdhsa_uses_dynamic_stack 0
		.amdhsa_enable_private_segment 0
		.amdhsa_system_sgpr_workgroup_id_x 1
		.amdhsa_system_sgpr_workgroup_id_y 0
		.amdhsa_system_sgpr_workgroup_id_z 0
		.amdhsa_system_sgpr_workgroup_info 0
		.amdhsa_system_vgpr_workitem_id 0
		.amdhsa_next_free_vgpr 44
		.amdhsa_next_free_sgpr 18
		.amdhsa_named_barrier_count 0
		.amdhsa_reserve_vcc 1
		.amdhsa_float_round_mode_32 0
		.amdhsa_float_round_mode_16_64 0
		.amdhsa_float_denorm_mode_32 3
		.amdhsa_float_denorm_mode_16_64 3
		.amdhsa_fp16_overflow 0
		.amdhsa_memory_ordered 1
		.amdhsa_forward_progress 1
		.amdhsa_inst_pref_size 17
		.amdhsa_round_robin_scheduling 0
		.amdhsa_exception_fp_ieee_invalid_op 0
		.amdhsa_exception_fp_denorm_src 0
		.amdhsa_exception_fp_ieee_div_zero 0
		.amdhsa_exception_fp_ieee_overflow 0
		.amdhsa_exception_fp_ieee_underflow 0
		.amdhsa_exception_fp_ieee_inexact 0
		.amdhsa_exception_int_div_zero 0
	.end_amdhsa_kernel
	.section	.text._ZN9rocsparseL19gebsrmvn_4xn_kernelILj128ELj5ELj64EfEEvi20rocsparse_direction_NS_24const_host_device_scalarIT2_EEPKiS6_PKS3_S8_S4_PS3_21rocsparse_index_base_b,"axG",@progbits,_ZN9rocsparseL19gebsrmvn_4xn_kernelILj128ELj5ELj64EfEEvi20rocsparse_direction_NS_24const_host_device_scalarIT2_EEPKiS6_PKS3_S8_S4_PS3_21rocsparse_index_base_b,comdat
.Lfunc_end19:
	.size	_ZN9rocsparseL19gebsrmvn_4xn_kernelILj128ELj5ELj64EfEEvi20rocsparse_direction_NS_24const_host_device_scalarIT2_EEPKiS6_PKS3_S8_S4_PS3_21rocsparse_index_base_b, .Lfunc_end19-_ZN9rocsparseL19gebsrmvn_4xn_kernelILj128ELj5ELj64EfEEvi20rocsparse_direction_NS_24const_host_device_scalarIT2_EEPKiS6_PKS3_S8_S4_PS3_21rocsparse_index_base_b
                                        ; -- End function
	.set _ZN9rocsparseL19gebsrmvn_4xn_kernelILj128ELj5ELj64EfEEvi20rocsparse_direction_NS_24const_host_device_scalarIT2_EEPKiS6_PKS3_S8_S4_PS3_21rocsparse_index_base_b.num_vgpr, 44
	.set _ZN9rocsparseL19gebsrmvn_4xn_kernelILj128ELj5ELj64EfEEvi20rocsparse_direction_NS_24const_host_device_scalarIT2_EEPKiS6_PKS3_S8_S4_PS3_21rocsparse_index_base_b.num_agpr, 0
	.set _ZN9rocsparseL19gebsrmvn_4xn_kernelILj128ELj5ELj64EfEEvi20rocsparse_direction_NS_24const_host_device_scalarIT2_EEPKiS6_PKS3_S8_S4_PS3_21rocsparse_index_base_b.numbered_sgpr, 18
	.set _ZN9rocsparseL19gebsrmvn_4xn_kernelILj128ELj5ELj64EfEEvi20rocsparse_direction_NS_24const_host_device_scalarIT2_EEPKiS6_PKS3_S8_S4_PS3_21rocsparse_index_base_b.num_named_barrier, 0
	.set _ZN9rocsparseL19gebsrmvn_4xn_kernelILj128ELj5ELj64EfEEvi20rocsparse_direction_NS_24const_host_device_scalarIT2_EEPKiS6_PKS3_S8_S4_PS3_21rocsparse_index_base_b.private_seg_size, 0
	.set _ZN9rocsparseL19gebsrmvn_4xn_kernelILj128ELj5ELj64EfEEvi20rocsparse_direction_NS_24const_host_device_scalarIT2_EEPKiS6_PKS3_S8_S4_PS3_21rocsparse_index_base_b.uses_vcc, 1
	.set _ZN9rocsparseL19gebsrmvn_4xn_kernelILj128ELj5ELj64EfEEvi20rocsparse_direction_NS_24const_host_device_scalarIT2_EEPKiS6_PKS3_S8_S4_PS3_21rocsparse_index_base_b.uses_flat_scratch, 0
	.set _ZN9rocsparseL19gebsrmvn_4xn_kernelILj128ELj5ELj64EfEEvi20rocsparse_direction_NS_24const_host_device_scalarIT2_EEPKiS6_PKS3_S8_S4_PS3_21rocsparse_index_base_b.has_dyn_sized_stack, 0
	.set _ZN9rocsparseL19gebsrmvn_4xn_kernelILj128ELj5ELj64EfEEvi20rocsparse_direction_NS_24const_host_device_scalarIT2_EEPKiS6_PKS3_S8_S4_PS3_21rocsparse_index_base_b.has_recursion, 0
	.set _ZN9rocsparseL19gebsrmvn_4xn_kernelILj128ELj5ELj64EfEEvi20rocsparse_direction_NS_24const_host_device_scalarIT2_EEPKiS6_PKS3_S8_S4_PS3_21rocsparse_index_base_b.has_indirect_call, 0
	.section	.AMDGPU.csdata,"",@progbits
; Kernel info:
; codeLenInByte = 2116
; TotalNumSgprs: 20
; NumVgprs: 44
; ScratchSize: 0
; MemoryBound: 0
; FloatMode: 240
; IeeeMode: 1
; LDSByteSize: 0 bytes/workgroup (compile time only)
; SGPRBlocks: 0
; VGPRBlocks: 2
; NumSGPRsForWavesPerEU: 20
; NumVGPRsForWavesPerEU: 44
; NamedBarCnt: 0
; Occupancy: 16
; WaveLimiterHint : 1
; COMPUTE_PGM_RSRC2:SCRATCH_EN: 0
; COMPUTE_PGM_RSRC2:USER_SGPR: 2
; COMPUTE_PGM_RSRC2:TRAP_HANDLER: 0
; COMPUTE_PGM_RSRC2:TGID_X_EN: 1
; COMPUTE_PGM_RSRC2:TGID_Y_EN: 0
; COMPUTE_PGM_RSRC2:TGID_Z_EN: 0
; COMPUTE_PGM_RSRC2:TIDIG_COMP_CNT: 0
	.section	.text._ZN9rocsparseL19gebsrmvn_4xn_kernelILj128ELj6ELj4EfEEvi20rocsparse_direction_NS_24const_host_device_scalarIT2_EEPKiS6_PKS3_S8_S4_PS3_21rocsparse_index_base_b,"axG",@progbits,_ZN9rocsparseL19gebsrmvn_4xn_kernelILj128ELj6ELj4EfEEvi20rocsparse_direction_NS_24const_host_device_scalarIT2_EEPKiS6_PKS3_S8_S4_PS3_21rocsparse_index_base_b,comdat
	.globl	_ZN9rocsparseL19gebsrmvn_4xn_kernelILj128ELj6ELj4EfEEvi20rocsparse_direction_NS_24const_host_device_scalarIT2_EEPKiS6_PKS3_S8_S4_PS3_21rocsparse_index_base_b ; -- Begin function _ZN9rocsparseL19gebsrmvn_4xn_kernelILj128ELj6ELj4EfEEvi20rocsparse_direction_NS_24const_host_device_scalarIT2_EEPKiS6_PKS3_S8_S4_PS3_21rocsparse_index_base_b
	.p2align	8
	.type	_ZN9rocsparseL19gebsrmvn_4xn_kernelILj128ELj6ELj4EfEEvi20rocsparse_direction_NS_24const_host_device_scalarIT2_EEPKiS6_PKS3_S8_S4_PS3_21rocsparse_index_base_b,@function
_ZN9rocsparseL19gebsrmvn_4xn_kernelILj128ELj6ELj4EfEEvi20rocsparse_direction_NS_24const_host_device_scalarIT2_EEPKiS6_PKS3_S8_S4_PS3_21rocsparse_index_base_b: ; @_ZN9rocsparseL19gebsrmvn_4xn_kernelILj128ELj6ELj4EfEEvi20rocsparse_direction_NS_24const_host_device_scalarIT2_EEPKiS6_PKS3_S8_S4_PS3_21rocsparse_index_base_b
; %bb.0:
	s_clause 0x2
	s_load_b64 s[16:17], s[0:1], 0x40
	s_load_b64 s[14:15], s[0:1], 0x8
	;; [unrolled: 1-line block ×3, first 2 shown]
	s_wait_kmcnt 0x0
	s_bitcmp1_b32 s17, 0
	s_cselect_b32 s2, -1, 0
	s_delay_alu instid0(SALU_CYCLE_1)
	s_and_b32 vcc_lo, exec_lo, s2
	s_xor_b32 s2, s2, -1
	s_cbranch_vccnz .LBB20_2
; %bb.1:
	s_load_b32 s14, s[14:15], 0x0
.LBB20_2:
	s_and_not1_b32 vcc_lo, exec_lo, s2
	s_cbranch_vccnz .LBB20_4
; %bb.3:
	s_load_b32 s12, s[12:13], 0x0
.LBB20_4:
	s_wait_kmcnt 0x0
	s_cmp_eq_f32 s14, 0
	s_cselect_b32 s2, -1, 0
	s_cmp_eq_f32 s12, 1.0
	s_cselect_b32 s3, -1, 0
	s_delay_alu instid0(SALU_CYCLE_1) | instskip(NEXT) | instid1(SALU_CYCLE_1)
	s_and_b32 s2, s2, s3
	s_and_b32 vcc_lo, exec_lo, s2
	s_cbranch_vccnz .LBB20_23
; %bb.5:
	s_load_b64 s[2:3], s[0:1], 0x0
	s_bfe_u32 s4, ttmp6, 0x4000c
	s_and_b32 s5, ttmp6, 15
	s_add_co_i32 s4, s4, 1
	s_getreg_b32 s6, hwreg(HW_REG_IB_STS2, 6, 4)
	s_mul_i32 s4, ttmp9, s4
	v_lshrrev_b32_e32 v1, 2, v0
	s_add_co_i32 s5, s5, s4
	s_cmp_eq_u32 s6, 0
	s_cselect_b32 s4, ttmp9, s5
	s_delay_alu instid0(VALU_DEP_1) | instid1(SALU_CYCLE_1)
	v_lshl_or_b32 v2, s4, 5, v1
	s_wait_kmcnt 0x0
	s_delay_alu instid0(VALU_DEP_1)
	v_cmp_gt_i32_e32 vcc_lo, s2, v2
	s_and_saveexec_b32 s2, vcc_lo
	s_cbranch_execz .LBB20_23
; %bb.6:
	s_load_b256 s[4:11], s[0:1], 0x10
	v_ashrrev_i32_e32 v3, 31, v2
	s_cmp_lg_u32 s3, 0
	s_wait_kmcnt 0x0
	s_delay_alu instid0(VALU_DEP_1)
	v_lshl_add_u64 v[4:5], v[2:3], 2, s[4:5]
	v_and_b32_e32 v3, 3, v0
	global_load_b64 v[4:5], v[4:5], off
	s_wait_loadcnt 0x0
	v_subrev_nc_u32_e32 v0, s16, v4
	v_subrev_nc_u32_e32 v10, s16, v5
	s_delay_alu instid0(VALU_DEP_2) | instskip(NEXT) | instid1(VALU_DEP_1)
	v_add_nc_u32_e32 v11, v0, v3
	v_cmp_lt_i32_e64 s2, v11, v10
	s_cbranch_scc0 .LBB20_12
; %bb.7:
	v_mov_b32_e32 v1, 0
	s_delay_alu instid0(VALU_DEP_1)
	v_dual_mov_b32 v0, v1 :: v_dual_mov_b32 v5, v1
	v_mov_b32_e32 v4, v1
	s_and_saveexec_b32 s3, s2
	s_cbranch_execz .LBB20_11
; %bb.8:
	v_mad_u32 v8, v11, 24, 20
	v_dual_mov_b32 v7, 0 :: v_dual_mov_b32 v12, v11
	v_mov_b32_e32 v1, 0
	s_mov_b32 s4, 0
	s_delay_alu instid0(VALU_DEP_2)
	v_dual_mov_b32 v4, v7 :: v_dual_mov_b32 v0, v7
	v_mov_b32_e32 v5, v7
.LBB20_9:                               ; =>This Inner Loop Header: Depth=1
	global_load_b32 v9, v12, s[6:7] scale_offset
	v_subrev_nc_u32_e32 v6, 20, v8
	s_wait_xcnt 0x0
	v_dual_mov_b32 v27, v7 :: v_dual_add_nc_u32 v12, 4, v12
	s_delay_alu instid0(VALU_DEP_2)
	v_lshl_add_u64 v[22:23], v[6:7], 2, s[8:9]
	s_clause 0x1
	global_load_b128 v[14:17], v[22:23], off offset:16
	global_load_b128 v[18:21], v[22:23], off
	v_cmp_ge_i32_e32 vcc_lo, v12, v10
	s_or_b32 s4, vcc_lo, s4
	s_wait_loadcnt 0x2
	v_subrev_nc_u32_e32 v6, s16, v9
	v_mov_b32_e32 v9, v7
	s_delay_alu instid0(VALU_DEP_2) | instskip(SKIP_1) | instid1(VALU_DEP_3)
	v_mul_lo_u32 v26, v6, 6
	v_add_nc_u32_e32 v6, -12, v8
	v_lshl_add_u64 v[46:47], v[8:9], 2, s[8:9]
	s_delay_alu instid0(VALU_DEP_2) | instskip(SKIP_1) | instid1(VALU_DEP_4)
	v_lshl_add_u64 v[28:29], v[6:7], 2, s[8:9]
	s_wait_xcnt 0x0
	v_lshl_add_u64 v[22:23], v[26:27], 2, s[10:11]
	v_add_nc_u32_e32 v6, 2, v26
	global_load_b64 v[38:39], v[22:23], off
	v_lshl_add_u64 v[30:31], v[6:7], 2, s[10:11]
	v_add_nc_u32_e32 v6, -8, v8
	global_load_b128 v[22:25], v[28:29], off
	global_load_b64 v[40:41], v[30:31], off
	v_lshl_add_u64 v[32:33], v[6:7], 2, s[8:9]
	v_add_nc_u32_e32 v6, -4, v8
	v_add_nc_u32_e32 v8, 0x60, v8
	s_delay_alu instid0(VALU_DEP_2)
	v_lshl_add_u64 v[42:43], v[6:7], 2, s[8:9]
	v_add_nc_u32_e32 v6, 4, v26
	global_load_b128 v[26:29], v[32:33], off
	v_lshl_add_u64 v[44:45], v[6:7], 2, s[10:11]
	global_load_b128 v[30:33], v[42:43], off
	global_load_b64 v[48:49], v[44:45], off
	global_load_b128 v[34:37], v[46:47], off
	s_wait_loadcnt 0x6
	v_pk_fma_f32 v[4:5], v[18:19], v[38:39], v[4:5] op_sel_hi:[1,0,1]
	v_pk_fma_f32 v[0:1], v[20:21], v[38:39], v[0:1] op_sel_hi:[1,0,1]
	s_delay_alu instid0(VALU_DEP_2) | instskip(NEXT) | instid1(VALU_DEP_2)
	v_pk_fma_f32 v[4:5], v[14:15], v[38:39], v[4:5] op_sel:[0,1,0]
	v_pk_fma_f32 v[0:1], v[16:17], v[38:39], v[0:1] op_sel:[0,1,0]
	s_wait_loadcnt 0x4
	s_delay_alu instid0(VALU_DEP_2) | instskip(NEXT) | instid1(VALU_DEP_2)
	v_pk_fma_f32 v[4:5], v[22:23], v[40:41], v[4:5] op_sel_hi:[1,0,1]
	v_pk_fma_f32 v[0:1], v[24:25], v[40:41], v[0:1] op_sel_hi:[1,0,1]
	s_wait_loadcnt 0x3
	s_delay_alu instid0(VALU_DEP_2) | instskip(NEXT) | instid1(VALU_DEP_2)
	v_pk_fma_f32 v[4:5], v[26:27], v[40:41], v[4:5] op_sel:[0,1,0]
	v_pk_fma_f32 v[0:1], v[28:29], v[40:41], v[0:1] op_sel:[0,1,0]
	s_wait_loadcnt 0x1
	s_delay_alu instid0(VALU_DEP_2) | instskip(NEXT) | instid1(VALU_DEP_2)
	v_pk_fma_f32 v[4:5], v[30:31], v[48:49], v[4:5] op_sel_hi:[1,0,1]
	v_pk_fma_f32 v[0:1], v[32:33], v[48:49], v[0:1] op_sel_hi:[1,0,1]
	s_wait_loadcnt 0x0
	s_delay_alu instid0(VALU_DEP_2) | instskip(NEXT) | instid1(VALU_DEP_2)
	v_pk_fma_f32 v[4:5], v[34:35], v[48:49], v[4:5] op_sel:[0,1,0]
	v_pk_fma_f32 v[0:1], v[36:37], v[48:49], v[0:1] op_sel:[0,1,0]
	s_and_not1_b32 exec_lo, exec_lo, s4
	s_cbranch_execnz .LBB20_9
; %bb.10:
	s_or_b32 exec_lo, exec_lo, s4
.LBB20_11:
	s_delay_alu instid0(SALU_CYCLE_1)
	s_or_b32 exec_lo, exec_lo, s3
	s_cbranch_execz .LBB20_13
	s_branch .LBB20_18
.LBB20_12:
                                        ; implicit-def: $vgpr1
                                        ; implicit-def: $vgpr5
.LBB20_13:
	v_mov_b32_e32 v1, 0
	s_delay_alu instid0(VALU_DEP_1)
	v_dual_mov_b32 v0, v1 :: v_dual_mov_b32 v5, v1
	v_mov_b32_e32 v4, v1
	s_and_saveexec_b32 s3, s2
	s_cbranch_execz .LBB20_17
; %bb.14:
	v_mad_u32 v8, v11, 24, 23
	v_dual_mov_b32 v7, 0 :: v_dual_mov_b32 v1, 0
	s_mov_b32 s2, 0
	s_delay_alu instid0(VALU_DEP_1)
	v_dual_mov_b32 v4, v7 :: v_dual_mov_b32 v0, v7
	v_mov_b32_e32 v5, v7
.LBB20_15:                              ; =>This Inner Loop Header: Depth=1
	global_load_b32 v9, v11, s[6:7] scale_offset
	v_subrev_nc_u32_e32 v6, 23, v8
	v_dual_mov_b32 v21, v7 :: v_dual_add_nc_u32 v30, -10, v8
	v_dual_add_nc_u32 v26, -11, v8 :: v_dual_add_nc_u32 v27, -5, v8
	s_delay_alu instid0(VALU_DEP_3)
	v_lshl_add_u64 v[22:23], v[6:7], 2, s[8:9]
	v_dual_add_nc_u32 v31, -4, v8 :: v_dual_add_nc_u32 v32, -15, v8
	v_dual_add_nc_u32 v33, -9, v8 :: v_dual_add_nc_u32 v34, -3, v8
	s_clause 0x3
	global_load_b128 v[12:15], v[22:23], off offset:16
	global_load_b128 v[16:19], v[22:23], off
	global_load_b32 v24, v26, s[8:9] scale_offset
	global_load_b32 v25, v27, s[8:9] scale_offset
	v_dual_add_nc_u32 v38, -14, v8 :: v_dual_add_nc_u32 v39, -8, v8
	v_dual_add_nc_u32 v40, -2, v8 :: v_dual_add_nc_u32 v44, -13, v8
	;; [unrolled: 1-line block ×3, first 2 shown]
	s_wait_xcnt 0x4
	v_dual_add_nc_u32 v50, -6, v8 :: v_dual_add_nc_u32 v11, 4, v11
	s_wait_loadcnt 0x4
	v_subrev_nc_u32_e32 v9, s16, v9
	s_delay_alu instid0(VALU_DEP_1) | instskip(SKIP_2) | instid1(VALU_DEP_2)
	v_mul_lo_u32 v20, v9, 6
	v_add_nc_u32_e32 v9, -1, v8
	s_wait_xcnt 0x2
	v_lshl_add_u64 v[22:23], v[20:21], 2, s[10:11]
	v_add_nc_u32_e32 v6, 2, v20
	global_load_b64 v[26:27], v[22:23], off
	s_clause 0x2
	global_load_b32 v28, v30, s[8:9] scale_offset
	global_load_b32 v29, v31, s[8:9] scale_offset
	;; [unrolled: 1-line block ×3, first 2 shown]
	s_wait_xcnt 0x3
	v_lshl_add_u64 v[22:23], v[6:7], 2, s[10:11]
	s_clause 0x1
	global_load_b32 v30, v33, s[8:9] scale_offset
	global_load_b32 v31, v34, s[8:9] scale_offset
	s_wait_loadcnt 0x8
	s_wait_xcnt 0x0
	v_dual_add_nc_u32 v6, 4, v20 :: v_dual_mov_b32 v34, v19
	global_load_b64 v[32:33], v[22:23], off
	s_clause 0x2
	global_load_b32 v35, v38, s[8:9] scale_offset
	global_load_b32 v36, v39, s[8:9] scale_offset
	;; [unrolled: 1-line block ×3, first 2 shown]
	v_mov_b32_e32 v20, v18
	s_wait_xcnt 0x3
	v_lshl_add_u64 v[22:23], v[6:7], 2, s[10:11]
	s_clause 0x2
	global_load_b32 v39, v44, s[8:9] scale_offset
	global_load_b32 v40, v48, s[8:9] scale_offset
	;; [unrolled: 1-line block ×3, first 2 shown]
	global_load_b64 v[42:43], v[22:23], off
	s_clause 0x2
	global_load_b32 v45, v49, s[8:9] scale_offset
	global_load_b32 v46, v50, s[8:9] scale_offset
	;; [unrolled: 1-line block ×3, first 2 shown]
	s_wait_xcnt 0x3
	v_dual_mov_b32 v22, v16 :: v_dual_mov_b32 v23, v14
	v_dual_mov_b32 v14, v17 :: v_dual_mov_b32 v38, v12
	v_mov_b32_e32 v44, v13
	v_cmp_ge_i32_e32 vcc_lo, v11, v10
	s_wait_xcnt 0x0
	v_add_nc_u32_e32 v8, 0x60, v8
	s_or_b32 s2, vcc_lo, s2
	s_wait_loadcnt 0x10
	v_pk_fma_f32 v[4:5], v[22:23], v[26:27], v[4:5] op_sel_hi:[1,0,1]
	v_pk_fma_f32 v[0:1], v[24:25], v[26:27], v[0:1] op_sel_hi:[1,0,1]
	s_delay_alu instid0(VALU_DEP_2) | instskip(SKIP_1) | instid1(VALU_DEP_2)
	v_pk_fma_f32 v[4:5], v[14:15], v[26:27], v[4:5] op_sel:[0,1,0]
	s_wait_loadcnt 0xe
	v_pk_fma_f32 v[0:1], v[28:29], v[26:27], v[0:1] op_sel:[0,1,0]
	s_wait_loadcnt 0xa
	s_delay_alu instid0(VALU_DEP_2) | instskip(NEXT) | instid1(VALU_DEP_2)
	v_pk_fma_f32 v[4:5], v[20:21], v[32:33], v[4:5] op_sel_hi:[1,0,1]
	v_pk_fma_f32 v[0:1], v[30:31], v[32:33], v[0:1] op_sel_hi:[1,0,1]
	s_wait_loadcnt 0x9
	s_delay_alu instid0(VALU_DEP_2) | instskip(SKIP_1) | instid1(VALU_DEP_2)
	v_pk_fma_f32 v[4:5], v[34:35], v[32:33], v[4:5] op_sel:[0,1,0]
	s_wait_loadcnt 0x7
	v_pk_fma_f32 v[0:1], v[36:37], v[32:33], v[0:1] op_sel:[0,1,0]
	s_wait_loadcnt 0x3
	s_delay_alu instid0(VALU_DEP_2) | instskip(NEXT) | instid1(VALU_DEP_2)
	v_pk_fma_f32 v[4:5], v[38:39], v[42:43], v[4:5] op_sel_hi:[1,0,1]
	v_pk_fma_f32 v[0:1], v[40:41], v[42:43], v[0:1] op_sel_hi:[1,0,1]
	s_wait_loadcnt 0x2
	s_delay_alu instid0(VALU_DEP_2) | instskip(SKIP_1) | instid1(VALU_DEP_2)
	v_pk_fma_f32 v[4:5], v[44:45], v[42:43], v[4:5] op_sel:[0,1,0]
	s_wait_loadcnt 0x0
	v_pk_fma_f32 v[0:1], v[46:47], v[42:43], v[0:1] op_sel:[0,1,0]
	s_and_not1_b32 exec_lo, exec_lo, s2
	s_cbranch_execnz .LBB20_15
; %bb.16:
	s_or_b32 exec_lo, exec_lo, s2
.LBB20_17:
	s_delay_alu instid0(SALU_CYCLE_1)
	s_or_b32 exec_lo, exec_lo, s3
.LBB20_18:
	v_mbcnt_lo_u32_b32 v10, -1, 0
	s_mov_b32 s2, -1
	s_delay_alu instid0(VALU_DEP_1) | instskip(SKIP_1) | instid1(VALU_DEP_1)
	v_xor_b32_e32 v11, 1, v10
	v_xor_b32_e32 v6, 2, v10
	v_cmp_gt_i32_e32 vcc_lo, 32, v6
	v_cndmask_b32_e32 v6, v10, v6, vcc_lo
	s_delay_alu instid0(VALU_DEP_4) | instskip(NEXT) | instid1(VALU_DEP_2)
	v_cmp_gt_i32_e32 vcc_lo, 32, v11
	v_dual_cndmask_b32 v10, v10, v11 :: v_dual_lshlrev_b32 v9, 2, v6
	v_cmp_eq_u32_e32 vcc_lo, 3, v3
	ds_bpermute_b32 v6, v9, v4
	ds_bpermute_b32 v7, v9, v5
	;; [unrolled: 1-line block ×4, first 2 shown]
	v_lshlrev_b32_e32 v10, 2, v10
	s_wait_dscnt 0x2
	v_pk_add_f32 v[4:5], v[4:5], v[6:7]
	s_wait_dscnt 0x0
	v_pk_add_f32 v[0:1], v[0:1], v[8:9]
	ds_bpermute_b32 v8, v10, v4
	ds_bpermute_b32 v9, v10, v5
	;; [unrolled: 1-line block ×4, first 2 shown]
	s_and_b32 exec_lo, exec_lo, vcc_lo
	s_cbranch_execz .LBB20_23
; %bb.19:
	s_load_b64 s[0:1], s[0:1], 0x38
	s_wait_dscnt 0x2
	v_pk_add_f32 v[4:5], v[4:5], v[8:9]
	s_wait_dscnt 0x0
	v_pk_add_f32 v[0:1], v[0:1], v[6:7]
	v_lshlrev_b32_e32 v2, 2, v2
	s_cmp_eq_f32 s12, 0
	s_cbranch_scc0 .LBB20_21
; %bb.20:
	s_delay_alu instid0(VALU_DEP_1)
	v_ashrrev_i32_e32 v3, 31, v2
	v_pk_mul_f32 v[6:7], s[14:15], v[4:5] op_sel_hi:[0,1]
	v_pk_mul_f32 v[8:9], s[14:15], v[0:1] op_sel_hi:[0,1]
	s_mov_b32 s2, 0
	s_wait_kmcnt 0x0
	v_lshl_add_u64 v[10:11], v[2:3], 2, s[0:1]
	global_store_b128 v[10:11], v[6:9], off
.LBB20_21:
	s_and_not1_b32 vcc_lo, exec_lo, s2
	s_cbranch_vccnz .LBB20_23
; %bb.22:
	v_ashrrev_i32_e32 v3, 31, v2
	s_wait_kmcnt 0x0
	s_delay_alu instid0(VALU_DEP_1)
	v_lshl_add_u64 v[10:11], v[2:3], 2, s[0:1]
	v_pk_mul_f32 v[2:3], s[14:15], v[4:5] op_sel_hi:[0,1]
	v_pk_mul_f32 v[4:5], s[14:15], v[0:1] op_sel_hi:[0,1]
	global_load_b128 v[6:9], v[10:11], off
	s_wait_loadcnt 0x0
	v_pk_fma_f32 v[0:1], s[12:13], v[6:7], v[2:3] op_sel_hi:[0,1,1]
	v_pk_fma_f32 v[2:3], s[12:13], v[8:9], v[4:5] op_sel_hi:[0,1,1]
	global_store_b128 v[10:11], v[0:3], off
.LBB20_23:
	s_endpgm
	.section	.rodata,"a",@progbits
	.p2align	6, 0x0
	.amdhsa_kernel _ZN9rocsparseL19gebsrmvn_4xn_kernelILj128ELj6ELj4EfEEvi20rocsparse_direction_NS_24const_host_device_scalarIT2_EEPKiS6_PKS3_S8_S4_PS3_21rocsparse_index_base_b
		.amdhsa_group_segment_fixed_size 0
		.amdhsa_private_segment_fixed_size 0
		.amdhsa_kernarg_size 72
		.amdhsa_user_sgpr_count 2
		.amdhsa_user_sgpr_dispatch_ptr 0
		.amdhsa_user_sgpr_queue_ptr 0
		.amdhsa_user_sgpr_kernarg_segment_ptr 1
		.amdhsa_user_sgpr_dispatch_id 0
		.amdhsa_user_sgpr_kernarg_preload_length 0
		.amdhsa_user_sgpr_kernarg_preload_offset 0
		.amdhsa_user_sgpr_private_segment_size 0
		.amdhsa_wavefront_size32 1
		.amdhsa_uses_dynamic_stack 0
		.amdhsa_enable_private_segment 0
		.amdhsa_system_sgpr_workgroup_id_x 1
		.amdhsa_system_sgpr_workgroup_id_y 0
		.amdhsa_system_sgpr_workgroup_id_z 0
		.amdhsa_system_sgpr_workgroup_info 0
		.amdhsa_system_vgpr_workitem_id 0
		.amdhsa_next_free_vgpr 51
		.amdhsa_next_free_sgpr 18
		.amdhsa_named_barrier_count 0
		.amdhsa_reserve_vcc 1
		.amdhsa_float_round_mode_32 0
		.amdhsa_float_round_mode_16_64 0
		.amdhsa_float_denorm_mode_32 3
		.amdhsa_float_denorm_mode_16_64 3
		.amdhsa_fp16_overflow 0
		.amdhsa_memory_ordered 1
		.amdhsa_forward_progress 1
		.amdhsa_inst_pref_size 15
		.amdhsa_round_robin_scheduling 0
		.amdhsa_exception_fp_ieee_invalid_op 0
		.amdhsa_exception_fp_denorm_src 0
		.amdhsa_exception_fp_ieee_div_zero 0
		.amdhsa_exception_fp_ieee_overflow 0
		.amdhsa_exception_fp_ieee_underflow 0
		.amdhsa_exception_fp_ieee_inexact 0
		.amdhsa_exception_int_div_zero 0
	.end_amdhsa_kernel
	.section	.text._ZN9rocsparseL19gebsrmvn_4xn_kernelILj128ELj6ELj4EfEEvi20rocsparse_direction_NS_24const_host_device_scalarIT2_EEPKiS6_PKS3_S8_S4_PS3_21rocsparse_index_base_b,"axG",@progbits,_ZN9rocsparseL19gebsrmvn_4xn_kernelILj128ELj6ELj4EfEEvi20rocsparse_direction_NS_24const_host_device_scalarIT2_EEPKiS6_PKS3_S8_S4_PS3_21rocsparse_index_base_b,comdat
.Lfunc_end20:
	.size	_ZN9rocsparseL19gebsrmvn_4xn_kernelILj128ELj6ELj4EfEEvi20rocsparse_direction_NS_24const_host_device_scalarIT2_EEPKiS6_PKS3_S8_S4_PS3_21rocsparse_index_base_b, .Lfunc_end20-_ZN9rocsparseL19gebsrmvn_4xn_kernelILj128ELj6ELj4EfEEvi20rocsparse_direction_NS_24const_host_device_scalarIT2_EEPKiS6_PKS3_S8_S4_PS3_21rocsparse_index_base_b
                                        ; -- End function
	.set _ZN9rocsparseL19gebsrmvn_4xn_kernelILj128ELj6ELj4EfEEvi20rocsparse_direction_NS_24const_host_device_scalarIT2_EEPKiS6_PKS3_S8_S4_PS3_21rocsparse_index_base_b.num_vgpr, 51
	.set _ZN9rocsparseL19gebsrmvn_4xn_kernelILj128ELj6ELj4EfEEvi20rocsparse_direction_NS_24const_host_device_scalarIT2_EEPKiS6_PKS3_S8_S4_PS3_21rocsparse_index_base_b.num_agpr, 0
	.set _ZN9rocsparseL19gebsrmvn_4xn_kernelILj128ELj6ELj4EfEEvi20rocsparse_direction_NS_24const_host_device_scalarIT2_EEPKiS6_PKS3_S8_S4_PS3_21rocsparse_index_base_b.numbered_sgpr, 18
	.set _ZN9rocsparseL19gebsrmvn_4xn_kernelILj128ELj6ELj4EfEEvi20rocsparse_direction_NS_24const_host_device_scalarIT2_EEPKiS6_PKS3_S8_S4_PS3_21rocsparse_index_base_b.num_named_barrier, 0
	.set _ZN9rocsparseL19gebsrmvn_4xn_kernelILj128ELj6ELj4EfEEvi20rocsparse_direction_NS_24const_host_device_scalarIT2_EEPKiS6_PKS3_S8_S4_PS3_21rocsparse_index_base_b.private_seg_size, 0
	.set _ZN9rocsparseL19gebsrmvn_4xn_kernelILj128ELj6ELj4EfEEvi20rocsparse_direction_NS_24const_host_device_scalarIT2_EEPKiS6_PKS3_S8_S4_PS3_21rocsparse_index_base_b.uses_vcc, 1
	.set _ZN9rocsparseL19gebsrmvn_4xn_kernelILj128ELj6ELj4EfEEvi20rocsparse_direction_NS_24const_host_device_scalarIT2_EEPKiS6_PKS3_S8_S4_PS3_21rocsparse_index_base_b.uses_flat_scratch, 0
	.set _ZN9rocsparseL19gebsrmvn_4xn_kernelILj128ELj6ELj4EfEEvi20rocsparse_direction_NS_24const_host_device_scalarIT2_EEPKiS6_PKS3_S8_S4_PS3_21rocsparse_index_base_b.has_dyn_sized_stack, 0
	.set _ZN9rocsparseL19gebsrmvn_4xn_kernelILj128ELj6ELj4EfEEvi20rocsparse_direction_NS_24const_host_device_scalarIT2_EEPKiS6_PKS3_S8_S4_PS3_21rocsparse_index_base_b.has_recursion, 0
	.set _ZN9rocsparseL19gebsrmvn_4xn_kernelILj128ELj6ELj4EfEEvi20rocsparse_direction_NS_24const_host_device_scalarIT2_EEPKiS6_PKS3_S8_S4_PS3_21rocsparse_index_base_b.has_indirect_call, 0
	.section	.AMDGPU.csdata,"",@progbits
; Kernel info:
; codeLenInByte = 1908
; TotalNumSgprs: 20
; NumVgprs: 51
; ScratchSize: 0
; MemoryBound: 0
; FloatMode: 240
; IeeeMode: 1
; LDSByteSize: 0 bytes/workgroup (compile time only)
; SGPRBlocks: 0
; VGPRBlocks: 3
; NumSGPRsForWavesPerEU: 20
; NumVGPRsForWavesPerEU: 51
; NamedBarCnt: 0
; Occupancy: 16
; WaveLimiterHint : 1
; COMPUTE_PGM_RSRC2:SCRATCH_EN: 0
; COMPUTE_PGM_RSRC2:USER_SGPR: 2
; COMPUTE_PGM_RSRC2:TRAP_HANDLER: 0
; COMPUTE_PGM_RSRC2:TGID_X_EN: 1
; COMPUTE_PGM_RSRC2:TGID_Y_EN: 0
; COMPUTE_PGM_RSRC2:TGID_Z_EN: 0
; COMPUTE_PGM_RSRC2:TIDIG_COMP_CNT: 0
	.section	.text._ZN9rocsparseL19gebsrmvn_4xn_kernelILj128ELj6ELj8EfEEvi20rocsparse_direction_NS_24const_host_device_scalarIT2_EEPKiS6_PKS3_S8_S4_PS3_21rocsparse_index_base_b,"axG",@progbits,_ZN9rocsparseL19gebsrmvn_4xn_kernelILj128ELj6ELj8EfEEvi20rocsparse_direction_NS_24const_host_device_scalarIT2_EEPKiS6_PKS3_S8_S4_PS3_21rocsparse_index_base_b,comdat
	.globl	_ZN9rocsparseL19gebsrmvn_4xn_kernelILj128ELj6ELj8EfEEvi20rocsparse_direction_NS_24const_host_device_scalarIT2_EEPKiS6_PKS3_S8_S4_PS3_21rocsparse_index_base_b ; -- Begin function _ZN9rocsparseL19gebsrmvn_4xn_kernelILj128ELj6ELj8EfEEvi20rocsparse_direction_NS_24const_host_device_scalarIT2_EEPKiS6_PKS3_S8_S4_PS3_21rocsparse_index_base_b
	.p2align	8
	.type	_ZN9rocsparseL19gebsrmvn_4xn_kernelILj128ELj6ELj8EfEEvi20rocsparse_direction_NS_24const_host_device_scalarIT2_EEPKiS6_PKS3_S8_S4_PS3_21rocsparse_index_base_b,@function
_ZN9rocsparseL19gebsrmvn_4xn_kernelILj128ELj6ELj8EfEEvi20rocsparse_direction_NS_24const_host_device_scalarIT2_EEPKiS6_PKS3_S8_S4_PS3_21rocsparse_index_base_b: ; @_ZN9rocsparseL19gebsrmvn_4xn_kernelILj128ELj6ELj8EfEEvi20rocsparse_direction_NS_24const_host_device_scalarIT2_EEPKiS6_PKS3_S8_S4_PS3_21rocsparse_index_base_b
; %bb.0:
	s_clause 0x2
	s_load_b64 s[16:17], s[0:1], 0x40
	s_load_b64 s[14:15], s[0:1], 0x8
	;; [unrolled: 1-line block ×3, first 2 shown]
	s_wait_kmcnt 0x0
	s_bitcmp1_b32 s17, 0
	s_cselect_b32 s2, -1, 0
	s_delay_alu instid0(SALU_CYCLE_1)
	s_and_b32 vcc_lo, exec_lo, s2
	s_xor_b32 s2, s2, -1
	s_cbranch_vccnz .LBB21_2
; %bb.1:
	s_load_b32 s14, s[14:15], 0x0
.LBB21_2:
	s_and_not1_b32 vcc_lo, exec_lo, s2
	s_cbranch_vccnz .LBB21_4
; %bb.3:
	s_load_b32 s12, s[12:13], 0x0
.LBB21_4:
	s_wait_kmcnt 0x0
	s_cmp_eq_f32 s14, 0
	s_cselect_b32 s2, -1, 0
	s_cmp_eq_f32 s12, 1.0
	s_cselect_b32 s3, -1, 0
	s_delay_alu instid0(SALU_CYCLE_1) | instskip(NEXT) | instid1(SALU_CYCLE_1)
	s_and_b32 s2, s2, s3
	s_and_b32 vcc_lo, exec_lo, s2
	s_cbranch_vccnz .LBB21_23
; %bb.5:
	s_load_b64 s[2:3], s[0:1], 0x0
	s_bfe_u32 s4, ttmp6, 0x4000c
	s_and_b32 s5, ttmp6, 15
	s_add_co_i32 s4, s4, 1
	s_getreg_b32 s6, hwreg(HW_REG_IB_STS2, 6, 4)
	s_mul_i32 s4, ttmp9, s4
	v_lshrrev_b32_e32 v1, 3, v0
	s_add_co_i32 s5, s5, s4
	s_cmp_eq_u32 s6, 0
	s_cselect_b32 s4, ttmp9, s5
	s_delay_alu instid0(VALU_DEP_1) | instid1(SALU_CYCLE_1)
	v_lshl_or_b32 v2, s4, 4, v1
	s_wait_kmcnt 0x0
	s_delay_alu instid0(VALU_DEP_1)
	v_cmp_gt_i32_e32 vcc_lo, s2, v2
	s_and_saveexec_b32 s2, vcc_lo
	s_cbranch_execz .LBB21_23
; %bb.6:
	s_load_b256 s[4:11], s[0:1], 0x10
	v_ashrrev_i32_e32 v3, 31, v2
	s_cmp_lg_u32 s3, 0
	s_wait_kmcnt 0x0
	s_delay_alu instid0(VALU_DEP_1)
	v_lshl_add_u64 v[4:5], v[2:3], 2, s[4:5]
	v_and_b32_e32 v3, 7, v0
	global_load_b64 v[4:5], v[4:5], off
	s_wait_loadcnt 0x0
	v_subrev_nc_u32_e32 v0, s16, v4
	v_subrev_nc_u32_e32 v10, s16, v5
	s_delay_alu instid0(VALU_DEP_2) | instskip(NEXT) | instid1(VALU_DEP_1)
	v_add_nc_u32_e32 v11, v0, v3
	v_cmp_lt_i32_e64 s2, v11, v10
	s_cbranch_scc0 .LBB21_12
; %bb.7:
	v_mov_b32_e32 v1, 0
	s_delay_alu instid0(VALU_DEP_1)
	v_dual_mov_b32 v0, v1 :: v_dual_mov_b32 v5, v1
	v_mov_b32_e32 v4, v1
	s_and_saveexec_b32 s3, s2
	s_cbranch_execz .LBB21_11
; %bb.8:
	v_mad_u32 v8, v11, 24, 20
	v_dual_mov_b32 v7, 0 :: v_dual_mov_b32 v12, v11
	s_mov_b32 s4, 0
	s_delay_alu instid0(VALU_DEP_1)
	v_dual_mov_b32 v0, v7 :: v_dual_mov_b32 v1, v7
	v_dual_mov_b32 v4, v7 :: v_dual_mov_b32 v5, v7
.LBB21_9:                               ; =>This Inner Loop Header: Depth=1
	global_load_b32 v9, v12, s[6:7] scale_offset
	v_subrev_nc_u32_e32 v6, 20, v8
	s_wait_xcnt 0x0
	v_dual_mov_b32 v27, v7 :: v_dual_add_nc_u32 v12, 8, v12
	s_delay_alu instid0(VALU_DEP_2)
	v_lshl_add_u64 v[22:23], v[6:7], 2, s[8:9]
	s_clause 0x1
	global_load_b128 v[14:17], v[22:23], off offset:16
	global_load_b128 v[18:21], v[22:23], off
	v_cmp_ge_i32_e32 vcc_lo, v12, v10
	s_or_b32 s4, vcc_lo, s4
	s_wait_loadcnt 0x2
	v_subrev_nc_u32_e32 v6, s16, v9
	v_mov_b32_e32 v9, v7
	s_delay_alu instid0(VALU_DEP_2) | instskip(SKIP_1) | instid1(VALU_DEP_3)
	v_mul_lo_u32 v26, v6, 6
	v_add_nc_u32_e32 v6, -12, v8
	v_lshl_add_u64 v[46:47], v[8:9], 2, s[8:9]
	s_delay_alu instid0(VALU_DEP_2) | instskip(SKIP_1) | instid1(VALU_DEP_4)
	v_lshl_add_u64 v[28:29], v[6:7], 2, s[8:9]
	s_wait_xcnt 0x0
	v_lshl_add_u64 v[22:23], v[26:27], 2, s[10:11]
	v_add_nc_u32_e32 v6, 2, v26
	global_load_b64 v[38:39], v[22:23], off
	v_lshl_add_u64 v[30:31], v[6:7], 2, s[10:11]
	v_add_nc_u32_e32 v6, -8, v8
	global_load_b128 v[22:25], v[28:29], off
	global_load_b64 v[40:41], v[30:31], off
	v_lshl_add_u64 v[32:33], v[6:7], 2, s[8:9]
	v_add_nc_u32_e32 v6, -4, v8
	v_add_nc_u32_e32 v8, 0xc0, v8
	s_delay_alu instid0(VALU_DEP_2)
	v_lshl_add_u64 v[42:43], v[6:7], 2, s[8:9]
	v_add_nc_u32_e32 v6, 4, v26
	global_load_b128 v[26:29], v[32:33], off
	v_lshl_add_u64 v[44:45], v[6:7], 2, s[10:11]
	global_load_b128 v[30:33], v[42:43], off
	global_load_b64 v[48:49], v[44:45], off
	global_load_b128 v[34:37], v[46:47], off
	s_wait_loadcnt 0x6
	v_pk_fma_f32 v[4:5], v[18:19], v[38:39], v[4:5] op_sel_hi:[1,0,1]
	v_pk_fma_f32 v[0:1], v[20:21], v[38:39], v[0:1] op_sel_hi:[1,0,1]
	s_delay_alu instid0(VALU_DEP_2) | instskip(NEXT) | instid1(VALU_DEP_2)
	v_pk_fma_f32 v[4:5], v[14:15], v[38:39], v[4:5] op_sel:[0,1,0]
	v_pk_fma_f32 v[0:1], v[16:17], v[38:39], v[0:1] op_sel:[0,1,0]
	s_wait_loadcnt 0x4
	s_delay_alu instid0(VALU_DEP_2) | instskip(NEXT) | instid1(VALU_DEP_2)
	v_pk_fma_f32 v[4:5], v[22:23], v[40:41], v[4:5] op_sel_hi:[1,0,1]
	v_pk_fma_f32 v[0:1], v[24:25], v[40:41], v[0:1] op_sel_hi:[1,0,1]
	s_wait_loadcnt 0x3
	s_delay_alu instid0(VALU_DEP_2) | instskip(NEXT) | instid1(VALU_DEP_2)
	v_pk_fma_f32 v[4:5], v[26:27], v[40:41], v[4:5] op_sel:[0,1,0]
	v_pk_fma_f32 v[0:1], v[28:29], v[40:41], v[0:1] op_sel:[0,1,0]
	s_wait_loadcnt 0x1
	s_delay_alu instid0(VALU_DEP_2) | instskip(NEXT) | instid1(VALU_DEP_2)
	v_pk_fma_f32 v[4:5], v[30:31], v[48:49], v[4:5] op_sel_hi:[1,0,1]
	v_pk_fma_f32 v[0:1], v[32:33], v[48:49], v[0:1] op_sel_hi:[1,0,1]
	s_wait_loadcnt 0x0
	s_delay_alu instid0(VALU_DEP_2) | instskip(NEXT) | instid1(VALU_DEP_2)
	v_pk_fma_f32 v[4:5], v[34:35], v[48:49], v[4:5] op_sel:[0,1,0]
	v_pk_fma_f32 v[0:1], v[36:37], v[48:49], v[0:1] op_sel:[0,1,0]
	s_and_not1_b32 exec_lo, exec_lo, s4
	s_cbranch_execnz .LBB21_9
; %bb.10:
	s_or_b32 exec_lo, exec_lo, s4
.LBB21_11:
	s_delay_alu instid0(SALU_CYCLE_1)
	s_or_b32 exec_lo, exec_lo, s3
	s_cbranch_execz .LBB21_13
	s_branch .LBB21_18
.LBB21_12:
                                        ; implicit-def: $vgpr1
                                        ; implicit-def: $vgpr5
.LBB21_13:
	v_mov_b32_e32 v1, 0
	s_delay_alu instid0(VALU_DEP_1)
	v_dual_mov_b32 v0, v1 :: v_dual_mov_b32 v5, v1
	v_mov_b32_e32 v4, v1
	s_and_saveexec_b32 s3, s2
	s_cbranch_execz .LBB21_17
; %bb.14:
	v_mad_u32 v8, v11, 24, 23
	v_mov_b32_e32 v7, 0
	s_mov_b32 s2, 0
	s_delay_alu instid0(VALU_DEP_1)
	v_dual_mov_b32 v0, v7 :: v_dual_mov_b32 v1, v7
	v_dual_mov_b32 v4, v7 :: v_dual_mov_b32 v5, v7
.LBB21_15:                              ; =>This Inner Loop Header: Depth=1
	global_load_b32 v9, v11, s[6:7] scale_offset
	v_subrev_nc_u32_e32 v6, 23, v8
	v_dual_mov_b32 v21, v7 :: v_dual_add_nc_u32 v30, -10, v8
	v_dual_add_nc_u32 v26, -11, v8 :: v_dual_add_nc_u32 v27, -5, v8
	s_delay_alu instid0(VALU_DEP_3)
	v_lshl_add_u64 v[22:23], v[6:7], 2, s[8:9]
	v_dual_add_nc_u32 v31, -4, v8 :: v_dual_add_nc_u32 v32, -15, v8
	v_dual_add_nc_u32 v33, -9, v8 :: v_dual_add_nc_u32 v34, -3, v8
	s_clause 0x3
	global_load_b128 v[12:15], v[22:23], off offset:16
	global_load_b128 v[16:19], v[22:23], off
	global_load_b32 v24, v26, s[8:9] scale_offset
	global_load_b32 v25, v27, s[8:9] scale_offset
	v_dual_add_nc_u32 v38, -14, v8 :: v_dual_add_nc_u32 v39, -8, v8
	v_dual_add_nc_u32 v40, -2, v8 :: v_dual_add_nc_u32 v44, -13, v8
	;; [unrolled: 1-line block ×3, first 2 shown]
	s_wait_xcnt 0x4
	v_dual_add_nc_u32 v50, -6, v8 :: v_dual_add_nc_u32 v11, 8, v11
	s_wait_loadcnt 0x4
	v_subrev_nc_u32_e32 v9, s16, v9
	s_delay_alu instid0(VALU_DEP_1) | instskip(SKIP_2) | instid1(VALU_DEP_2)
	v_mul_lo_u32 v20, v9, 6
	v_add_nc_u32_e32 v9, -1, v8
	s_wait_xcnt 0x2
	v_lshl_add_u64 v[22:23], v[20:21], 2, s[10:11]
	v_add_nc_u32_e32 v6, 2, v20
	global_load_b64 v[26:27], v[22:23], off
	s_clause 0x2
	global_load_b32 v28, v30, s[8:9] scale_offset
	global_load_b32 v29, v31, s[8:9] scale_offset
	;; [unrolled: 1-line block ×3, first 2 shown]
	s_wait_xcnt 0x3
	v_lshl_add_u64 v[22:23], v[6:7], 2, s[10:11]
	s_clause 0x1
	global_load_b32 v30, v33, s[8:9] scale_offset
	global_load_b32 v31, v34, s[8:9] scale_offset
	s_wait_loadcnt 0x8
	s_wait_xcnt 0x0
	v_dual_add_nc_u32 v6, 4, v20 :: v_dual_mov_b32 v34, v19
	global_load_b64 v[32:33], v[22:23], off
	s_clause 0x2
	global_load_b32 v35, v38, s[8:9] scale_offset
	global_load_b32 v36, v39, s[8:9] scale_offset
	;; [unrolled: 1-line block ×3, first 2 shown]
	v_mov_b32_e32 v20, v18
	s_wait_xcnt 0x3
	v_lshl_add_u64 v[22:23], v[6:7], 2, s[10:11]
	s_clause 0x2
	global_load_b32 v39, v44, s[8:9] scale_offset
	global_load_b32 v40, v48, s[8:9] scale_offset
	;; [unrolled: 1-line block ×3, first 2 shown]
	global_load_b64 v[42:43], v[22:23], off
	s_clause 0x2
	global_load_b32 v45, v49, s[8:9] scale_offset
	global_load_b32 v46, v50, s[8:9] scale_offset
	;; [unrolled: 1-line block ×3, first 2 shown]
	s_wait_xcnt 0x3
	v_dual_mov_b32 v22, v16 :: v_dual_mov_b32 v23, v14
	v_dual_mov_b32 v14, v17 :: v_dual_mov_b32 v38, v12
	v_mov_b32_e32 v44, v13
	v_cmp_ge_i32_e32 vcc_lo, v11, v10
	s_wait_xcnt 0x0
	v_add_nc_u32_e32 v8, 0xc0, v8
	s_or_b32 s2, vcc_lo, s2
	s_wait_loadcnt 0x10
	v_pk_fma_f32 v[4:5], v[22:23], v[26:27], v[4:5] op_sel_hi:[1,0,1]
	v_pk_fma_f32 v[0:1], v[24:25], v[26:27], v[0:1] op_sel_hi:[1,0,1]
	s_delay_alu instid0(VALU_DEP_2) | instskip(SKIP_1) | instid1(VALU_DEP_2)
	v_pk_fma_f32 v[4:5], v[14:15], v[26:27], v[4:5] op_sel:[0,1,0]
	s_wait_loadcnt 0xe
	v_pk_fma_f32 v[0:1], v[28:29], v[26:27], v[0:1] op_sel:[0,1,0]
	s_wait_loadcnt 0xa
	s_delay_alu instid0(VALU_DEP_2) | instskip(NEXT) | instid1(VALU_DEP_2)
	v_pk_fma_f32 v[4:5], v[20:21], v[32:33], v[4:5] op_sel_hi:[1,0,1]
	v_pk_fma_f32 v[0:1], v[30:31], v[32:33], v[0:1] op_sel_hi:[1,0,1]
	s_wait_loadcnt 0x9
	s_delay_alu instid0(VALU_DEP_2) | instskip(SKIP_1) | instid1(VALU_DEP_2)
	v_pk_fma_f32 v[4:5], v[34:35], v[32:33], v[4:5] op_sel:[0,1,0]
	s_wait_loadcnt 0x7
	v_pk_fma_f32 v[0:1], v[36:37], v[32:33], v[0:1] op_sel:[0,1,0]
	s_wait_loadcnt 0x3
	s_delay_alu instid0(VALU_DEP_2) | instskip(NEXT) | instid1(VALU_DEP_2)
	v_pk_fma_f32 v[4:5], v[38:39], v[42:43], v[4:5] op_sel_hi:[1,0,1]
	v_pk_fma_f32 v[0:1], v[40:41], v[42:43], v[0:1] op_sel_hi:[1,0,1]
	s_wait_loadcnt 0x2
	s_delay_alu instid0(VALU_DEP_2) | instskip(SKIP_1) | instid1(VALU_DEP_2)
	v_pk_fma_f32 v[4:5], v[44:45], v[42:43], v[4:5] op_sel:[0,1,0]
	s_wait_loadcnt 0x0
	v_pk_fma_f32 v[0:1], v[46:47], v[42:43], v[0:1] op_sel:[0,1,0]
	s_and_not1_b32 exec_lo, exec_lo, s2
	s_cbranch_execnz .LBB21_15
; %bb.16:
	s_or_b32 exec_lo, exec_lo, s2
.LBB21_17:
	s_delay_alu instid0(SALU_CYCLE_1)
	s_or_b32 exec_lo, exec_lo, s3
.LBB21_18:
	v_mbcnt_lo_u32_b32 v10, -1, 0
	s_mov_b32 s2, -1
	s_delay_alu instid0(VALU_DEP_1) | instskip(SKIP_1) | instid1(VALU_DEP_1)
	v_xor_b32_e32 v11, 2, v10
	v_xor_b32_e32 v6, 4, v10
	v_cmp_gt_i32_e32 vcc_lo, 32, v6
	v_cndmask_b32_e32 v6, v10, v6, vcc_lo
	s_delay_alu instid0(VALU_DEP_4) | instskip(SKIP_1) | instid1(VALU_DEP_1)
	v_cmp_gt_i32_e32 vcc_lo, 32, v11
	v_cndmask_b32_e32 v11, v10, v11, vcc_lo
	v_dual_lshlrev_b32 v11, 2, v11 :: v_dual_lshlrev_b32 v9, 2, v6
	ds_bpermute_b32 v6, v9, v4
	ds_bpermute_b32 v7, v9, v5
	;; [unrolled: 1-line block ×4, first 2 shown]
	s_wait_dscnt 0x2
	v_pk_add_f32 v[4:5], v[4:5], v[6:7]
	s_wait_dscnt 0x0
	v_pk_add_f32 v[6:7], v[0:1], v[8:9]
	ds_bpermute_b32 v0, v11, v4
	ds_bpermute_b32 v1, v11, v5
	ds_bpermute_b32 v8, v11, v6
	ds_bpermute_b32 v9, v11, v7
	v_xor_b32_e32 v11, 1, v10
	s_delay_alu instid0(VALU_DEP_1) | instskip(SKIP_2) | instid1(VALU_DEP_2)
	v_cmp_gt_i32_e32 vcc_lo, 32, v11
	v_cndmask_b32_e32 v10, v10, v11, vcc_lo
	v_cmp_eq_u32_e32 vcc_lo, 7, v3
	v_lshlrev_b32_e32 v10, 2, v10
	s_wait_dscnt 0x2
	v_pk_add_f32 v[0:1], v[4:5], v[0:1]
	s_wait_dscnt 0x0
	v_pk_add_f32 v[6:7], v[6:7], v[8:9]
	ds_bpermute_b32 v4, v10, v0
	ds_bpermute_b32 v5, v10, v1
	;; [unrolled: 1-line block ×4, first 2 shown]
	s_and_b32 exec_lo, exec_lo, vcc_lo
	s_cbranch_execz .LBB21_23
; %bb.19:
	s_load_b64 s[0:1], s[0:1], 0x38
	s_wait_dscnt 0x2
	v_pk_add_f32 v[4:5], v[0:1], v[4:5]
	s_wait_dscnt 0x0
	v_pk_add_f32 v[0:1], v[6:7], v[8:9]
	v_lshlrev_b32_e32 v2, 2, v2
	s_cmp_eq_f32 s12, 0
	s_cbranch_scc0 .LBB21_21
; %bb.20:
	s_delay_alu instid0(VALU_DEP_1)
	v_ashrrev_i32_e32 v3, 31, v2
	v_pk_mul_f32 v[6:7], s[14:15], v[4:5] op_sel_hi:[0,1]
	v_pk_mul_f32 v[8:9], s[14:15], v[0:1] op_sel_hi:[0,1]
	s_mov_b32 s2, 0
	s_wait_kmcnt 0x0
	v_lshl_add_u64 v[10:11], v[2:3], 2, s[0:1]
	global_store_b128 v[10:11], v[6:9], off
.LBB21_21:
	s_and_not1_b32 vcc_lo, exec_lo, s2
	s_cbranch_vccnz .LBB21_23
; %bb.22:
	v_ashrrev_i32_e32 v3, 31, v2
	s_wait_kmcnt 0x0
	s_delay_alu instid0(VALU_DEP_1)
	v_lshl_add_u64 v[10:11], v[2:3], 2, s[0:1]
	v_pk_mul_f32 v[2:3], s[14:15], v[4:5] op_sel_hi:[0,1]
	v_pk_mul_f32 v[4:5], s[14:15], v[0:1] op_sel_hi:[0,1]
	global_load_b128 v[6:9], v[10:11], off
	s_wait_loadcnt 0x0
	v_pk_fma_f32 v[0:1], s[12:13], v[6:7], v[2:3] op_sel_hi:[0,1,1]
	v_pk_fma_f32 v[2:3], s[12:13], v[8:9], v[4:5] op_sel_hi:[0,1,1]
	global_store_b128 v[10:11], v[0:3], off
.LBB21_23:
	s_endpgm
	.section	.rodata,"a",@progbits
	.p2align	6, 0x0
	.amdhsa_kernel _ZN9rocsparseL19gebsrmvn_4xn_kernelILj128ELj6ELj8EfEEvi20rocsparse_direction_NS_24const_host_device_scalarIT2_EEPKiS6_PKS3_S8_S4_PS3_21rocsparse_index_base_b
		.amdhsa_group_segment_fixed_size 0
		.amdhsa_private_segment_fixed_size 0
		.amdhsa_kernarg_size 72
		.amdhsa_user_sgpr_count 2
		.amdhsa_user_sgpr_dispatch_ptr 0
		.amdhsa_user_sgpr_queue_ptr 0
		.amdhsa_user_sgpr_kernarg_segment_ptr 1
		.amdhsa_user_sgpr_dispatch_id 0
		.amdhsa_user_sgpr_kernarg_preload_length 0
		.amdhsa_user_sgpr_kernarg_preload_offset 0
		.amdhsa_user_sgpr_private_segment_size 0
		.amdhsa_wavefront_size32 1
		.amdhsa_uses_dynamic_stack 0
		.amdhsa_enable_private_segment 0
		.amdhsa_system_sgpr_workgroup_id_x 1
		.amdhsa_system_sgpr_workgroup_id_y 0
		.amdhsa_system_sgpr_workgroup_id_z 0
		.amdhsa_system_sgpr_workgroup_info 0
		.amdhsa_system_vgpr_workitem_id 0
		.amdhsa_next_free_vgpr 51
		.amdhsa_next_free_sgpr 18
		.amdhsa_named_barrier_count 0
		.amdhsa_reserve_vcc 1
		.amdhsa_float_round_mode_32 0
		.amdhsa_float_round_mode_16_64 0
		.amdhsa_float_denorm_mode_32 3
		.amdhsa_float_denorm_mode_16_64 3
		.amdhsa_fp16_overflow 0
		.amdhsa_memory_ordered 1
		.amdhsa_forward_progress 1
		.amdhsa_inst_pref_size 16
		.amdhsa_round_robin_scheduling 0
		.amdhsa_exception_fp_ieee_invalid_op 0
		.amdhsa_exception_fp_denorm_src 0
		.amdhsa_exception_fp_ieee_div_zero 0
		.amdhsa_exception_fp_ieee_overflow 0
		.amdhsa_exception_fp_ieee_underflow 0
		.amdhsa_exception_fp_ieee_inexact 0
		.amdhsa_exception_int_div_zero 0
	.end_amdhsa_kernel
	.section	.text._ZN9rocsparseL19gebsrmvn_4xn_kernelILj128ELj6ELj8EfEEvi20rocsparse_direction_NS_24const_host_device_scalarIT2_EEPKiS6_PKS3_S8_S4_PS3_21rocsparse_index_base_b,"axG",@progbits,_ZN9rocsparseL19gebsrmvn_4xn_kernelILj128ELj6ELj8EfEEvi20rocsparse_direction_NS_24const_host_device_scalarIT2_EEPKiS6_PKS3_S8_S4_PS3_21rocsparse_index_base_b,comdat
.Lfunc_end21:
	.size	_ZN9rocsparseL19gebsrmvn_4xn_kernelILj128ELj6ELj8EfEEvi20rocsparse_direction_NS_24const_host_device_scalarIT2_EEPKiS6_PKS3_S8_S4_PS3_21rocsparse_index_base_b, .Lfunc_end21-_ZN9rocsparseL19gebsrmvn_4xn_kernelILj128ELj6ELj8EfEEvi20rocsparse_direction_NS_24const_host_device_scalarIT2_EEPKiS6_PKS3_S8_S4_PS3_21rocsparse_index_base_b
                                        ; -- End function
	.set _ZN9rocsparseL19gebsrmvn_4xn_kernelILj128ELj6ELj8EfEEvi20rocsparse_direction_NS_24const_host_device_scalarIT2_EEPKiS6_PKS3_S8_S4_PS3_21rocsparse_index_base_b.num_vgpr, 51
	.set _ZN9rocsparseL19gebsrmvn_4xn_kernelILj128ELj6ELj8EfEEvi20rocsparse_direction_NS_24const_host_device_scalarIT2_EEPKiS6_PKS3_S8_S4_PS3_21rocsparse_index_base_b.num_agpr, 0
	.set _ZN9rocsparseL19gebsrmvn_4xn_kernelILj128ELj6ELj8EfEEvi20rocsparse_direction_NS_24const_host_device_scalarIT2_EEPKiS6_PKS3_S8_S4_PS3_21rocsparse_index_base_b.numbered_sgpr, 18
	.set _ZN9rocsparseL19gebsrmvn_4xn_kernelILj128ELj6ELj8EfEEvi20rocsparse_direction_NS_24const_host_device_scalarIT2_EEPKiS6_PKS3_S8_S4_PS3_21rocsparse_index_base_b.num_named_barrier, 0
	.set _ZN9rocsparseL19gebsrmvn_4xn_kernelILj128ELj6ELj8EfEEvi20rocsparse_direction_NS_24const_host_device_scalarIT2_EEPKiS6_PKS3_S8_S4_PS3_21rocsparse_index_base_b.private_seg_size, 0
	.set _ZN9rocsparseL19gebsrmvn_4xn_kernelILj128ELj6ELj8EfEEvi20rocsparse_direction_NS_24const_host_device_scalarIT2_EEPKiS6_PKS3_S8_S4_PS3_21rocsparse_index_base_b.uses_vcc, 1
	.set _ZN9rocsparseL19gebsrmvn_4xn_kernelILj128ELj6ELj8EfEEvi20rocsparse_direction_NS_24const_host_device_scalarIT2_EEPKiS6_PKS3_S8_S4_PS3_21rocsparse_index_base_b.uses_flat_scratch, 0
	.set _ZN9rocsparseL19gebsrmvn_4xn_kernelILj128ELj6ELj8EfEEvi20rocsparse_direction_NS_24const_host_device_scalarIT2_EEPKiS6_PKS3_S8_S4_PS3_21rocsparse_index_base_b.has_dyn_sized_stack, 0
	.set _ZN9rocsparseL19gebsrmvn_4xn_kernelILj128ELj6ELj8EfEEvi20rocsparse_direction_NS_24const_host_device_scalarIT2_EEPKiS6_PKS3_S8_S4_PS3_21rocsparse_index_base_b.has_recursion, 0
	.set _ZN9rocsparseL19gebsrmvn_4xn_kernelILj128ELj6ELj8EfEEvi20rocsparse_direction_NS_24const_host_device_scalarIT2_EEPKiS6_PKS3_S8_S4_PS3_21rocsparse_index_base_b.has_indirect_call, 0
	.section	.AMDGPU.csdata,"",@progbits
; Kernel info:
; codeLenInByte = 1976
; TotalNumSgprs: 20
; NumVgprs: 51
; ScratchSize: 0
; MemoryBound: 0
; FloatMode: 240
; IeeeMode: 1
; LDSByteSize: 0 bytes/workgroup (compile time only)
; SGPRBlocks: 0
; VGPRBlocks: 3
; NumSGPRsForWavesPerEU: 20
; NumVGPRsForWavesPerEU: 51
; NamedBarCnt: 0
; Occupancy: 16
; WaveLimiterHint : 1
; COMPUTE_PGM_RSRC2:SCRATCH_EN: 0
; COMPUTE_PGM_RSRC2:USER_SGPR: 2
; COMPUTE_PGM_RSRC2:TRAP_HANDLER: 0
; COMPUTE_PGM_RSRC2:TGID_X_EN: 1
; COMPUTE_PGM_RSRC2:TGID_Y_EN: 0
; COMPUTE_PGM_RSRC2:TGID_Z_EN: 0
; COMPUTE_PGM_RSRC2:TIDIG_COMP_CNT: 0
	.section	.text._ZN9rocsparseL19gebsrmvn_4xn_kernelILj128ELj6ELj16EfEEvi20rocsparse_direction_NS_24const_host_device_scalarIT2_EEPKiS6_PKS3_S8_S4_PS3_21rocsparse_index_base_b,"axG",@progbits,_ZN9rocsparseL19gebsrmvn_4xn_kernelILj128ELj6ELj16EfEEvi20rocsparse_direction_NS_24const_host_device_scalarIT2_EEPKiS6_PKS3_S8_S4_PS3_21rocsparse_index_base_b,comdat
	.globl	_ZN9rocsparseL19gebsrmvn_4xn_kernelILj128ELj6ELj16EfEEvi20rocsparse_direction_NS_24const_host_device_scalarIT2_EEPKiS6_PKS3_S8_S4_PS3_21rocsparse_index_base_b ; -- Begin function _ZN9rocsparseL19gebsrmvn_4xn_kernelILj128ELj6ELj16EfEEvi20rocsparse_direction_NS_24const_host_device_scalarIT2_EEPKiS6_PKS3_S8_S4_PS3_21rocsparse_index_base_b
	.p2align	8
	.type	_ZN9rocsparseL19gebsrmvn_4xn_kernelILj128ELj6ELj16EfEEvi20rocsparse_direction_NS_24const_host_device_scalarIT2_EEPKiS6_PKS3_S8_S4_PS3_21rocsparse_index_base_b,@function
_ZN9rocsparseL19gebsrmvn_4xn_kernelILj128ELj6ELj16EfEEvi20rocsparse_direction_NS_24const_host_device_scalarIT2_EEPKiS6_PKS3_S8_S4_PS3_21rocsparse_index_base_b: ; @_ZN9rocsparseL19gebsrmvn_4xn_kernelILj128ELj6ELj16EfEEvi20rocsparse_direction_NS_24const_host_device_scalarIT2_EEPKiS6_PKS3_S8_S4_PS3_21rocsparse_index_base_b
; %bb.0:
	s_clause 0x2
	s_load_b64 s[16:17], s[0:1], 0x40
	s_load_b64 s[14:15], s[0:1], 0x8
	;; [unrolled: 1-line block ×3, first 2 shown]
	s_wait_kmcnt 0x0
	s_bitcmp1_b32 s17, 0
	s_cselect_b32 s2, -1, 0
	s_delay_alu instid0(SALU_CYCLE_1)
	s_and_b32 vcc_lo, exec_lo, s2
	s_xor_b32 s2, s2, -1
	s_cbranch_vccnz .LBB22_2
; %bb.1:
	s_load_b32 s14, s[14:15], 0x0
.LBB22_2:
	s_and_not1_b32 vcc_lo, exec_lo, s2
	s_cbranch_vccnz .LBB22_4
; %bb.3:
	s_load_b32 s12, s[12:13], 0x0
.LBB22_4:
	s_wait_kmcnt 0x0
	s_cmp_eq_f32 s14, 0
	s_cselect_b32 s2, -1, 0
	s_cmp_eq_f32 s12, 1.0
	s_cselect_b32 s3, -1, 0
	s_delay_alu instid0(SALU_CYCLE_1) | instskip(NEXT) | instid1(SALU_CYCLE_1)
	s_and_b32 s2, s2, s3
	s_and_b32 vcc_lo, exec_lo, s2
	s_cbranch_vccnz .LBB22_23
; %bb.5:
	s_load_b64 s[2:3], s[0:1], 0x0
	s_bfe_u32 s4, ttmp6, 0x4000c
	s_and_b32 s5, ttmp6, 15
	s_add_co_i32 s4, s4, 1
	s_getreg_b32 s6, hwreg(HW_REG_IB_STS2, 6, 4)
	s_mul_i32 s4, ttmp9, s4
	v_lshrrev_b32_e32 v1, 4, v0
	s_add_co_i32 s5, s5, s4
	s_cmp_eq_u32 s6, 0
	s_cselect_b32 s4, ttmp9, s5
	s_delay_alu instid0(VALU_DEP_1) | instid1(SALU_CYCLE_1)
	v_lshl_or_b32 v2, s4, 3, v1
	s_wait_kmcnt 0x0
	s_delay_alu instid0(VALU_DEP_1)
	v_cmp_gt_i32_e32 vcc_lo, s2, v2
	s_and_saveexec_b32 s2, vcc_lo
	s_cbranch_execz .LBB22_23
; %bb.6:
	s_load_b256 s[4:11], s[0:1], 0x10
	v_ashrrev_i32_e32 v3, 31, v2
	s_cmp_lg_u32 s3, 0
	s_wait_kmcnt 0x0
	s_delay_alu instid0(VALU_DEP_1)
	v_lshl_add_u64 v[4:5], v[2:3], 2, s[4:5]
	v_and_b32_e32 v3, 15, v0
	global_load_b64 v[4:5], v[4:5], off
	s_wait_loadcnt 0x0
	v_subrev_nc_u32_e32 v0, s16, v4
	v_subrev_nc_u32_e32 v10, s16, v5
	s_delay_alu instid0(VALU_DEP_2) | instskip(NEXT) | instid1(VALU_DEP_1)
	v_add_nc_u32_e32 v11, v0, v3
	v_cmp_lt_i32_e64 s2, v11, v10
	s_cbranch_scc0 .LBB22_12
; %bb.7:
	v_mov_b32_e32 v1, 0
	s_delay_alu instid0(VALU_DEP_1)
	v_dual_mov_b32 v0, v1 :: v_dual_mov_b32 v5, v1
	v_mov_b32_e32 v4, v1
	s_and_saveexec_b32 s3, s2
	s_cbranch_execz .LBB22_11
; %bb.8:
	v_mad_u32 v8, v11, 24, 20
	v_dual_mov_b32 v7, 0 :: v_dual_mov_b32 v12, v11
	s_mov_b32 s4, 0
	s_delay_alu instid0(VALU_DEP_1)
	v_dual_mov_b32 v0, v7 :: v_dual_mov_b32 v1, v7
	v_dual_mov_b32 v4, v7 :: v_dual_mov_b32 v5, v7
.LBB22_9:                               ; =>This Inner Loop Header: Depth=1
	global_load_b32 v9, v12, s[6:7] scale_offset
	v_subrev_nc_u32_e32 v6, 20, v8
	s_wait_xcnt 0x0
	v_dual_mov_b32 v27, v7 :: v_dual_add_nc_u32 v12, 16, v12
	s_delay_alu instid0(VALU_DEP_2)
	v_lshl_add_u64 v[22:23], v[6:7], 2, s[8:9]
	s_clause 0x1
	global_load_b128 v[14:17], v[22:23], off offset:16
	global_load_b128 v[18:21], v[22:23], off
	v_cmp_ge_i32_e32 vcc_lo, v12, v10
	s_or_b32 s4, vcc_lo, s4
	s_wait_loadcnt 0x2
	v_subrev_nc_u32_e32 v6, s16, v9
	v_mov_b32_e32 v9, v7
	s_delay_alu instid0(VALU_DEP_2) | instskip(SKIP_1) | instid1(VALU_DEP_3)
	v_mul_lo_u32 v26, v6, 6
	v_add_nc_u32_e32 v6, -12, v8
	v_lshl_add_u64 v[46:47], v[8:9], 2, s[8:9]
	s_delay_alu instid0(VALU_DEP_2) | instskip(SKIP_1) | instid1(VALU_DEP_4)
	v_lshl_add_u64 v[28:29], v[6:7], 2, s[8:9]
	s_wait_xcnt 0x0
	v_lshl_add_u64 v[22:23], v[26:27], 2, s[10:11]
	v_add_nc_u32_e32 v6, 2, v26
	global_load_b64 v[38:39], v[22:23], off
	v_lshl_add_u64 v[30:31], v[6:7], 2, s[10:11]
	v_add_nc_u32_e32 v6, -8, v8
	global_load_b128 v[22:25], v[28:29], off
	global_load_b64 v[40:41], v[30:31], off
	v_lshl_add_u64 v[32:33], v[6:7], 2, s[8:9]
	v_add_nc_u32_e32 v6, -4, v8
	v_add_nc_u32_e32 v8, 0x180, v8
	s_delay_alu instid0(VALU_DEP_2)
	v_lshl_add_u64 v[42:43], v[6:7], 2, s[8:9]
	v_add_nc_u32_e32 v6, 4, v26
	global_load_b128 v[26:29], v[32:33], off
	v_lshl_add_u64 v[44:45], v[6:7], 2, s[10:11]
	global_load_b128 v[30:33], v[42:43], off
	global_load_b64 v[48:49], v[44:45], off
	global_load_b128 v[34:37], v[46:47], off
	s_wait_loadcnt 0x6
	v_pk_fma_f32 v[4:5], v[18:19], v[38:39], v[4:5] op_sel_hi:[1,0,1]
	v_pk_fma_f32 v[0:1], v[20:21], v[38:39], v[0:1] op_sel_hi:[1,0,1]
	s_delay_alu instid0(VALU_DEP_2) | instskip(NEXT) | instid1(VALU_DEP_2)
	v_pk_fma_f32 v[4:5], v[14:15], v[38:39], v[4:5] op_sel:[0,1,0]
	v_pk_fma_f32 v[0:1], v[16:17], v[38:39], v[0:1] op_sel:[0,1,0]
	s_wait_loadcnt 0x4
	s_delay_alu instid0(VALU_DEP_2) | instskip(NEXT) | instid1(VALU_DEP_2)
	v_pk_fma_f32 v[4:5], v[22:23], v[40:41], v[4:5] op_sel_hi:[1,0,1]
	v_pk_fma_f32 v[0:1], v[24:25], v[40:41], v[0:1] op_sel_hi:[1,0,1]
	s_wait_loadcnt 0x3
	s_delay_alu instid0(VALU_DEP_2) | instskip(NEXT) | instid1(VALU_DEP_2)
	v_pk_fma_f32 v[4:5], v[26:27], v[40:41], v[4:5] op_sel:[0,1,0]
	v_pk_fma_f32 v[0:1], v[28:29], v[40:41], v[0:1] op_sel:[0,1,0]
	s_wait_loadcnt 0x1
	s_delay_alu instid0(VALU_DEP_2) | instskip(NEXT) | instid1(VALU_DEP_2)
	v_pk_fma_f32 v[4:5], v[30:31], v[48:49], v[4:5] op_sel_hi:[1,0,1]
	v_pk_fma_f32 v[0:1], v[32:33], v[48:49], v[0:1] op_sel_hi:[1,0,1]
	s_wait_loadcnt 0x0
	s_delay_alu instid0(VALU_DEP_2) | instskip(NEXT) | instid1(VALU_DEP_2)
	v_pk_fma_f32 v[4:5], v[34:35], v[48:49], v[4:5] op_sel:[0,1,0]
	v_pk_fma_f32 v[0:1], v[36:37], v[48:49], v[0:1] op_sel:[0,1,0]
	s_and_not1_b32 exec_lo, exec_lo, s4
	s_cbranch_execnz .LBB22_9
; %bb.10:
	s_or_b32 exec_lo, exec_lo, s4
.LBB22_11:
	s_delay_alu instid0(SALU_CYCLE_1)
	s_or_b32 exec_lo, exec_lo, s3
	s_cbranch_execz .LBB22_13
	s_branch .LBB22_18
.LBB22_12:
                                        ; implicit-def: $vgpr1
                                        ; implicit-def: $vgpr5
.LBB22_13:
	v_mov_b32_e32 v1, 0
	s_delay_alu instid0(VALU_DEP_1)
	v_dual_mov_b32 v0, v1 :: v_dual_mov_b32 v5, v1
	v_mov_b32_e32 v4, v1
	s_and_saveexec_b32 s3, s2
	s_cbranch_execz .LBB22_17
; %bb.14:
	v_mad_u32 v8, v11, 24, 23
	v_mov_b32_e32 v7, 0
	s_mov_b32 s2, 0
	s_delay_alu instid0(VALU_DEP_1)
	v_dual_mov_b32 v0, v7 :: v_dual_mov_b32 v1, v7
	v_dual_mov_b32 v4, v7 :: v_dual_mov_b32 v5, v7
.LBB22_15:                              ; =>This Inner Loop Header: Depth=1
	global_load_b32 v9, v11, s[6:7] scale_offset
	v_subrev_nc_u32_e32 v6, 23, v8
	v_dual_mov_b32 v21, v7 :: v_dual_add_nc_u32 v30, -10, v8
	v_dual_add_nc_u32 v26, -11, v8 :: v_dual_add_nc_u32 v27, -5, v8
	s_delay_alu instid0(VALU_DEP_3)
	v_lshl_add_u64 v[22:23], v[6:7], 2, s[8:9]
	v_dual_add_nc_u32 v31, -4, v8 :: v_dual_add_nc_u32 v32, -15, v8
	v_dual_add_nc_u32 v33, -9, v8 :: v_dual_add_nc_u32 v34, -3, v8
	s_clause 0x3
	global_load_b128 v[12:15], v[22:23], off offset:16
	global_load_b128 v[16:19], v[22:23], off
	global_load_b32 v24, v26, s[8:9] scale_offset
	global_load_b32 v25, v27, s[8:9] scale_offset
	v_dual_add_nc_u32 v38, -14, v8 :: v_dual_add_nc_u32 v39, -8, v8
	v_dual_add_nc_u32 v40, -2, v8 :: v_dual_add_nc_u32 v44, -13, v8
	;; [unrolled: 1-line block ×3, first 2 shown]
	s_wait_xcnt 0x4
	v_dual_add_nc_u32 v50, -6, v8 :: v_dual_add_nc_u32 v11, 16, v11
	s_wait_loadcnt 0x4
	v_subrev_nc_u32_e32 v9, s16, v9
	s_delay_alu instid0(VALU_DEP_1) | instskip(SKIP_2) | instid1(VALU_DEP_2)
	v_mul_lo_u32 v20, v9, 6
	v_add_nc_u32_e32 v9, -1, v8
	s_wait_xcnt 0x2
	v_lshl_add_u64 v[22:23], v[20:21], 2, s[10:11]
	v_add_nc_u32_e32 v6, 2, v20
	global_load_b64 v[26:27], v[22:23], off
	s_clause 0x2
	global_load_b32 v28, v30, s[8:9] scale_offset
	global_load_b32 v29, v31, s[8:9] scale_offset
	;; [unrolled: 1-line block ×3, first 2 shown]
	s_wait_xcnt 0x3
	v_lshl_add_u64 v[22:23], v[6:7], 2, s[10:11]
	s_clause 0x1
	global_load_b32 v30, v33, s[8:9] scale_offset
	global_load_b32 v31, v34, s[8:9] scale_offset
	s_wait_loadcnt 0x8
	s_wait_xcnt 0x0
	v_dual_add_nc_u32 v6, 4, v20 :: v_dual_mov_b32 v34, v19
	global_load_b64 v[32:33], v[22:23], off
	s_clause 0x2
	global_load_b32 v35, v38, s[8:9] scale_offset
	global_load_b32 v36, v39, s[8:9] scale_offset
	;; [unrolled: 1-line block ×3, first 2 shown]
	v_mov_b32_e32 v20, v18
	s_wait_xcnt 0x3
	v_lshl_add_u64 v[22:23], v[6:7], 2, s[10:11]
	s_clause 0x2
	global_load_b32 v39, v44, s[8:9] scale_offset
	global_load_b32 v40, v48, s[8:9] scale_offset
	;; [unrolled: 1-line block ×3, first 2 shown]
	global_load_b64 v[42:43], v[22:23], off
	s_clause 0x2
	global_load_b32 v45, v49, s[8:9] scale_offset
	global_load_b32 v46, v50, s[8:9] scale_offset
	global_load_b32 v47, v8, s[8:9] scale_offset
	s_wait_xcnt 0x3
	v_dual_mov_b32 v22, v16 :: v_dual_mov_b32 v23, v14
	v_dual_mov_b32 v14, v17 :: v_dual_mov_b32 v38, v12
	v_mov_b32_e32 v44, v13
	v_cmp_ge_i32_e32 vcc_lo, v11, v10
	s_wait_xcnt 0x0
	v_add_nc_u32_e32 v8, 0x180, v8
	s_or_b32 s2, vcc_lo, s2
	s_wait_loadcnt 0x10
	v_pk_fma_f32 v[4:5], v[22:23], v[26:27], v[4:5] op_sel_hi:[1,0,1]
	v_pk_fma_f32 v[0:1], v[24:25], v[26:27], v[0:1] op_sel_hi:[1,0,1]
	s_delay_alu instid0(VALU_DEP_2) | instskip(SKIP_1) | instid1(VALU_DEP_2)
	v_pk_fma_f32 v[4:5], v[14:15], v[26:27], v[4:5] op_sel:[0,1,0]
	s_wait_loadcnt 0xe
	v_pk_fma_f32 v[0:1], v[28:29], v[26:27], v[0:1] op_sel:[0,1,0]
	s_wait_loadcnt 0xa
	s_delay_alu instid0(VALU_DEP_2) | instskip(NEXT) | instid1(VALU_DEP_2)
	v_pk_fma_f32 v[4:5], v[20:21], v[32:33], v[4:5] op_sel_hi:[1,0,1]
	v_pk_fma_f32 v[0:1], v[30:31], v[32:33], v[0:1] op_sel_hi:[1,0,1]
	s_wait_loadcnt 0x9
	s_delay_alu instid0(VALU_DEP_2) | instskip(SKIP_1) | instid1(VALU_DEP_2)
	v_pk_fma_f32 v[4:5], v[34:35], v[32:33], v[4:5] op_sel:[0,1,0]
	s_wait_loadcnt 0x7
	v_pk_fma_f32 v[0:1], v[36:37], v[32:33], v[0:1] op_sel:[0,1,0]
	s_wait_loadcnt 0x3
	s_delay_alu instid0(VALU_DEP_2) | instskip(NEXT) | instid1(VALU_DEP_2)
	v_pk_fma_f32 v[4:5], v[38:39], v[42:43], v[4:5] op_sel_hi:[1,0,1]
	v_pk_fma_f32 v[0:1], v[40:41], v[42:43], v[0:1] op_sel_hi:[1,0,1]
	s_wait_loadcnt 0x2
	s_delay_alu instid0(VALU_DEP_2) | instskip(SKIP_1) | instid1(VALU_DEP_2)
	v_pk_fma_f32 v[4:5], v[44:45], v[42:43], v[4:5] op_sel:[0,1,0]
	s_wait_loadcnt 0x0
	v_pk_fma_f32 v[0:1], v[46:47], v[42:43], v[0:1] op_sel:[0,1,0]
	s_and_not1_b32 exec_lo, exec_lo, s2
	s_cbranch_execnz .LBB22_15
; %bb.16:
	s_or_b32 exec_lo, exec_lo, s2
.LBB22_17:
	s_delay_alu instid0(SALU_CYCLE_1)
	s_or_b32 exec_lo, exec_lo, s3
.LBB22_18:
	v_mbcnt_lo_u32_b32 v10, -1, 0
	s_mov_b32 s2, -1
	s_delay_alu instid0(VALU_DEP_1) | instskip(SKIP_1) | instid1(VALU_DEP_1)
	v_xor_b32_e32 v11, 4, v10
	v_xor_b32_e32 v6, 8, v10
	v_cmp_gt_i32_e32 vcc_lo, 32, v6
	v_cndmask_b32_e32 v6, v10, v6, vcc_lo
	s_delay_alu instid0(VALU_DEP_4) | instskip(SKIP_1) | instid1(VALU_DEP_1)
	v_cmp_gt_i32_e32 vcc_lo, 32, v11
	v_cndmask_b32_e32 v11, v10, v11, vcc_lo
	v_dual_lshlrev_b32 v11, 2, v11 :: v_dual_lshlrev_b32 v9, 2, v6
	ds_bpermute_b32 v6, v9, v4
	ds_bpermute_b32 v7, v9, v5
	ds_bpermute_b32 v8, v9, v0
	ds_bpermute_b32 v9, v9, v1
	s_wait_dscnt 0x2
	v_pk_add_f32 v[4:5], v[4:5], v[6:7]
	s_wait_dscnt 0x0
	v_pk_add_f32 v[0:1], v[0:1], v[8:9]
	ds_bpermute_b32 v6, v11, v4
	ds_bpermute_b32 v7, v11, v5
	;; [unrolled: 1-line block ×4, first 2 shown]
	v_xor_b32_e32 v11, 2, v10
	s_delay_alu instid0(VALU_DEP_1) | instskip(SKIP_1) | instid1(VALU_DEP_1)
	v_cmp_gt_i32_e32 vcc_lo, 32, v11
	v_cndmask_b32_e32 v11, v10, v11, vcc_lo
	v_lshlrev_b32_e32 v11, 2, v11
	s_wait_dscnt 0x2
	v_pk_add_f32 v[4:5], v[4:5], v[6:7]
	s_wait_dscnt 0x0
	v_pk_add_f32 v[6:7], v[0:1], v[8:9]
	ds_bpermute_b32 v0, v11, v4
	ds_bpermute_b32 v1, v11, v5
	;; [unrolled: 1-line block ×4, first 2 shown]
	v_xor_b32_e32 v11, 1, v10
	s_delay_alu instid0(VALU_DEP_1) | instskip(SKIP_2) | instid1(VALU_DEP_2)
	v_cmp_gt_i32_e32 vcc_lo, 32, v11
	v_cndmask_b32_e32 v10, v10, v11, vcc_lo
	v_cmp_eq_u32_e32 vcc_lo, 15, v3
	v_lshlrev_b32_e32 v10, 2, v10
	s_wait_dscnt 0x2
	v_pk_add_f32 v[0:1], v[4:5], v[0:1]
	s_wait_dscnt 0x0
	v_pk_add_f32 v[6:7], v[6:7], v[8:9]
	ds_bpermute_b32 v4, v10, v0
	ds_bpermute_b32 v5, v10, v1
	;; [unrolled: 1-line block ×4, first 2 shown]
	s_and_b32 exec_lo, exec_lo, vcc_lo
	s_cbranch_execz .LBB22_23
; %bb.19:
	s_load_b64 s[0:1], s[0:1], 0x38
	s_wait_dscnt 0x2
	v_pk_add_f32 v[4:5], v[0:1], v[4:5]
	s_wait_dscnt 0x0
	v_pk_add_f32 v[0:1], v[6:7], v[8:9]
	v_lshlrev_b32_e32 v2, 2, v2
	s_cmp_eq_f32 s12, 0
	s_cbranch_scc0 .LBB22_21
; %bb.20:
	s_delay_alu instid0(VALU_DEP_1)
	v_ashrrev_i32_e32 v3, 31, v2
	v_pk_mul_f32 v[6:7], s[14:15], v[4:5] op_sel_hi:[0,1]
	v_pk_mul_f32 v[8:9], s[14:15], v[0:1] op_sel_hi:[0,1]
	s_mov_b32 s2, 0
	s_wait_kmcnt 0x0
	v_lshl_add_u64 v[10:11], v[2:3], 2, s[0:1]
	global_store_b128 v[10:11], v[6:9], off
.LBB22_21:
	s_and_not1_b32 vcc_lo, exec_lo, s2
	s_cbranch_vccnz .LBB22_23
; %bb.22:
	v_ashrrev_i32_e32 v3, 31, v2
	s_wait_kmcnt 0x0
	s_delay_alu instid0(VALU_DEP_1)
	v_lshl_add_u64 v[10:11], v[2:3], 2, s[0:1]
	v_pk_mul_f32 v[2:3], s[14:15], v[4:5] op_sel_hi:[0,1]
	v_pk_mul_f32 v[4:5], s[14:15], v[0:1] op_sel_hi:[0,1]
	global_load_b128 v[6:9], v[10:11], off
	s_wait_loadcnt 0x0
	v_pk_fma_f32 v[0:1], s[12:13], v[6:7], v[2:3] op_sel_hi:[0,1,1]
	v_pk_fma_f32 v[2:3], s[12:13], v[8:9], v[4:5] op_sel_hi:[0,1,1]
	global_store_b128 v[10:11], v[0:3], off
.LBB22_23:
	s_endpgm
	.section	.rodata,"a",@progbits
	.p2align	6, 0x0
	.amdhsa_kernel _ZN9rocsparseL19gebsrmvn_4xn_kernelILj128ELj6ELj16EfEEvi20rocsparse_direction_NS_24const_host_device_scalarIT2_EEPKiS6_PKS3_S8_S4_PS3_21rocsparse_index_base_b
		.amdhsa_group_segment_fixed_size 0
		.amdhsa_private_segment_fixed_size 0
		.amdhsa_kernarg_size 72
		.amdhsa_user_sgpr_count 2
		.amdhsa_user_sgpr_dispatch_ptr 0
		.amdhsa_user_sgpr_queue_ptr 0
		.amdhsa_user_sgpr_kernarg_segment_ptr 1
		.amdhsa_user_sgpr_dispatch_id 0
		.amdhsa_user_sgpr_kernarg_preload_length 0
		.amdhsa_user_sgpr_kernarg_preload_offset 0
		.amdhsa_user_sgpr_private_segment_size 0
		.amdhsa_wavefront_size32 1
		.amdhsa_uses_dynamic_stack 0
		.amdhsa_enable_private_segment 0
		.amdhsa_system_sgpr_workgroup_id_x 1
		.amdhsa_system_sgpr_workgroup_id_y 0
		.amdhsa_system_sgpr_workgroup_id_z 0
		.amdhsa_system_sgpr_workgroup_info 0
		.amdhsa_system_vgpr_workitem_id 0
		.amdhsa_next_free_vgpr 51
		.amdhsa_next_free_sgpr 18
		.amdhsa_named_barrier_count 0
		.amdhsa_reserve_vcc 1
		.amdhsa_float_round_mode_32 0
		.amdhsa_float_round_mode_16_64 0
		.amdhsa_float_denorm_mode_32 3
		.amdhsa_float_denorm_mode_16_64 3
		.amdhsa_fp16_overflow 0
		.amdhsa_memory_ordered 1
		.amdhsa_forward_progress 1
		.amdhsa_inst_pref_size 17
		.amdhsa_round_robin_scheduling 0
		.amdhsa_exception_fp_ieee_invalid_op 0
		.amdhsa_exception_fp_denorm_src 0
		.amdhsa_exception_fp_ieee_div_zero 0
		.amdhsa_exception_fp_ieee_overflow 0
		.amdhsa_exception_fp_ieee_underflow 0
		.amdhsa_exception_fp_ieee_inexact 0
		.amdhsa_exception_int_div_zero 0
	.end_amdhsa_kernel
	.section	.text._ZN9rocsparseL19gebsrmvn_4xn_kernelILj128ELj6ELj16EfEEvi20rocsparse_direction_NS_24const_host_device_scalarIT2_EEPKiS6_PKS3_S8_S4_PS3_21rocsparse_index_base_b,"axG",@progbits,_ZN9rocsparseL19gebsrmvn_4xn_kernelILj128ELj6ELj16EfEEvi20rocsparse_direction_NS_24const_host_device_scalarIT2_EEPKiS6_PKS3_S8_S4_PS3_21rocsparse_index_base_b,comdat
.Lfunc_end22:
	.size	_ZN9rocsparseL19gebsrmvn_4xn_kernelILj128ELj6ELj16EfEEvi20rocsparse_direction_NS_24const_host_device_scalarIT2_EEPKiS6_PKS3_S8_S4_PS3_21rocsparse_index_base_b, .Lfunc_end22-_ZN9rocsparseL19gebsrmvn_4xn_kernelILj128ELj6ELj16EfEEvi20rocsparse_direction_NS_24const_host_device_scalarIT2_EEPKiS6_PKS3_S8_S4_PS3_21rocsparse_index_base_b
                                        ; -- End function
	.set _ZN9rocsparseL19gebsrmvn_4xn_kernelILj128ELj6ELj16EfEEvi20rocsparse_direction_NS_24const_host_device_scalarIT2_EEPKiS6_PKS3_S8_S4_PS3_21rocsparse_index_base_b.num_vgpr, 51
	.set _ZN9rocsparseL19gebsrmvn_4xn_kernelILj128ELj6ELj16EfEEvi20rocsparse_direction_NS_24const_host_device_scalarIT2_EEPKiS6_PKS3_S8_S4_PS3_21rocsparse_index_base_b.num_agpr, 0
	.set _ZN9rocsparseL19gebsrmvn_4xn_kernelILj128ELj6ELj16EfEEvi20rocsparse_direction_NS_24const_host_device_scalarIT2_EEPKiS6_PKS3_S8_S4_PS3_21rocsparse_index_base_b.numbered_sgpr, 18
	.set _ZN9rocsparseL19gebsrmvn_4xn_kernelILj128ELj6ELj16EfEEvi20rocsparse_direction_NS_24const_host_device_scalarIT2_EEPKiS6_PKS3_S8_S4_PS3_21rocsparse_index_base_b.num_named_barrier, 0
	.set _ZN9rocsparseL19gebsrmvn_4xn_kernelILj128ELj6ELj16EfEEvi20rocsparse_direction_NS_24const_host_device_scalarIT2_EEPKiS6_PKS3_S8_S4_PS3_21rocsparse_index_base_b.private_seg_size, 0
	.set _ZN9rocsparseL19gebsrmvn_4xn_kernelILj128ELj6ELj16EfEEvi20rocsparse_direction_NS_24const_host_device_scalarIT2_EEPKiS6_PKS3_S8_S4_PS3_21rocsparse_index_base_b.uses_vcc, 1
	.set _ZN9rocsparseL19gebsrmvn_4xn_kernelILj128ELj6ELj16EfEEvi20rocsparse_direction_NS_24const_host_device_scalarIT2_EEPKiS6_PKS3_S8_S4_PS3_21rocsparse_index_base_b.uses_flat_scratch, 0
	.set _ZN9rocsparseL19gebsrmvn_4xn_kernelILj128ELj6ELj16EfEEvi20rocsparse_direction_NS_24const_host_device_scalarIT2_EEPKiS6_PKS3_S8_S4_PS3_21rocsparse_index_base_b.has_dyn_sized_stack, 0
	.set _ZN9rocsparseL19gebsrmvn_4xn_kernelILj128ELj6ELj16EfEEvi20rocsparse_direction_NS_24const_host_device_scalarIT2_EEPKiS6_PKS3_S8_S4_PS3_21rocsparse_index_base_b.has_recursion, 0
	.set _ZN9rocsparseL19gebsrmvn_4xn_kernelILj128ELj6ELj16EfEEvi20rocsparse_direction_NS_24const_host_device_scalarIT2_EEPKiS6_PKS3_S8_S4_PS3_21rocsparse_index_base_b.has_indirect_call, 0
	.section	.AMDGPU.csdata,"",@progbits
; Kernel info:
; codeLenInByte = 2052
; TotalNumSgprs: 20
; NumVgprs: 51
; ScratchSize: 0
; MemoryBound: 0
; FloatMode: 240
; IeeeMode: 1
; LDSByteSize: 0 bytes/workgroup (compile time only)
; SGPRBlocks: 0
; VGPRBlocks: 3
; NumSGPRsForWavesPerEU: 20
; NumVGPRsForWavesPerEU: 51
; NamedBarCnt: 0
; Occupancy: 16
; WaveLimiterHint : 1
; COMPUTE_PGM_RSRC2:SCRATCH_EN: 0
; COMPUTE_PGM_RSRC2:USER_SGPR: 2
; COMPUTE_PGM_RSRC2:TRAP_HANDLER: 0
; COMPUTE_PGM_RSRC2:TGID_X_EN: 1
; COMPUTE_PGM_RSRC2:TGID_Y_EN: 0
; COMPUTE_PGM_RSRC2:TGID_Z_EN: 0
; COMPUTE_PGM_RSRC2:TIDIG_COMP_CNT: 0
	.section	.text._ZN9rocsparseL19gebsrmvn_4xn_kernelILj128ELj6ELj32EfEEvi20rocsparse_direction_NS_24const_host_device_scalarIT2_EEPKiS6_PKS3_S8_S4_PS3_21rocsparse_index_base_b,"axG",@progbits,_ZN9rocsparseL19gebsrmvn_4xn_kernelILj128ELj6ELj32EfEEvi20rocsparse_direction_NS_24const_host_device_scalarIT2_EEPKiS6_PKS3_S8_S4_PS3_21rocsparse_index_base_b,comdat
	.globl	_ZN9rocsparseL19gebsrmvn_4xn_kernelILj128ELj6ELj32EfEEvi20rocsparse_direction_NS_24const_host_device_scalarIT2_EEPKiS6_PKS3_S8_S4_PS3_21rocsparse_index_base_b ; -- Begin function _ZN9rocsparseL19gebsrmvn_4xn_kernelILj128ELj6ELj32EfEEvi20rocsparse_direction_NS_24const_host_device_scalarIT2_EEPKiS6_PKS3_S8_S4_PS3_21rocsparse_index_base_b
	.p2align	8
	.type	_ZN9rocsparseL19gebsrmvn_4xn_kernelILj128ELj6ELj32EfEEvi20rocsparse_direction_NS_24const_host_device_scalarIT2_EEPKiS6_PKS3_S8_S4_PS3_21rocsparse_index_base_b,@function
_ZN9rocsparseL19gebsrmvn_4xn_kernelILj128ELj6ELj32EfEEvi20rocsparse_direction_NS_24const_host_device_scalarIT2_EEPKiS6_PKS3_S8_S4_PS3_21rocsparse_index_base_b: ; @_ZN9rocsparseL19gebsrmvn_4xn_kernelILj128ELj6ELj32EfEEvi20rocsparse_direction_NS_24const_host_device_scalarIT2_EEPKiS6_PKS3_S8_S4_PS3_21rocsparse_index_base_b
; %bb.0:
	s_clause 0x2
	s_load_b64 s[16:17], s[0:1], 0x40
	s_load_b64 s[14:15], s[0:1], 0x8
	;; [unrolled: 1-line block ×3, first 2 shown]
	s_wait_kmcnt 0x0
	s_bitcmp1_b32 s17, 0
	s_cselect_b32 s2, -1, 0
	s_delay_alu instid0(SALU_CYCLE_1)
	s_and_b32 vcc_lo, exec_lo, s2
	s_xor_b32 s2, s2, -1
	s_cbranch_vccnz .LBB23_2
; %bb.1:
	s_load_b32 s14, s[14:15], 0x0
.LBB23_2:
	s_and_not1_b32 vcc_lo, exec_lo, s2
	s_cbranch_vccnz .LBB23_4
; %bb.3:
	s_load_b32 s12, s[12:13], 0x0
.LBB23_4:
	s_wait_kmcnt 0x0
	s_cmp_eq_f32 s14, 0
	s_cselect_b32 s2, -1, 0
	s_cmp_eq_f32 s12, 1.0
	s_cselect_b32 s3, -1, 0
	s_delay_alu instid0(SALU_CYCLE_1) | instskip(NEXT) | instid1(SALU_CYCLE_1)
	s_and_b32 s2, s2, s3
	s_and_b32 vcc_lo, exec_lo, s2
	s_cbranch_vccnz .LBB23_23
; %bb.5:
	s_load_b64 s[2:3], s[0:1], 0x0
	s_bfe_u32 s4, ttmp6, 0x4000c
	s_and_b32 s5, ttmp6, 15
	s_add_co_i32 s4, s4, 1
	s_getreg_b32 s6, hwreg(HW_REG_IB_STS2, 6, 4)
	s_mul_i32 s4, ttmp9, s4
	v_lshrrev_b32_e32 v1, 5, v0
	s_add_co_i32 s5, s5, s4
	s_cmp_eq_u32 s6, 0
	s_cselect_b32 s4, ttmp9, s5
	s_delay_alu instid0(VALU_DEP_1) | instid1(SALU_CYCLE_1)
	v_lshl_or_b32 v2, s4, 2, v1
	s_wait_kmcnt 0x0
	s_delay_alu instid0(VALU_DEP_1)
	v_cmp_gt_i32_e32 vcc_lo, s2, v2
	s_and_saveexec_b32 s2, vcc_lo
	s_cbranch_execz .LBB23_23
; %bb.6:
	s_load_b256 s[4:11], s[0:1], 0x10
	v_ashrrev_i32_e32 v3, 31, v2
	s_cmp_lg_u32 s3, 0
	s_wait_kmcnt 0x0
	s_delay_alu instid0(VALU_DEP_1)
	v_lshl_add_u64 v[4:5], v[2:3], 2, s[4:5]
	v_and_b32_e32 v3, 31, v0
	global_load_b64 v[4:5], v[4:5], off
	s_wait_loadcnt 0x0
	v_subrev_nc_u32_e32 v0, s16, v4
	v_subrev_nc_u32_e32 v10, s16, v5
	s_delay_alu instid0(VALU_DEP_2) | instskip(NEXT) | instid1(VALU_DEP_1)
	v_add_nc_u32_e32 v11, v0, v3
	v_cmp_lt_i32_e64 s2, v11, v10
	s_cbranch_scc0 .LBB23_12
; %bb.7:
	v_mov_b32_e32 v1, 0
	s_delay_alu instid0(VALU_DEP_1)
	v_dual_mov_b32 v0, v1 :: v_dual_mov_b32 v5, v1
	v_mov_b32_e32 v4, v1
	s_and_saveexec_b32 s3, s2
	s_cbranch_execz .LBB23_11
; %bb.8:
	v_mad_u32 v8, v11, 24, 20
	v_dual_mov_b32 v7, 0 :: v_dual_mov_b32 v12, v11
	s_mov_b32 s4, 0
	s_delay_alu instid0(VALU_DEP_1)
	v_dual_mov_b32 v0, v7 :: v_dual_mov_b32 v1, v7
	v_dual_mov_b32 v4, v7 :: v_dual_mov_b32 v5, v7
.LBB23_9:                               ; =>This Inner Loop Header: Depth=1
	global_load_b32 v9, v12, s[6:7] scale_offset
	v_subrev_nc_u32_e32 v6, 20, v8
	s_wait_xcnt 0x0
	v_dual_mov_b32 v27, v7 :: v_dual_add_nc_u32 v12, 32, v12
	s_delay_alu instid0(VALU_DEP_2)
	v_lshl_add_u64 v[22:23], v[6:7], 2, s[8:9]
	s_clause 0x1
	global_load_b128 v[14:17], v[22:23], off offset:16
	global_load_b128 v[18:21], v[22:23], off
	v_cmp_ge_i32_e32 vcc_lo, v12, v10
	s_or_b32 s4, vcc_lo, s4
	s_wait_loadcnt 0x2
	v_subrev_nc_u32_e32 v6, s16, v9
	v_mov_b32_e32 v9, v7
	s_delay_alu instid0(VALU_DEP_2) | instskip(SKIP_1) | instid1(VALU_DEP_3)
	v_mul_lo_u32 v26, v6, 6
	v_add_nc_u32_e32 v6, -12, v8
	v_lshl_add_u64 v[46:47], v[8:9], 2, s[8:9]
	s_delay_alu instid0(VALU_DEP_2) | instskip(SKIP_1) | instid1(VALU_DEP_4)
	v_lshl_add_u64 v[28:29], v[6:7], 2, s[8:9]
	s_wait_xcnt 0x0
	v_lshl_add_u64 v[22:23], v[26:27], 2, s[10:11]
	v_add_nc_u32_e32 v6, 2, v26
	global_load_b64 v[38:39], v[22:23], off
	v_lshl_add_u64 v[30:31], v[6:7], 2, s[10:11]
	v_add_nc_u32_e32 v6, -8, v8
	global_load_b128 v[22:25], v[28:29], off
	global_load_b64 v[40:41], v[30:31], off
	v_lshl_add_u64 v[32:33], v[6:7], 2, s[8:9]
	v_add_nc_u32_e32 v6, -4, v8
	v_add_nc_u32_e32 v8, 0x300, v8
	s_delay_alu instid0(VALU_DEP_2)
	v_lshl_add_u64 v[42:43], v[6:7], 2, s[8:9]
	v_add_nc_u32_e32 v6, 4, v26
	global_load_b128 v[26:29], v[32:33], off
	v_lshl_add_u64 v[44:45], v[6:7], 2, s[10:11]
	global_load_b128 v[30:33], v[42:43], off
	global_load_b64 v[48:49], v[44:45], off
	global_load_b128 v[34:37], v[46:47], off
	s_wait_loadcnt 0x6
	v_pk_fma_f32 v[4:5], v[18:19], v[38:39], v[4:5] op_sel_hi:[1,0,1]
	v_pk_fma_f32 v[0:1], v[20:21], v[38:39], v[0:1] op_sel_hi:[1,0,1]
	s_delay_alu instid0(VALU_DEP_2) | instskip(NEXT) | instid1(VALU_DEP_2)
	v_pk_fma_f32 v[4:5], v[14:15], v[38:39], v[4:5] op_sel:[0,1,0]
	v_pk_fma_f32 v[0:1], v[16:17], v[38:39], v[0:1] op_sel:[0,1,0]
	s_wait_loadcnt 0x4
	s_delay_alu instid0(VALU_DEP_2) | instskip(NEXT) | instid1(VALU_DEP_2)
	v_pk_fma_f32 v[4:5], v[22:23], v[40:41], v[4:5] op_sel_hi:[1,0,1]
	v_pk_fma_f32 v[0:1], v[24:25], v[40:41], v[0:1] op_sel_hi:[1,0,1]
	s_wait_loadcnt 0x3
	s_delay_alu instid0(VALU_DEP_2) | instskip(NEXT) | instid1(VALU_DEP_2)
	v_pk_fma_f32 v[4:5], v[26:27], v[40:41], v[4:5] op_sel:[0,1,0]
	v_pk_fma_f32 v[0:1], v[28:29], v[40:41], v[0:1] op_sel:[0,1,0]
	s_wait_loadcnt 0x1
	s_delay_alu instid0(VALU_DEP_2) | instskip(NEXT) | instid1(VALU_DEP_2)
	v_pk_fma_f32 v[4:5], v[30:31], v[48:49], v[4:5] op_sel_hi:[1,0,1]
	v_pk_fma_f32 v[0:1], v[32:33], v[48:49], v[0:1] op_sel_hi:[1,0,1]
	s_wait_loadcnt 0x0
	s_delay_alu instid0(VALU_DEP_2) | instskip(NEXT) | instid1(VALU_DEP_2)
	v_pk_fma_f32 v[4:5], v[34:35], v[48:49], v[4:5] op_sel:[0,1,0]
	v_pk_fma_f32 v[0:1], v[36:37], v[48:49], v[0:1] op_sel:[0,1,0]
	s_and_not1_b32 exec_lo, exec_lo, s4
	s_cbranch_execnz .LBB23_9
; %bb.10:
	s_or_b32 exec_lo, exec_lo, s4
.LBB23_11:
	s_delay_alu instid0(SALU_CYCLE_1)
	s_or_b32 exec_lo, exec_lo, s3
	s_cbranch_execz .LBB23_13
	s_branch .LBB23_18
.LBB23_12:
                                        ; implicit-def: $vgpr1
                                        ; implicit-def: $vgpr5
.LBB23_13:
	v_mov_b32_e32 v1, 0
	s_delay_alu instid0(VALU_DEP_1)
	v_dual_mov_b32 v0, v1 :: v_dual_mov_b32 v5, v1
	v_mov_b32_e32 v4, v1
	s_and_saveexec_b32 s3, s2
	s_cbranch_execz .LBB23_17
; %bb.14:
	v_mad_u32 v8, v11, 24, 23
	v_mov_b32_e32 v7, 0
	s_mov_b32 s2, 0
	s_delay_alu instid0(VALU_DEP_1)
	v_dual_mov_b32 v0, v7 :: v_dual_mov_b32 v1, v7
	v_dual_mov_b32 v4, v7 :: v_dual_mov_b32 v5, v7
.LBB23_15:                              ; =>This Inner Loop Header: Depth=1
	global_load_b32 v9, v11, s[6:7] scale_offset
	v_subrev_nc_u32_e32 v6, 23, v8
	v_dual_mov_b32 v21, v7 :: v_dual_add_nc_u32 v30, -10, v8
	v_dual_add_nc_u32 v26, -11, v8 :: v_dual_add_nc_u32 v27, -5, v8
	s_delay_alu instid0(VALU_DEP_3)
	v_lshl_add_u64 v[22:23], v[6:7], 2, s[8:9]
	v_dual_add_nc_u32 v31, -4, v8 :: v_dual_add_nc_u32 v32, -15, v8
	v_dual_add_nc_u32 v33, -9, v8 :: v_dual_add_nc_u32 v34, -3, v8
	s_clause 0x3
	global_load_b128 v[12:15], v[22:23], off offset:16
	global_load_b128 v[16:19], v[22:23], off
	global_load_b32 v24, v26, s[8:9] scale_offset
	global_load_b32 v25, v27, s[8:9] scale_offset
	v_dual_add_nc_u32 v38, -14, v8 :: v_dual_add_nc_u32 v39, -8, v8
	v_dual_add_nc_u32 v40, -2, v8 :: v_dual_add_nc_u32 v44, -13, v8
	;; [unrolled: 1-line block ×3, first 2 shown]
	s_wait_xcnt 0x4
	v_dual_add_nc_u32 v50, -6, v8 :: v_dual_add_nc_u32 v11, 32, v11
	s_wait_loadcnt 0x4
	v_subrev_nc_u32_e32 v9, s16, v9
	s_delay_alu instid0(VALU_DEP_1) | instskip(SKIP_2) | instid1(VALU_DEP_2)
	v_mul_lo_u32 v20, v9, 6
	v_add_nc_u32_e32 v9, -1, v8
	s_wait_xcnt 0x2
	v_lshl_add_u64 v[22:23], v[20:21], 2, s[10:11]
	v_add_nc_u32_e32 v6, 2, v20
	global_load_b64 v[26:27], v[22:23], off
	s_clause 0x2
	global_load_b32 v28, v30, s[8:9] scale_offset
	global_load_b32 v29, v31, s[8:9] scale_offset
	;; [unrolled: 1-line block ×3, first 2 shown]
	s_wait_xcnt 0x3
	v_lshl_add_u64 v[22:23], v[6:7], 2, s[10:11]
	s_clause 0x1
	global_load_b32 v30, v33, s[8:9] scale_offset
	global_load_b32 v31, v34, s[8:9] scale_offset
	s_wait_loadcnt 0x8
	s_wait_xcnt 0x0
	v_dual_add_nc_u32 v6, 4, v20 :: v_dual_mov_b32 v34, v19
	global_load_b64 v[32:33], v[22:23], off
	s_clause 0x2
	global_load_b32 v35, v38, s[8:9] scale_offset
	global_load_b32 v36, v39, s[8:9] scale_offset
	;; [unrolled: 1-line block ×3, first 2 shown]
	v_mov_b32_e32 v20, v18
	s_wait_xcnt 0x3
	v_lshl_add_u64 v[22:23], v[6:7], 2, s[10:11]
	s_clause 0x2
	global_load_b32 v39, v44, s[8:9] scale_offset
	global_load_b32 v40, v48, s[8:9] scale_offset
	global_load_b32 v41, v9, s[8:9] scale_offset
	global_load_b64 v[42:43], v[22:23], off
	s_clause 0x2
	global_load_b32 v45, v49, s[8:9] scale_offset
	global_load_b32 v46, v50, s[8:9] scale_offset
	;; [unrolled: 1-line block ×3, first 2 shown]
	s_wait_xcnt 0x3
	v_dual_mov_b32 v22, v16 :: v_dual_mov_b32 v23, v14
	v_dual_mov_b32 v14, v17 :: v_dual_mov_b32 v38, v12
	v_mov_b32_e32 v44, v13
	v_cmp_ge_i32_e32 vcc_lo, v11, v10
	s_wait_xcnt 0x0
	v_add_nc_u32_e32 v8, 0x300, v8
	s_or_b32 s2, vcc_lo, s2
	s_wait_loadcnt 0x10
	v_pk_fma_f32 v[4:5], v[22:23], v[26:27], v[4:5] op_sel_hi:[1,0,1]
	v_pk_fma_f32 v[0:1], v[24:25], v[26:27], v[0:1] op_sel_hi:[1,0,1]
	s_delay_alu instid0(VALU_DEP_2) | instskip(SKIP_1) | instid1(VALU_DEP_2)
	v_pk_fma_f32 v[4:5], v[14:15], v[26:27], v[4:5] op_sel:[0,1,0]
	s_wait_loadcnt 0xe
	v_pk_fma_f32 v[0:1], v[28:29], v[26:27], v[0:1] op_sel:[0,1,0]
	s_wait_loadcnt 0xa
	s_delay_alu instid0(VALU_DEP_2) | instskip(NEXT) | instid1(VALU_DEP_2)
	v_pk_fma_f32 v[4:5], v[20:21], v[32:33], v[4:5] op_sel_hi:[1,0,1]
	v_pk_fma_f32 v[0:1], v[30:31], v[32:33], v[0:1] op_sel_hi:[1,0,1]
	s_wait_loadcnt 0x9
	s_delay_alu instid0(VALU_DEP_2) | instskip(SKIP_1) | instid1(VALU_DEP_2)
	v_pk_fma_f32 v[4:5], v[34:35], v[32:33], v[4:5] op_sel:[0,1,0]
	s_wait_loadcnt 0x7
	v_pk_fma_f32 v[0:1], v[36:37], v[32:33], v[0:1] op_sel:[0,1,0]
	s_wait_loadcnt 0x3
	s_delay_alu instid0(VALU_DEP_2) | instskip(NEXT) | instid1(VALU_DEP_2)
	v_pk_fma_f32 v[4:5], v[38:39], v[42:43], v[4:5] op_sel_hi:[1,0,1]
	v_pk_fma_f32 v[0:1], v[40:41], v[42:43], v[0:1] op_sel_hi:[1,0,1]
	s_wait_loadcnt 0x2
	s_delay_alu instid0(VALU_DEP_2) | instskip(SKIP_1) | instid1(VALU_DEP_2)
	v_pk_fma_f32 v[4:5], v[44:45], v[42:43], v[4:5] op_sel:[0,1,0]
	s_wait_loadcnt 0x0
	v_pk_fma_f32 v[0:1], v[46:47], v[42:43], v[0:1] op_sel:[0,1,0]
	s_and_not1_b32 exec_lo, exec_lo, s2
	s_cbranch_execnz .LBB23_15
; %bb.16:
	s_or_b32 exec_lo, exec_lo, s2
.LBB23_17:
	s_delay_alu instid0(SALU_CYCLE_1)
	s_or_b32 exec_lo, exec_lo, s3
.LBB23_18:
	v_mbcnt_lo_u32_b32 v10, -1, 0
	s_mov_b32 s2, -1
	s_delay_alu instid0(VALU_DEP_1) | instskip(SKIP_1) | instid1(VALU_DEP_1)
	v_xor_b32_e32 v11, 8, v10
	v_xor_b32_e32 v6, 16, v10
	v_cmp_gt_i32_e32 vcc_lo, 32, v6
	v_cndmask_b32_e32 v6, v10, v6, vcc_lo
	s_delay_alu instid0(VALU_DEP_4) | instskip(SKIP_1) | instid1(VALU_DEP_1)
	v_cmp_gt_i32_e32 vcc_lo, 32, v11
	v_cndmask_b32_e32 v11, v10, v11, vcc_lo
	v_dual_lshlrev_b32 v11, 2, v11 :: v_dual_lshlrev_b32 v9, 2, v6
	ds_bpermute_b32 v6, v9, v4
	ds_bpermute_b32 v7, v9, v5
	;; [unrolled: 1-line block ×4, first 2 shown]
	s_wait_dscnt 0x2
	v_pk_add_f32 v[4:5], v[4:5], v[6:7]
	s_wait_dscnt 0x0
	v_pk_add_f32 v[0:1], v[0:1], v[8:9]
	ds_bpermute_b32 v6, v11, v4
	ds_bpermute_b32 v7, v11, v5
	;; [unrolled: 1-line block ×4, first 2 shown]
	v_xor_b32_e32 v11, 4, v10
	s_delay_alu instid0(VALU_DEP_1) | instskip(SKIP_1) | instid1(VALU_DEP_1)
	v_cmp_gt_i32_e32 vcc_lo, 32, v11
	v_cndmask_b32_e32 v11, v10, v11, vcc_lo
	v_lshlrev_b32_e32 v11, 2, v11
	s_wait_dscnt 0x2
	v_pk_add_f32 v[4:5], v[4:5], v[6:7]
	s_wait_dscnt 0x0
	v_pk_add_f32 v[0:1], v[0:1], v[8:9]
	ds_bpermute_b32 v6, v11, v4
	ds_bpermute_b32 v7, v11, v5
	ds_bpermute_b32 v8, v11, v0
	ds_bpermute_b32 v9, v11, v1
	v_xor_b32_e32 v11, 2, v10
	s_delay_alu instid0(VALU_DEP_1) | instskip(SKIP_1) | instid1(VALU_DEP_1)
	v_cmp_gt_i32_e32 vcc_lo, 32, v11
	v_cndmask_b32_e32 v11, v10, v11, vcc_lo
	v_lshlrev_b32_e32 v11, 2, v11
	s_wait_dscnt 0x2
	v_pk_add_f32 v[4:5], v[4:5], v[6:7]
	s_wait_dscnt 0x0
	v_pk_add_f32 v[6:7], v[0:1], v[8:9]
	ds_bpermute_b32 v0, v11, v4
	ds_bpermute_b32 v1, v11, v5
	;; [unrolled: 1-line block ×4, first 2 shown]
	v_xor_b32_e32 v11, 1, v10
	s_delay_alu instid0(VALU_DEP_1) | instskip(SKIP_2) | instid1(VALU_DEP_2)
	v_cmp_gt_i32_e32 vcc_lo, 32, v11
	v_cndmask_b32_e32 v10, v10, v11, vcc_lo
	v_cmp_eq_u32_e32 vcc_lo, 31, v3
	v_lshlrev_b32_e32 v10, 2, v10
	s_wait_dscnt 0x2
	v_pk_add_f32 v[0:1], v[4:5], v[0:1]
	s_wait_dscnt 0x0
	v_pk_add_f32 v[6:7], v[6:7], v[8:9]
	ds_bpermute_b32 v4, v10, v0
	ds_bpermute_b32 v5, v10, v1
	;; [unrolled: 1-line block ×4, first 2 shown]
	s_and_b32 exec_lo, exec_lo, vcc_lo
	s_cbranch_execz .LBB23_23
; %bb.19:
	s_load_b64 s[0:1], s[0:1], 0x38
	s_wait_dscnt 0x2
	v_pk_add_f32 v[4:5], v[0:1], v[4:5]
	s_wait_dscnt 0x0
	v_pk_add_f32 v[0:1], v[6:7], v[8:9]
	v_lshlrev_b32_e32 v2, 2, v2
	s_cmp_eq_f32 s12, 0
	s_cbranch_scc0 .LBB23_21
; %bb.20:
	s_delay_alu instid0(VALU_DEP_1)
	v_ashrrev_i32_e32 v3, 31, v2
	v_pk_mul_f32 v[6:7], s[14:15], v[4:5] op_sel_hi:[0,1]
	v_pk_mul_f32 v[8:9], s[14:15], v[0:1] op_sel_hi:[0,1]
	s_mov_b32 s2, 0
	s_wait_kmcnt 0x0
	v_lshl_add_u64 v[10:11], v[2:3], 2, s[0:1]
	global_store_b128 v[10:11], v[6:9], off
.LBB23_21:
	s_and_not1_b32 vcc_lo, exec_lo, s2
	s_cbranch_vccnz .LBB23_23
; %bb.22:
	v_ashrrev_i32_e32 v3, 31, v2
	s_wait_kmcnt 0x0
	s_delay_alu instid0(VALU_DEP_1)
	v_lshl_add_u64 v[10:11], v[2:3], 2, s[0:1]
	v_pk_mul_f32 v[2:3], s[14:15], v[4:5] op_sel_hi:[0,1]
	v_pk_mul_f32 v[4:5], s[14:15], v[0:1] op_sel_hi:[0,1]
	global_load_b128 v[6:9], v[10:11], off
	s_wait_loadcnt 0x0
	v_pk_fma_f32 v[0:1], s[12:13], v[6:7], v[2:3] op_sel_hi:[0,1,1]
	v_pk_fma_f32 v[2:3], s[12:13], v[8:9], v[4:5] op_sel_hi:[0,1,1]
	global_store_b128 v[10:11], v[0:3], off
.LBB23_23:
	s_endpgm
	.section	.rodata,"a",@progbits
	.p2align	6, 0x0
	.amdhsa_kernel _ZN9rocsparseL19gebsrmvn_4xn_kernelILj128ELj6ELj32EfEEvi20rocsparse_direction_NS_24const_host_device_scalarIT2_EEPKiS6_PKS3_S8_S4_PS3_21rocsparse_index_base_b
		.amdhsa_group_segment_fixed_size 0
		.amdhsa_private_segment_fixed_size 0
		.amdhsa_kernarg_size 72
		.amdhsa_user_sgpr_count 2
		.amdhsa_user_sgpr_dispatch_ptr 0
		.amdhsa_user_sgpr_queue_ptr 0
		.amdhsa_user_sgpr_kernarg_segment_ptr 1
		.amdhsa_user_sgpr_dispatch_id 0
		.amdhsa_user_sgpr_kernarg_preload_length 0
		.amdhsa_user_sgpr_kernarg_preload_offset 0
		.amdhsa_user_sgpr_private_segment_size 0
		.amdhsa_wavefront_size32 1
		.amdhsa_uses_dynamic_stack 0
		.amdhsa_enable_private_segment 0
		.amdhsa_system_sgpr_workgroup_id_x 1
		.amdhsa_system_sgpr_workgroup_id_y 0
		.amdhsa_system_sgpr_workgroup_id_z 0
		.amdhsa_system_sgpr_workgroup_info 0
		.amdhsa_system_vgpr_workitem_id 0
		.amdhsa_next_free_vgpr 51
		.amdhsa_next_free_sgpr 18
		.amdhsa_named_barrier_count 0
		.amdhsa_reserve_vcc 1
		.amdhsa_float_round_mode_32 0
		.amdhsa_float_round_mode_16_64 0
		.amdhsa_float_denorm_mode_32 3
		.amdhsa_float_denorm_mode_16_64 3
		.amdhsa_fp16_overflow 0
		.amdhsa_memory_ordered 1
		.amdhsa_forward_progress 1
		.amdhsa_inst_pref_size 17
		.amdhsa_round_robin_scheduling 0
		.amdhsa_exception_fp_ieee_invalid_op 0
		.amdhsa_exception_fp_denorm_src 0
		.amdhsa_exception_fp_ieee_div_zero 0
		.amdhsa_exception_fp_ieee_overflow 0
		.amdhsa_exception_fp_ieee_underflow 0
		.amdhsa_exception_fp_ieee_inexact 0
		.amdhsa_exception_int_div_zero 0
	.end_amdhsa_kernel
	.section	.text._ZN9rocsparseL19gebsrmvn_4xn_kernelILj128ELj6ELj32EfEEvi20rocsparse_direction_NS_24const_host_device_scalarIT2_EEPKiS6_PKS3_S8_S4_PS3_21rocsparse_index_base_b,"axG",@progbits,_ZN9rocsparseL19gebsrmvn_4xn_kernelILj128ELj6ELj32EfEEvi20rocsparse_direction_NS_24const_host_device_scalarIT2_EEPKiS6_PKS3_S8_S4_PS3_21rocsparse_index_base_b,comdat
.Lfunc_end23:
	.size	_ZN9rocsparseL19gebsrmvn_4xn_kernelILj128ELj6ELj32EfEEvi20rocsparse_direction_NS_24const_host_device_scalarIT2_EEPKiS6_PKS3_S8_S4_PS3_21rocsparse_index_base_b, .Lfunc_end23-_ZN9rocsparseL19gebsrmvn_4xn_kernelILj128ELj6ELj32EfEEvi20rocsparse_direction_NS_24const_host_device_scalarIT2_EEPKiS6_PKS3_S8_S4_PS3_21rocsparse_index_base_b
                                        ; -- End function
	.set _ZN9rocsparseL19gebsrmvn_4xn_kernelILj128ELj6ELj32EfEEvi20rocsparse_direction_NS_24const_host_device_scalarIT2_EEPKiS6_PKS3_S8_S4_PS3_21rocsparse_index_base_b.num_vgpr, 51
	.set _ZN9rocsparseL19gebsrmvn_4xn_kernelILj128ELj6ELj32EfEEvi20rocsparse_direction_NS_24const_host_device_scalarIT2_EEPKiS6_PKS3_S8_S4_PS3_21rocsparse_index_base_b.num_agpr, 0
	.set _ZN9rocsparseL19gebsrmvn_4xn_kernelILj128ELj6ELj32EfEEvi20rocsparse_direction_NS_24const_host_device_scalarIT2_EEPKiS6_PKS3_S8_S4_PS3_21rocsparse_index_base_b.numbered_sgpr, 18
	.set _ZN9rocsparseL19gebsrmvn_4xn_kernelILj128ELj6ELj32EfEEvi20rocsparse_direction_NS_24const_host_device_scalarIT2_EEPKiS6_PKS3_S8_S4_PS3_21rocsparse_index_base_b.num_named_barrier, 0
	.set _ZN9rocsparseL19gebsrmvn_4xn_kernelILj128ELj6ELj32EfEEvi20rocsparse_direction_NS_24const_host_device_scalarIT2_EEPKiS6_PKS3_S8_S4_PS3_21rocsparse_index_base_b.private_seg_size, 0
	.set _ZN9rocsparseL19gebsrmvn_4xn_kernelILj128ELj6ELj32EfEEvi20rocsparse_direction_NS_24const_host_device_scalarIT2_EEPKiS6_PKS3_S8_S4_PS3_21rocsparse_index_base_b.uses_vcc, 1
	.set _ZN9rocsparseL19gebsrmvn_4xn_kernelILj128ELj6ELj32EfEEvi20rocsparse_direction_NS_24const_host_device_scalarIT2_EEPKiS6_PKS3_S8_S4_PS3_21rocsparse_index_base_b.uses_flat_scratch, 0
	.set _ZN9rocsparseL19gebsrmvn_4xn_kernelILj128ELj6ELj32EfEEvi20rocsparse_direction_NS_24const_host_device_scalarIT2_EEPKiS6_PKS3_S8_S4_PS3_21rocsparse_index_base_b.has_dyn_sized_stack, 0
	.set _ZN9rocsparseL19gebsrmvn_4xn_kernelILj128ELj6ELj32EfEEvi20rocsparse_direction_NS_24const_host_device_scalarIT2_EEPKiS6_PKS3_S8_S4_PS3_21rocsparse_index_base_b.has_recursion, 0
	.set _ZN9rocsparseL19gebsrmvn_4xn_kernelILj128ELj6ELj32EfEEvi20rocsparse_direction_NS_24const_host_device_scalarIT2_EEPKiS6_PKS3_S8_S4_PS3_21rocsparse_index_base_b.has_indirect_call, 0
	.section	.AMDGPU.csdata,"",@progbits
; Kernel info:
; codeLenInByte = 2128
; TotalNumSgprs: 20
; NumVgprs: 51
; ScratchSize: 0
; MemoryBound: 0
; FloatMode: 240
; IeeeMode: 1
; LDSByteSize: 0 bytes/workgroup (compile time only)
; SGPRBlocks: 0
; VGPRBlocks: 3
; NumSGPRsForWavesPerEU: 20
; NumVGPRsForWavesPerEU: 51
; NamedBarCnt: 0
; Occupancy: 16
; WaveLimiterHint : 1
; COMPUTE_PGM_RSRC2:SCRATCH_EN: 0
; COMPUTE_PGM_RSRC2:USER_SGPR: 2
; COMPUTE_PGM_RSRC2:TRAP_HANDLER: 0
; COMPUTE_PGM_RSRC2:TGID_X_EN: 1
; COMPUTE_PGM_RSRC2:TGID_Y_EN: 0
; COMPUTE_PGM_RSRC2:TGID_Z_EN: 0
; COMPUTE_PGM_RSRC2:TIDIG_COMP_CNT: 0
	.section	.text._ZN9rocsparseL19gebsrmvn_4xn_kernelILj128ELj6ELj64EfEEvi20rocsparse_direction_NS_24const_host_device_scalarIT2_EEPKiS6_PKS3_S8_S4_PS3_21rocsparse_index_base_b,"axG",@progbits,_ZN9rocsparseL19gebsrmvn_4xn_kernelILj128ELj6ELj64EfEEvi20rocsparse_direction_NS_24const_host_device_scalarIT2_EEPKiS6_PKS3_S8_S4_PS3_21rocsparse_index_base_b,comdat
	.globl	_ZN9rocsparseL19gebsrmvn_4xn_kernelILj128ELj6ELj64EfEEvi20rocsparse_direction_NS_24const_host_device_scalarIT2_EEPKiS6_PKS3_S8_S4_PS3_21rocsparse_index_base_b ; -- Begin function _ZN9rocsparseL19gebsrmvn_4xn_kernelILj128ELj6ELj64EfEEvi20rocsparse_direction_NS_24const_host_device_scalarIT2_EEPKiS6_PKS3_S8_S4_PS3_21rocsparse_index_base_b
	.p2align	8
	.type	_ZN9rocsparseL19gebsrmvn_4xn_kernelILj128ELj6ELj64EfEEvi20rocsparse_direction_NS_24const_host_device_scalarIT2_EEPKiS6_PKS3_S8_S4_PS3_21rocsparse_index_base_b,@function
_ZN9rocsparseL19gebsrmvn_4xn_kernelILj128ELj6ELj64EfEEvi20rocsparse_direction_NS_24const_host_device_scalarIT2_EEPKiS6_PKS3_S8_S4_PS3_21rocsparse_index_base_b: ; @_ZN9rocsparseL19gebsrmvn_4xn_kernelILj128ELj6ELj64EfEEvi20rocsparse_direction_NS_24const_host_device_scalarIT2_EEPKiS6_PKS3_S8_S4_PS3_21rocsparse_index_base_b
; %bb.0:
	s_clause 0x2
	s_load_b64 s[16:17], s[0:1], 0x40
	s_load_b64 s[14:15], s[0:1], 0x8
	;; [unrolled: 1-line block ×3, first 2 shown]
	s_wait_kmcnt 0x0
	s_bitcmp1_b32 s17, 0
	s_cselect_b32 s2, -1, 0
	s_delay_alu instid0(SALU_CYCLE_1)
	s_and_b32 vcc_lo, exec_lo, s2
	s_xor_b32 s2, s2, -1
	s_cbranch_vccnz .LBB24_2
; %bb.1:
	s_load_b32 s14, s[14:15], 0x0
.LBB24_2:
	s_and_not1_b32 vcc_lo, exec_lo, s2
	s_cbranch_vccnz .LBB24_4
; %bb.3:
	s_load_b32 s12, s[12:13], 0x0
.LBB24_4:
	s_wait_kmcnt 0x0
	s_cmp_eq_f32 s14, 0
	s_cselect_b32 s2, -1, 0
	s_cmp_eq_f32 s12, 1.0
	s_cselect_b32 s3, -1, 0
	s_delay_alu instid0(SALU_CYCLE_1) | instskip(NEXT) | instid1(SALU_CYCLE_1)
	s_and_b32 s2, s2, s3
	s_and_b32 vcc_lo, exec_lo, s2
	s_cbranch_vccnz .LBB24_23
; %bb.5:
	s_load_b64 s[2:3], s[0:1], 0x0
	s_bfe_u32 s4, ttmp6, 0x4000c
	s_and_b32 s5, ttmp6, 15
	s_add_co_i32 s4, s4, 1
	s_getreg_b32 s6, hwreg(HW_REG_IB_STS2, 6, 4)
	s_mul_i32 s4, ttmp9, s4
	v_lshrrev_b32_e32 v1, 6, v0
	s_add_co_i32 s5, s5, s4
	s_cmp_eq_u32 s6, 0
	s_cselect_b32 s4, ttmp9, s5
	s_delay_alu instid0(VALU_DEP_1) | instid1(SALU_CYCLE_1)
	v_lshl_or_b32 v2, s4, 1, v1
	s_wait_kmcnt 0x0
	s_delay_alu instid0(VALU_DEP_1)
	v_cmp_gt_i32_e32 vcc_lo, s2, v2
	s_and_saveexec_b32 s2, vcc_lo
	s_cbranch_execz .LBB24_23
; %bb.6:
	s_load_b256 s[4:11], s[0:1], 0x10
	v_ashrrev_i32_e32 v3, 31, v2
	s_cmp_lg_u32 s3, 0
	s_wait_kmcnt 0x0
	s_delay_alu instid0(VALU_DEP_1)
	v_lshl_add_u64 v[4:5], v[2:3], 2, s[4:5]
	v_and_b32_e32 v3, 63, v0
	global_load_b64 v[4:5], v[4:5], off
	s_wait_loadcnt 0x0
	v_subrev_nc_u32_e32 v0, s16, v4
	v_subrev_nc_u32_e32 v10, s16, v5
	s_delay_alu instid0(VALU_DEP_2) | instskip(NEXT) | instid1(VALU_DEP_1)
	v_add_nc_u32_e32 v11, v0, v3
	v_cmp_lt_i32_e64 s2, v11, v10
	s_cbranch_scc0 .LBB24_12
; %bb.7:
	v_mov_b32_e32 v1, 0
	s_delay_alu instid0(VALU_DEP_1)
	v_dual_mov_b32 v0, v1 :: v_dual_mov_b32 v5, v1
	v_mov_b32_e32 v4, v1
	s_and_saveexec_b32 s3, s2
	s_cbranch_execz .LBB24_11
; %bb.8:
	v_mad_u32 v8, v11, 24, 20
	v_dual_mov_b32 v7, 0 :: v_dual_mov_b32 v12, v11
	s_mov_b32 s4, 0
	s_delay_alu instid0(VALU_DEP_1)
	v_dual_mov_b32 v0, v7 :: v_dual_mov_b32 v1, v7
	v_dual_mov_b32 v4, v7 :: v_dual_mov_b32 v5, v7
.LBB24_9:                               ; =>This Inner Loop Header: Depth=1
	global_load_b32 v9, v12, s[6:7] scale_offset
	v_subrev_nc_u32_e32 v6, 20, v8
	s_wait_xcnt 0x0
	v_dual_mov_b32 v27, v7 :: v_dual_add_nc_u32 v12, 64, v12
	s_delay_alu instid0(VALU_DEP_2)
	v_lshl_add_u64 v[22:23], v[6:7], 2, s[8:9]
	s_clause 0x1
	global_load_b128 v[14:17], v[22:23], off offset:16
	global_load_b128 v[18:21], v[22:23], off
	v_cmp_ge_i32_e32 vcc_lo, v12, v10
	s_or_b32 s4, vcc_lo, s4
	s_wait_loadcnt 0x2
	v_subrev_nc_u32_e32 v6, s16, v9
	v_mov_b32_e32 v9, v7
	s_delay_alu instid0(VALU_DEP_2) | instskip(SKIP_1) | instid1(VALU_DEP_3)
	v_mul_lo_u32 v26, v6, 6
	v_add_nc_u32_e32 v6, -12, v8
	v_lshl_add_u64 v[46:47], v[8:9], 2, s[8:9]
	s_delay_alu instid0(VALU_DEP_2) | instskip(SKIP_1) | instid1(VALU_DEP_4)
	v_lshl_add_u64 v[28:29], v[6:7], 2, s[8:9]
	s_wait_xcnt 0x0
	v_lshl_add_u64 v[22:23], v[26:27], 2, s[10:11]
	v_add_nc_u32_e32 v6, 2, v26
	global_load_b64 v[38:39], v[22:23], off
	v_lshl_add_u64 v[30:31], v[6:7], 2, s[10:11]
	v_add_nc_u32_e32 v6, -8, v8
	global_load_b128 v[22:25], v[28:29], off
	global_load_b64 v[40:41], v[30:31], off
	v_lshl_add_u64 v[32:33], v[6:7], 2, s[8:9]
	v_add_nc_u32_e32 v6, -4, v8
	v_add_nc_u32_e32 v8, 0x600, v8
	s_delay_alu instid0(VALU_DEP_2)
	v_lshl_add_u64 v[42:43], v[6:7], 2, s[8:9]
	v_add_nc_u32_e32 v6, 4, v26
	global_load_b128 v[26:29], v[32:33], off
	v_lshl_add_u64 v[44:45], v[6:7], 2, s[10:11]
	global_load_b128 v[30:33], v[42:43], off
	global_load_b64 v[48:49], v[44:45], off
	global_load_b128 v[34:37], v[46:47], off
	s_wait_loadcnt 0x6
	v_pk_fma_f32 v[4:5], v[18:19], v[38:39], v[4:5] op_sel_hi:[1,0,1]
	v_pk_fma_f32 v[0:1], v[20:21], v[38:39], v[0:1] op_sel_hi:[1,0,1]
	s_delay_alu instid0(VALU_DEP_2) | instskip(NEXT) | instid1(VALU_DEP_2)
	v_pk_fma_f32 v[4:5], v[14:15], v[38:39], v[4:5] op_sel:[0,1,0]
	v_pk_fma_f32 v[0:1], v[16:17], v[38:39], v[0:1] op_sel:[0,1,0]
	s_wait_loadcnt 0x4
	s_delay_alu instid0(VALU_DEP_2) | instskip(NEXT) | instid1(VALU_DEP_2)
	v_pk_fma_f32 v[4:5], v[22:23], v[40:41], v[4:5] op_sel_hi:[1,0,1]
	v_pk_fma_f32 v[0:1], v[24:25], v[40:41], v[0:1] op_sel_hi:[1,0,1]
	s_wait_loadcnt 0x3
	s_delay_alu instid0(VALU_DEP_2) | instskip(NEXT) | instid1(VALU_DEP_2)
	v_pk_fma_f32 v[4:5], v[26:27], v[40:41], v[4:5] op_sel:[0,1,0]
	v_pk_fma_f32 v[0:1], v[28:29], v[40:41], v[0:1] op_sel:[0,1,0]
	s_wait_loadcnt 0x1
	s_delay_alu instid0(VALU_DEP_2) | instskip(NEXT) | instid1(VALU_DEP_2)
	v_pk_fma_f32 v[4:5], v[30:31], v[48:49], v[4:5] op_sel_hi:[1,0,1]
	v_pk_fma_f32 v[0:1], v[32:33], v[48:49], v[0:1] op_sel_hi:[1,0,1]
	s_wait_loadcnt 0x0
	s_delay_alu instid0(VALU_DEP_2) | instskip(NEXT) | instid1(VALU_DEP_2)
	v_pk_fma_f32 v[4:5], v[34:35], v[48:49], v[4:5] op_sel:[0,1,0]
	v_pk_fma_f32 v[0:1], v[36:37], v[48:49], v[0:1] op_sel:[0,1,0]
	s_and_not1_b32 exec_lo, exec_lo, s4
	s_cbranch_execnz .LBB24_9
; %bb.10:
	s_or_b32 exec_lo, exec_lo, s4
.LBB24_11:
	s_delay_alu instid0(SALU_CYCLE_1)
	s_or_b32 exec_lo, exec_lo, s3
	s_cbranch_execz .LBB24_13
	s_branch .LBB24_18
.LBB24_12:
                                        ; implicit-def: $vgpr1
                                        ; implicit-def: $vgpr5
.LBB24_13:
	v_mov_b32_e32 v1, 0
	s_delay_alu instid0(VALU_DEP_1)
	v_dual_mov_b32 v0, v1 :: v_dual_mov_b32 v5, v1
	v_mov_b32_e32 v4, v1
	s_and_saveexec_b32 s3, s2
	s_cbranch_execz .LBB24_17
; %bb.14:
	v_mad_u32 v8, v11, 24, 23
	v_mov_b32_e32 v7, 0
	s_mov_b32 s2, 0
	s_delay_alu instid0(VALU_DEP_1)
	v_dual_mov_b32 v0, v7 :: v_dual_mov_b32 v1, v7
	v_dual_mov_b32 v4, v7 :: v_dual_mov_b32 v5, v7
.LBB24_15:                              ; =>This Inner Loop Header: Depth=1
	global_load_b32 v9, v11, s[6:7] scale_offset
	v_subrev_nc_u32_e32 v6, 23, v8
	v_dual_mov_b32 v21, v7 :: v_dual_add_nc_u32 v30, -10, v8
	v_dual_add_nc_u32 v26, -11, v8 :: v_dual_add_nc_u32 v27, -5, v8
	s_delay_alu instid0(VALU_DEP_3)
	v_lshl_add_u64 v[22:23], v[6:7], 2, s[8:9]
	v_dual_add_nc_u32 v31, -4, v8 :: v_dual_add_nc_u32 v32, -15, v8
	v_dual_add_nc_u32 v33, -9, v8 :: v_dual_add_nc_u32 v34, -3, v8
	s_clause 0x3
	global_load_b128 v[12:15], v[22:23], off offset:16
	global_load_b128 v[16:19], v[22:23], off
	global_load_b32 v24, v26, s[8:9] scale_offset
	global_load_b32 v25, v27, s[8:9] scale_offset
	v_dual_add_nc_u32 v38, -14, v8 :: v_dual_add_nc_u32 v39, -8, v8
	v_dual_add_nc_u32 v40, -2, v8 :: v_dual_add_nc_u32 v44, -13, v8
	;; [unrolled: 1-line block ×3, first 2 shown]
	s_wait_xcnt 0x4
	v_dual_add_nc_u32 v50, -6, v8 :: v_dual_add_nc_u32 v11, 64, v11
	s_wait_loadcnt 0x4
	v_subrev_nc_u32_e32 v9, s16, v9
	s_delay_alu instid0(VALU_DEP_1) | instskip(SKIP_2) | instid1(VALU_DEP_2)
	v_mul_lo_u32 v20, v9, 6
	v_add_nc_u32_e32 v9, -1, v8
	s_wait_xcnt 0x2
	v_lshl_add_u64 v[22:23], v[20:21], 2, s[10:11]
	v_add_nc_u32_e32 v6, 2, v20
	global_load_b64 v[26:27], v[22:23], off
	s_clause 0x2
	global_load_b32 v28, v30, s[8:9] scale_offset
	global_load_b32 v29, v31, s[8:9] scale_offset
	;; [unrolled: 1-line block ×3, first 2 shown]
	s_wait_xcnt 0x3
	v_lshl_add_u64 v[22:23], v[6:7], 2, s[10:11]
	s_clause 0x1
	global_load_b32 v30, v33, s[8:9] scale_offset
	global_load_b32 v31, v34, s[8:9] scale_offset
	s_wait_loadcnt 0x8
	s_wait_xcnt 0x0
	v_dual_add_nc_u32 v6, 4, v20 :: v_dual_mov_b32 v34, v19
	global_load_b64 v[32:33], v[22:23], off
	s_clause 0x2
	global_load_b32 v35, v38, s[8:9] scale_offset
	global_load_b32 v36, v39, s[8:9] scale_offset
	;; [unrolled: 1-line block ×3, first 2 shown]
	v_mov_b32_e32 v20, v18
	s_wait_xcnt 0x3
	v_lshl_add_u64 v[22:23], v[6:7], 2, s[10:11]
	s_clause 0x2
	global_load_b32 v39, v44, s[8:9] scale_offset
	global_load_b32 v40, v48, s[8:9] scale_offset
	;; [unrolled: 1-line block ×3, first 2 shown]
	global_load_b64 v[42:43], v[22:23], off
	s_clause 0x2
	global_load_b32 v45, v49, s[8:9] scale_offset
	global_load_b32 v46, v50, s[8:9] scale_offset
	;; [unrolled: 1-line block ×3, first 2 shown]
	s_wait_xcnt 0x3
	v_dual_mov_b32 v22, v16 :: v_dual_mov_b32 v23, v14
	v_dual_mov_b32 v14, v17 :: v_dual_mov_b32 v38, v12
	v_mov_b32_e32 v44, v13
	v_cmp_ge_i32_e32 vcc_lo, v11, v10
	s_wait_xcnt 0x0
	v_add_nc_u32_e32 v8, 0x600, v8
	s_or_b32 s2, vcc_lo, s2
	s_wait_loadcnt 0x10
	v_pk_fma_f32 v[4:5], v[22:23], v[26:27], v[4:5] op_sel_hi:[1,0,1]
	v_pk_fma_f32 v[0:1], v[24:25], v[26:27], v[0:1] op_sel_hi:[1,0,1]
	s_delay_alu instid0(VALU_DEP_2) | instskip(SKIP_1) | instid1(VALU_DEP_2)
	v_pk_fma_f32 v[4:5], v[14:15], v[26:27], v[4:5] op_sel:[0,1,0]
	s_wait_loadcnt 0xe
	v_pk_fma_f32 v[0:1], v[28:29], v[26:27], v[0:1] op_sel:[0,1,0]
	s_wait_loadcnt 0xa
	s_delay_alu instid0(VALU_DEP_2) | instskip(NEXT) | instid1(VALU_DEP_2)
	v_pk_fma_f32 v[4:5], v[20:21], v[32:33], v[4:5] op_sel_hi:[1,0,1]
	v_pk_fma_f32 v[0:1], v[30:31], v[32:33], v[0:1] op_sel_hi:[1,0,1]
	s_wait_loadcnt 0x9
	s_delay_alu instid0(VALU_DEP_2) | instskip(SKIP_1) | instid1(VALU_DEP_2)
	v_pk_fma_f32 v[4:5], v[34:35], v[32:33], v[4:5] op_sel:[0,1,0]
	s_wait_loadcnt 0x7
	v_pk_fma_f32 v[0:1], v[36:37], v[32:33], v[0:1] op_sel:[0,1,0]
	s_wait_loadcnt 0x3
	s_delay_alu instid0(VALU_DEP_2) | instskip(NEXT) | instid1(VALU_DEP_2)
	v_pk_fma_f32 v[4:5], v[38:39], v[42:43], v[4:5] op_sel_hi:[1,0,1]
	v_pk_fma_f32 v[0:1], v[40:41], v[42:43], v[0:1] op_sel_hi:[1,0,1]
	s_wait_loadcnt 0x2
	s_delay_alu instid0(VALU_DEP_2) | instskip(SKIP_1) | instid1(VALU_DEP_2)
	v_pk_fma_f32 v[4:5], v[44:45], v[42:43], v[4:5] op_sel:[0,1,0]
	s_wait_loadcnt 0x0
	v_pk_fma_f32 v[0:1], v[46:47], v[42:43], v[0:1] op_sel:[0,1,0]
	s_and_not1_b32 exec_lo, exec_lo, s2
	s_cbranch_execnz .LBB24_15
; %bb.16:
	s_or_b32 exec_lo, exec_lo, s2
.LBB24_17:
	s_delay_alu instid0(SALU_CYCLE_1)
	s_or_b32 exec_lo, exec_lo, s3
.LBB24_18:
	v_mbcnt_lo_u32_b32 v10, -1, 0
	s_mov_b32 s2, -1
	s_delay_alu instid0(VALU_DEP_1) | instskip(SKIP_1) | instid1(VALU_DEP_1)
	v_xor_b32_e32 v11, 16, v10
	v_or_b32_e32 v6, 32, v10
	v_cmp_gt_i32_e32 vcc_lo, 32, v6
	v_cndmask_b32_e32 v6, v10, v6, vcc_lo
	s_delay_alu instid0(VALU_DEP_4) | instskip(SKIP_1) | instid1(VALU_DEP_1)
	v_cmp_gt_i32_e32 vcc_lo, 32, v11
	v_cndmask_b32_e32 v11, v10, v11, vcc_lo
	v_dual_lshlrev_b32 v11, 2, v11 :: v_dual_lshlrev_b32 v9, 2, v6
	ds_bpermute_b32 v6, v9, v4
	ds_bpermute_b32 v7, v9, v5
	;; [unrolled: 1-line block ×4, first 2 shown]
	s_wait_dscnt 0x2
	v_pk_add_f32 v[4:5], v[4:5], v[6:7]
	s_wait_dscnt 0x0
	v_pk_add_f32 v[0:1], v[0:1], v[8:9]
	ds_bpermute_b32 v6, v11, v4
	ds_bpermute_b32 v7, v11, v5
	ds_bpermute_b32 v8, v11, v0
	ds_bpermute_b32 v9, v11, v1
	v_xor_b32_e32 v11, 8, v10
	s_delay_alu instid0(VALU_DEP_1) | instskip(SKIP_1) | instid1(VALU_DEP_1)
	v_cmp_gt_i32_e32 vcc_lo, 32, v11
	v_cndmask_b32_e32 v11, v10, v11, vcc_lo
	v_lshlrev_b32_e32 v11, 2, v11
	s_wait_dscnt 0x2
	v_pk_add_f32 v[4:5], v[4:5], v[6:7]
	s_wait_dscnt 0x0
	v_pk_add_f32 v[0:1], v[0:1], v[8:9]
	ds_bpermute_b32 v6, v11, v4
	ds_bpermute_b32 v7, v11, v5
	ds_bpermute_b32 v8, v11, v0
	ds_bpermute_b32 v9, v11, v1
	v_xor_b32_e32 v11, 4, v10
	s_delay_alu instid0(VALU_DEP_1) | instskip(SKIP_1) | instid1(VALU_DEP_1)
	v_cmp_gt_i32_e32 vcc_lo, 32, v11
	v_cndmask_b32_e32 v11, v10, v11, vcc_lo
	v_lshlrev_b32_e32 v11, 2, v11
	;; [unrolled: 13-line block ×3, first 2 shown]
	s_wait_dscnt 0x2
	v_pk_add_f32 v[4:5], v[4:5], v[6:7]
	s_wait_dscnt 0x0
	v_pk_add_f32 v[6:7], v[0:1], v[8:9]
	ds_bpermute_b32 v0, v11, v4
	ds_bpermute_b32 v1, v11, v5
	;; [unrolled: 1-line block ×4, first 2 shown]
	v_xor_b32_e32 v11, 1, v10
	s_delay_alu instid0(VALU_DEP_1) | instskip(SKIP_2) | instid1(VALU_DEP_2)
	v_cmp_gt_i32_e32 vcc_lo, 32, v11
	v_cndmask_b32_e32 v10, v10, v11, vcc_lo
	v_cmp_eq_u32_e32 vcc_lo, 63, v3
	v_lshlrev_b32_e32 v10, 2, v10
	s_wait_dscnt 0x2
	v_pk_add_f32 v[0:1], v[4:5], v[0:1]
	s_wait_dscnt 0x0
	v_pk_add_f32 v[6:7], v[6:7], v[8:9]
	ds_bpermute_b32 v4, v10, v0
	ds_bpermute_b32 v5, v10, v1
	;; [unrolled: 1-line block ×4, first 2 shown]
	s_and_b32 exec_lo, exec_lo, vcc_lo
	s_cbranch_execz .LBB24_23
; %bb.19:
	s_load_b64 s[0:1], s[0:1], 0x38
	s_wait_dscnt 0x2
	v_pk_add_f32 v[4:5], v[0:1], v[4:5]
	s_wait_dscnt 0x0
	v_pk_add_f32 v[0:1], v[6:7], v[8:9]
	v_lshlrev_b32_e32 v2, 2, v2
	s_cmp_eq_f32 s12, 0
	s_cbranch_scc0 .LBB24_21
; %bb.20:
	s_delay_alu instid0(VALU_DEP_1)
	v_ashrrev_i32_e32 v3, 31, v2
	v_pk_mul_f32 v[6:7], s[14:15], v[4:5] op_sel_hi:[0,1]
	v_pk_mul_f32 v[8:9], s[14:15], v[0:1] op_sel_hi:[0,1]
	s_mov_b32 s2, 0
	s_wait_kmcnt 0x0
	v_lshl_add_u64 v[10:11], v[2:3], 2, s[0:1]
	global_store_b128 v[10:11], v[6:9], off
.LBB24_21:
	s_and_not1_b32 vcc_lo, exec_lo, s2
	s_cbranch_vccnz .LBB24_23
; %bb.22:
	v_ashrrev_i32_e32 v3, 31, v2
	s_wait_kmcnt 0x0
	s_delay_alu instid0(VALU_DEP_1)
	v_lshl_add_u64 v[10:11], v[2:3], 2, s[0:1]
	v_pk_mul_f32 v[2:3], s[14:15], v[4:5] op_sel_hi:[0,1]
	v_pk_mul_f32 v[4:5], s[14:15], v[0:1] op_sel_hi:[0,1]
	global_load_b128 v[6:9], v[10:11], off
	s_wait_loadcnt 0x0
	v_pk_fma_f32 v[0:1], s[12:13], v[6:7], v[2:3] op_sel_hi:[0,1,1]
	v_pk_fma_f32 v[2:3], s[12:13], v[8:9], v[4:5] op_sel_hi:[0,1,1]
	global_store_b128 v[10:11], v[0:3], off
.LBB24_23:
	s_endpgm
	.section	.rodata,"a",@progbits
	.p2align	6, 0x0
	.amdhsa_kernel _ZN9rocsparseL19gebsrmvn_4xn_kernelILj128ELj6ELj64EfEEvi20rocsparse_direction_NS_24const_host_device_scalarIT2_EEPKiS6_PKS3_S8_S4_PS3_21rocsparse_index_base_b
		.amdhsa_group_segment_fixed_size 0
		.amdhsa_private_segment_fixed_size 0
		.amdhsa_kernarg_size 72
		.amdhsa_user_sgpr_count 2
		.amdhsa_user_sgpr_dispatch_ptr 0
		.amdhsa_user_sgpr_queue_ptr 0
		.amdhsa_user_sgpr_kernarg_segment_ptr 1
		.amdhsa_user_sgpr_dispatch_id 0
		.amdhsa_user_sgpr_kernarg_preload_length 0
		.amdhsa_user_sgpr_kernarg_preload_offset 0
		.amdhsa_user_sgpr_private_segment_size 0
		.amdhsa_wavefront_size32 1
		.amdhsa_uses_dynamic_stack 0
		.amdhsa_enable_private_segment 0
		.amdhsa_system_sgpr_workgroup_id_x 1
		.amdhsa_system_sgpr_workgroup_id_y 0
		.amdhsa_system_sgpr_workgroup_id_z 0
		.amdhsa_system_sgpr_workgroup_info 0
		.amdhsa_system_vgpr_workitem_id 0
		.amdhsa_next_free_vgpr 51
		.amdhsa_next_free_sgpr 18
		.amdhsa_named_barrier_count 0
		.amdhsa_reserve_vcc 1
		.amdhsa_float_round_mode_32 0
		.amdhsa_float_round_mode_16_64 0
		.amdhsa_float_denorm_mode_32 3
		.amdhsa_float_denorm_mode_16_64 3
		.amdhsa_fp16_overflow 0
		.amdhsa_memory_ordered 1
		.amdhsa_forward_progress 1
		.amdhsa_inst_pref_size 18
		.amdhsa_round_robin_scheduling 0
		.amdhsa_exception_fp_ieee_invalid_op 0
		.amdhsa_exception_fp_denorm_src 0
		.amdhsa_exception_fp_ieee_div_zero 0
		.amdhsa_exception_fp_ieee_overflow 0
		.amdhsa_exception_fp_ieee_underflow 0
		.amdhsa_exception_fp_ieee_inexact 0
		.amdhsa_exception_int_div_zero 0
	.end_amdhsa_kernel
	.section	.text._ZN9rocsparseL19gebsrmvn_4xn_kernelILj128ELj6ELj64EfEEvi20rocsparse_direction_NS_24const_host_device_scalarIT2_EEPKiS6_PKS3_S8_S4_PS3_21rocsparse_index_base_b,"axG",@progbits,_ZN9rocsparseL19gebsrmvn_4xn_kernelILj128ELj6ELj64EfEEvi20rocsparse_direction_NS_24const_host_device_scalarIT2_EEPKiS6_PKS3_S8_S4_PS3_21rocsparse_index_base_b,comdat
.Lfunc_end24:
	.size	_ZN9rocsparseL19gebsrmvn_4xn_kernelILj128ELj6ELj64EfEEvi20rocsparse_direction_NS_24const_host_device_scalarIT2_EEPKiS6_PKS3_S8_S4_PS3_21rocsparse_index_base_b, .Lfunc_end24-_ZN9rocsparseL19gebsrmvn_4xn_kernelILj128ELj6ELj64EfEEvi20rocsparse_direction_NS_24const_host_device_scalarIT2_EEPKiS6_PKS3_S8_S4_PS3_21rocsparse_index_base_b
                                        ; -- End function
	.set _ZN9rocsparseL19gebsrmvn_4xn_kernelILj128ELj6ELj64EfEEvi20rocsparse_direction_NS_24const_host_device_scalarIT2_EEPKiS6_PKS3_S8_S4_PS3_21rocsparse_index_base_b.num_vgpr, 51
	.set _ZN9rocsparseL19gebsrmvn_4xn_kernelILj128ELj6ELj64EfEEvi20rocsparse_direction_NS_24const_host_device_scalarIT2_EEPKiS6_PKS3_S8_S4_PS3_21rocsparse_index_base_b.num_agpr, 0
	.set _ZN9rocsparseL19gebsrmvn_4xn_kernelILj128ELj6ELj64EfEEvi20rocsparse_direction_NS_24const_host_device_scalarIT2_EEPKiS6_PKS3_S8_S4_PS3_21rocsparse_index_base_b.numbered_sgpr, 18
	.set _ZN9rocsparseL19gebsrmvn_4xn_kernelILj128ELj6ELj64EfEEvi20rocsparse_direction_NS_24const_host_device_scalarIT2_EEPKiS6_PKS3_S8_S4_PS3_21rocsparse_index_base_b.num_named_barrier, 0
	.set _ZN9rocsparseL19gebsrmvn_4xn_kernelILj128ELj6ELj64EfEEvi20rocsparse_direction_NS_24const_host_device_scalarIT2_EEPKiS6_PKS3_S8_S4_PS3_21rocsparse_index_base_b.private_seg_size, 0
	.set _ZN9rocsparseL19gebsrmvn_4xn_kernelILj128ELj6ELj64EfEEvi20rocsparse_direction_NS_24const_host_device_scalarIT2_EEPKiS6_PKS3_S8_S4_PS3_21rocsparse_index_base_b.uses_vcc, 1
	.set _ZN9rocsparseL19gebsrmvn_4xn_kernelILj128ELj6ELj64EfEEvi20rocsparse_direction_NS_24const_host_device_scalarIT2_EEPKiS6_PKS3_S8_S4_PS3_21rocsparse_index_base_b.uses_flat_scratch, 0
	.set _ZN9rocsparseL19gebsrmvn_4xn_kernelILj128ELj6ELj64EfEEvi20rocsparse_direction_NS_24const_host_device_scalarIT2_EEPKiS6_PKS3_S8_S4_PS3_21rocsparse_index_base_b.has_dyn_sized_stack, 0
	.set _ZN9rocsparseL19gebsrmvn_4xn_kernelILj128ELj6ELj64EfEEvi20rocsparse_direction_NS_24const_host_device_scalarIT2_EEPKiS6_PKS3_S8_S4_PS3_21rocsparse_index_base_b.has_recursion, 0
	.set _ZN9rocsparseL19gebsrmvn_4xn_kernelILj128ELj6ELj64EfEEvi20rocsparse_direction_NS_24const_host_device_scalarIT2_EEPKiS6_PKS3_S8_S4_PS3_21rocsparse_index_base_b.has_indirect_call, 0
	.section	.AMDGPU.csdata,"",@progbits
; Kernel info:
; codeLenInByte = 2204
; TotalNumSgprs: 20
; NumVgprs: 51
; ScratchSize: 0
; MemoryBound: 0
; FloatMode: 240
; IeeeMode: 1
; LDSByteSize: 0 bytes/workgroup (compile time only)
; SGPRBlocks: 0
; VGPRBlocks: 3
; NumSGPRsForWavesPerEU: 20
; NumVGPRsForWavesPerEU: 51
; NamedBarCnt: 0
; Occupancy: 16
; WaveLimiterHint : 1
; COMPUTE_PGM_RSRC2:SCRATCH_EN: 0
; COMPUTE_PGM_RSRC2:USER_SGPR: 2
; COMPUTE_PGM_RSRC2:TRAP_HANDLER: 0
; COMPUTE_PGM_RSRC2:TGID_X_EN: 1
; COMPUTE_PGM_RSRC2:TGID_Y_EN: 0
; COMPUTE_PGM_RSRC2:TGID_Z_EN: 0
; COMPUTE_PGM_RSRC2:TIDIG_COMP_CNT: 0
	.section	.text._ZN9rocsparseL19gebsrmvn_4xn_kernelILj128ELj7ELj4EfEEvi20rocsparse_direction_NS_24const_host_device_scalarIT2_EEPKiS6_PKS3_S8_S4_PS3_21rocsparse_index_base_b,"axG",@progbits,_ZN9rocsparseL19gebsrmvn_4xn_kernelILj128ELj7ELj4EfEEvi20rocsparse_direction_NS_24const_host_device_scalarIT2_EEPKiS6_PKS3_S8_S4_PS3_21rocsparse_index_base_b,comdat
	.globl	_ZN9rocsparseL19gebsrmvn_4xn_kernelILj128ELj7ELj4EfEEvi20rocsparse_direction_NS_24const_host_device_scalarIT2_EEPKiS6_PKS3_S8_S4_PS3_21rocsparse_index_base_b ; -- Begin function _ZN9rocsparseL19gebsrmvn_4xn_kernelILj128ELj7ELj4EfEEvi20rocsparse_direction_NS_24const_host_device_scalarIT2_EEPKiS6_PKS3_S8_S4_PS3_21rocsparse_index_base_b
	.p2align	8
	.type	_ZN9rocsparseL19gebsrmvn_4xn_kernelILj128ELj7ELj4EfEEvi20rocsparse_direction_NS_24const_host_device_scalarIT2_EEPKiS6_PKS3_S8_S4_PS3_21rocsparse_index_base_b,@function
_ZN9rocsparseL19gebsrmvn_4xn_kernelILj128ELj7ELj4EfEEvi20rocsparse_direction_NS_24const_host_device_scalarIT2_EEPKiS6_PKS3_S8_S4_PS3_21rocsparse_index_base_b: ; @_ZN9rocsparseL19gebsrmvn_4xn_kernelILj128ELj7ELj4EfEEvi20rocsparse_direction_NS_24const_host_device_scalarIT2_EEPKiS6_PKS3_S8_S4_PS3_21rocsparse_index_base_b
; %bb.0:
	s_clause 0x2
	s_load_b64 s[16:17], s[0:1], 0x40
	s_load_b64 s[14:15], s[0:1], 0x8
	;; [unrolled: 1-line block ×3, first 2 shown]
	s_wait_kmcnt 0x0
	s_bitcmp1_b32 s17, 0
	s_cselect_b32 s2, -1, 0
	s_delay_alu instid0(SALU_CYCLE_1)
	s_and_b32 vcc_lo, exec_lo, s2
	s_xor_b32 s2, s2, -1
	s_cbranch_vccnz .LBB25_2
; %bb.1:
	s_load_b32 s14, s[14:15], 0x0
.LBB25_2:
	s_and_not1_b32 vcc_lo, exec_lo, s2
	s_cbranch_vccnz .LBB25_4
; %bb.3:
	s_load_b32 s12, s[12:13], 0x0
.LBB25_4:
	s_wait_kmcnt 0x0
	s_cmp_eq_f32 s14, 0
	s_cselect_b32 s2, -1, 0
	s_cmp_eq_f32 s12, 1.0
	s_cselect_b32 s3, -1, 0
	s_delay_alu instid0(SALU_CYCLE_1) | instskip(NEXT) | instid1(SALU_CYCLE_1)
	s_and_b32 s2, s2, s3
	s_and_b32 vcc_lo, exec_lo, s2
	s_cbranch_vccnz .LBB25_23
; %bb.5:
	s_load_b64 s[2:3], s[0:1], 0x0
	s_bfe_u32 s4, ttmp6, 0x4000c
	s_and_b32 s5, ttmp6, 15
	s_add_co_i32 s4, s4, 1
	s_getreg_b32 s6, hwreg(HW_REG_IB_STS2, 6, 4)
	s_mul_i32 s4, ttmp9, s4
	v_lshrrev_b32_e32 v1, 2, v0
	s_add_co_i32 s5, s5, s4
	s_cmp_eq_u32 s6, 0
	s_cselect_b32 s4, ttmp9, s5
	s_delay_alu instid0(VALU_DEP_1) | instid1(SALU_CYCLE_1)
	v_lshl_or_b32 v2, s4, 5, v1
	s_wait_kmcnt 0x0
	s_delay_alu instid0(VALU_DEP_1)
	v_cmp_gt_i32_e32 vcc_lo, s2, v2
	s_and_saveexec_b32 s2, vcc_lo
	s_cbranch_execz .LBB25_23
; %bb.6:
	s_load_b256 s[4:11], s[0:1], 0x10
	v_ashrrev_i32_e32 v3, 31, v2
	s_cmp_lg_u32 s3, 0
	s_wait_kmcnt 0x0
	s_delay_alu instid0(VALU_DEP_1)
	v_lshl_add_u64 v[4:5], v[2:3], 2, s[4:5]
	v_and_b32_e32 v3, 3, v0
	global_load_b64 v[4:5], v[4:5], off
	s_wait_loadcnt 0x0
	v_subrev_nc_u32_e32 v0, s16, v4
	v_subrev_nc_u32_e32 v10, s16, v5
	s_delay_alu instid0(VALU_DEP_2) | instskip(NEXT) | instid1(VALU_DEP_1)
	v_add_nc_u32_e32 v11, v0, v3
	v_cmp_lt_i32_e64 s2, v11, v10
	s_cbranch_scc0 .LBB25_12
; %bb.7:
	v_mov_b32_e32 v1, 0
	s_delay_alu instid0(VALU_DEP_1)
	v_dual_mov_b32 v0, v1 :: v_dual_mov_b32 v5, v1
	v_mov_b32_e32 v4, v1
	s_and_saveexec_b32 s3, s2
	s_cbranch_execz .LBB25_11
; %bb.8:
	v_mad_u32 v8, v11, 28, 24
	v_dual_mov_b32 v7, 0 :: v_dual_mov_b32 v12, v11
	s_mov_b32 s4, 0
	s_delay_alu instid0(VALU_DEP_1)
	v_dual_mov_b32 v0, v7 :: v_dual_mov_b32 v1, v7
	v_dual_mov_b32 v4, v7 :: v_dual_mov_b32 v5, v7
.LBB25_9:                               ; =>This Inner Loop Header: Depth=1
	global_load_b32 v13, v12, s[6:7] scale_offset
	v_subrev_nc_u32_e32 v6, 24, v8
	s_wait_xcnt 0x0
	v_dual_mov_b32 v9, v7 :: v_dual_add_nc_u32 v12, 4, v12
	s_delay_alu instid0(VALU_DEP_2) | instskip(SKIP_1) | instid1(VALU_DEP_3)
	v_lshl_add_u64 v[22:23], v[6:7], 2, s[8:9]
	v_subrev_nc_u32_e32 v6, 20, v8
	v_cmp_ge_i32_e32 vcc_lo, v12, v10
	s_delay_alu instid0(VALU_DEP_2)
	v_lshl_add_u64 v[24:25], v[6:7], 2, s[8:9]
	v_add_nc_u32_e32 v6, -16, v8
	s_clause 0x1
	global_load_b128 v[14:17], v[22:23], off
	global_load_b128 v[18:21], v[24:25], off
	v_lshl_add_u64 v[50:51], v[8:9], 2, s[8:9]
	s_wait_xcnt 0x1
	v_lshl_add_u64 v[22:23], v[6:7], 2, s[8:9]
	s_or_b32 s4, vcc_lo, s4
	global_load_b128 v[22:25], v[22:23], off
	s_wait_loadcnt 0x3
	v_subrev_nc_u32_e32 v13, s16, v13
	s_delay_alu instid0(VALU_DEP_1) | instskip(NEXT) | instid1(VALU_DEP_1)
	v_mul_lo_u32 v13, v13, 7
	v_dual_add_nc_u32 v6, -12, v8 :: v_dual_add_nc_u32 v28, 1, v13
	global_load_b32 v42, v13, s[10:11] scale_offset
	v_add_nc_u32_e32 v30, 2, v13
	v_lshl_add_u64 v[26:27], v[6:7], 2, s[8:9]
	v_add_nc_u32_e32 v6, -8, v8
	global_load_b32 v44, v28, s[10:11] scale_offset
	v_add_nc_u32_e32 v36, 3, v13
	global_load_b32 v46, v30, s[10:11] scale_offset
	global_load_b128 v[26:29], v[26:27], off
	v_lshl_add_u64 v[34:35], v[6:7], 2, s[8:9]
	v_dual_add_nc_u32 v6, -4, v8 :: v_dual_add_nc_u32 v37, 4, v13
	v_add_nc_u32_e32 v43, 5, v13
	global_load_b32 v48, v36, s[10:11] scale_offset
	global_load_b128 v[30:33], v[34:35], off
	v_add_nc_u32_e32 v9, 6, v13
	s_wait_xcnt 0x0
	v_lshl_add_u64 v[34:35], v[6:7], 2, s[8:9]
	global_load_b32 v6, v37, s[10:11] scale_offset
	v_add_nc_u32_e32 v8, 0x70, v8
	global_load_b128 v[34:37], v[34:35], off
	global_load_b32 v52, v43, s[10:11] scale_offset
	global_load_b128 v[38:41], v[50:51], off
	global_load_b32 v54, v9, s[10:11] scale_offset
	s_wait_loadcnt 0xa
	v_pk_fma_f32 v[4:5], v[14:15], v[42:43], v[4:5] op_sel_hi:[1,0,1]
	v_pk_fma_f32 v[0:1], v[16:17], v[42:43], v[0:1] op_sel_hi:[1,0,1]
	s_wait_loadcnt 0x9
	s_delay_alu instid0(VALU_DEP_2) | instskip(NEXT) | instid1(VALU_DEP_2)
	v_pk_fma_f32 v[4:5], v[18:19], v[44:45], v[4:5] op_sel_hi:[1,0,1]
	v_pk_fma_f32 v[0:1], v[20:21], v[44:45], v[0:1] op_sel_hi:[1,0,1]
	s_wait_loadcnt 0x8
	s_delay_alu instid0(VALU_DEP_2) | instskip(NEXT) | instid1(VALU_DEP_2)
	;; [unrolled: 4-line block ×6, first 2 shown]
	v_pk_fma_f32 v[4:5], v[38:39], v[54:55], v[4:5] op_sel_hi:[1,0,1]
	v_pk_fma_f32 v[0:1], v[40:41], v[54:55], v[0:1] op_sel_hi:[1,0,1]
	s_and_not1_b32 exec_lo, exec_lo, s4
	s_cbranch_execnz .LBB25_9
; %bb.10:
	s_or_b32 exec_lo, exec_lo, s4
.LBB25_11:
	s_delay_alu instid0(SALU_CYCLE_1)
	s_or_b32 exec_lo, exec_lo, s3
	s_cbranch_execz .LBB25_13
	s_branch .LBB25_18
.LBB25_12:
                                        ; implicit-def: $vgpr1
                                        ; implicit-def: $vgpr5
.LBB25_13:
	v_mov_b32_e32 v1, 0
	s_delay_alu instid0(VALU_DEP_1)
	v_dual_mov_b32 v0, v1 :: v_dual_mov_b32 v5, v1
	v_mov_b32_e32 v4, v1
	s_and_saveexec_b32 s3, s2
	s_cbranch_execz .LBB25_17
; %bb.14:
	v_mad_u32 v8, v11, 28, 27
	v_mov_b32_e32 v7, 0
	s_mov_b32 s2, 0
	s_delay_alu instid0(VALU_DEP_1)
	v_dual_mov_b32 v0, v7 :: v_dual_mov_b32 v1, v7
	v_dual_mov_b32 v4, v7 :: v_dual_mov_b32 v5, v7
.LBB25_15:                              ; =>This Inner Loop Header: Depth=1
	global_load_b32 v9, v11, s[6:7] scale_offset
	v_subrev_nc_u32_e32 v6, 27, v8
	v_subrev_nc_u32_e32 v12, 19, v8
	;; [unrolled: 1-line block ×3, first 2 shown]
	v_dual_add_nc_u32 v25, -11, v8 :: v_dual_add_nc_u32 v29, -4, v8
	s_delay_alu instid0(VALU_DEP_4)
	v_lshl_add_u64 v[16:17], v[6:7], 2, s[8:9]
	v_dual_add_nc_u32 v13, -12, v8 :: v_dual_add_nc_u32 v14, -5, v8
	v_subrev_nc_u32_e32 v30, 17, v8
	v_dual_add_nc_u32 v34, -10, v8 :: v_dual_add_nc_u32 v35, -3, v8
	v_subrev_nc_u32_e32 v18, 20, v8
	v_dual_add_nc_u32 v22, -13, v8 :: v_dual_add_nc_u32 v26, -6, v8
	s_clause 0x4
	global_load_b32 v19, v12, s[8:9] scale_offset
	global_load_b32 v20, v13, s[8:9] scale_offset
	;; [unrolled: 1-line block ×5, first 2 shown]
	v_subrev_nc_u32_e32 v36, 23, v8
	v_dual_add_nc_u32 v37, -16, v8 :: v_dual_add_nc_u32 v38, -9, v8
	v_dual_add_nc_u32 v39, -2, v8 :: v_dual_add_nc_u32 v41, -15, v8
	v_subrev_nc_u32_e32 v40, 22, v8
	v_dual_add_nc_u32 v43, -8, v8 :: v_dual_add_nc_u32 v45, -1, v8
	v_subrev_nc_u32_e32 v47, 21, v8
	v_dual_add_nc_u32 v49, -14, v8 :: v_dual_add_nc_u32 v53, -7, v8
	s_wait_xcnt 0x5
	v_add_nc_u32_e32 v11, 4, v11
	s_delay_alu instid0(VALU_DEP_1) | instskip(SKIP_3) | instid1(VALU_DEP_1)
	v_cmp_ge_i32_e32 vcc_lo, v11, v10
	s_or_b32 s2, vcc_lo, s2
	s_wait_loadcnt 0x5
	v_subrev_nc_u32_e32 v6, s16, v9
	v_mul_lo_u32 v9, v6, 7
	s_clause 0x6
	global_load_b32 v25, v29, s[8:9] scale_offset
	global_load_b32 v27, v30, s[8:9] scale_offset
	;; [unrolled: 1-line block ×4, first 2 shown]
	global_load_b128 v[12:15], v[16:17], off
	global_load_b32 v32, v22, s[8:9] scale_offset
	global_load_b32 v33, v26, s[8:9] scale_offset
	;; [unrolled: 1-line block ×3, first 2 shown]
	s_clause 0x1
	global_load_b32 v29, v35, s[8:9] scale_offset
	global_load_b32 v16, v36, s[8:9] scale_offset
	s_wait_xcnt 0x4
	v_dual_add_nc_u32 v18, 1, v9 :: v_dual_add_nc_u32 v22, 2, v9
	global_load_b32 v26, v18, s[10:11] scale_offset
	s_clause 0x1
	global_load_b32 v17, v37, s[8:9] scale_offset
	global_load_b32 v34, v38, s[8:9] scale_offset
	s_wait_xcnt 0x2
	v_add_nc_u32_e32 v18, 3, v9
	global_load_b32 v36, v22, s[10:11] scale_offset
	s_clause 0x1
	global_load_b32 v35, v39, s[8:9] scale_offset
	global_load_b32 v38, v40, s[8:9] scale_offset
	s_wait_xcnt 0x2
	v_add_nc_u32_e32 v22, 4, v9
	global_load_b32 v40, v18, s[10:11] scale_offset
	s_clause 0x1
	global_load_b32 v39, v41, s[8:9] scale_offset
	global_load_b32 v42, v43, s[8:9] scale_offset
	global_load_b32 v44, v22, s[10:11] scale_offset
	s_clause 0x1
	global_load_b32 v43, v45, s[8:9] scale_offset
	global_load_b32 v46, v47, s[8:9] scale_offset
	v_dual_add_nc_u32 v18, 5, v9 :: v_dual_add_nc_u32 v9, 6, v9
	global_load_b32 v48, v18, s[10:11] scale_offset
	s_clause 0x2
	global_load_b32 v47, v49, s[8:9] scale_offset
	global_load_b32 v50, v53, s[8:9] scale_offset
	;; [unrolled: 1-line block ×4, first 2 shown]
	s_wait_xcnt 0x1
	v_add_nc_u32_e32 v8, 0x70, v8
	s_wait_loadcnt 0x16
	v_dual_mov_b32 v30, v12 :: v_dual_mov_b32 v18, v13
	v_mov_b32_e32 v22, v14
	s_wait_loadcnt 0x13
	v_pk_fma_f32 v[0:1], v[32:33], v[6:7], v[0:1] op_sel_hi:[1,0,1]
	s_delay_alu instid0(VALU_DEP_3) | instskip(SKIP_1) | instid1(VALU_DEP_1)
	v_pk_fma_f32 v[4:5], v[30:31], v[6:7], v[4:5] op_sel_hi:[1,0,1]
	s_wait_loadcnt 0x10
	v_pk_fma_f32 v[4:5], v[18:19], v[26:27], v[4:5] op_sel_hi:[1,0,1]
	s_delay_alu instid0(VALU_DEP_3) | instskip(SKIP_2) | instid1(VALU_DEP_3)
	v_pk_fma_f32 v[0:1], v[20:21], v[26:27], v[0:1] op_sel_hi:[1,0,1]
	v_mov_b32_e32 v26, v15
	s_wait_loadcnt 0xd
	v_pk_fma_f32 v[4:5], v[22:23], v[36:37], v[4:5] op_sel_hi:[1,0,1]
	s_delay_alu instid0(VALU_DEP_3) | instskip(SKIP_1) | instid1(VALU_DEP_2)
	v_pk_fma_f32 v[0:1], v[24:25], v[36:37], v[0:1] op_sel_hi:[1,0,1]
	s_wait_loadcnt 0xa
	v_pk_fma_f32 v[4:5], v[26:27], v[40:41], v[4:5] op_sel_hi:[1,0,1]
	s_delay_alu instid0(VALU_DEP_2) | instskip(SKIP_1) | instid1(VALU_DEP_2)
	v_pk_fma_f32 v[0:1], v[28:29], v[40:41], v[0:1] op_sel_hi:[1,0,1]
	s_wait_loadcnt 0x7
	v_pk_fma_f32 v[4:5], v[16:17], v[44:45], v[4:5] op_sel_hi:[1,0,1]
	s_delay_alu instid0(VALU_DEP_2) | instskip(SKIP_1) | instid1(VALU_DEP_2)
	;; [unrolled: 4-line block ×3, first 2 shown]
	v_pk_fma_f32 v[0:1], v[42:43], v[48:49], v[0:1] op_sel_hi:[1,0,1]
	s_wait_loadcnt 0x0
	v_pk_fma_f32 v[4:5], v[46:47], v[52:53], v[4:5] op_sel_hi:[1,0,1]
	s_delay_alu instid0(VALU_DEP_2)
	v_pk_fma_f32 v[0:1], v[50:51], v[52:53], v[0:1] op_sel_hi:[1,0,1]
	s_and_not1_b32 exec_lo, exec_lo, s2
	s_cbranch_execnz .LBB25_15
; %bb.16:
	s_or_b32 exec_lo, exec_lo, s2
.LBB25_17:
	s_delay_alu instid0(SALU_CYCLE_1)
	s_or_b32 exec_lo, exec_lo, s3
.LBB25_18:
	v_mbcnt_lo_u32_b32 v10, -1, 0
	s_mov_b32 s2, -1
	s_delay_alu instid0(VALU_DEP_1) | instskip(SKIP_1) | instid1(VALU_DEP_1)
	v_xor_b32_e32 v11, 1, v10
	v_xor_b32_e32 v6, 2, v10
	v_cmp_gt_i32_e32 vcc_lo, 32, v6
	v_cndmask_b32_e32 v6, v10, v6, vcc_lo
	s_delay_alu instid0(VALU_DEP_4) | instskip(NEXT) | instid1(VALU_DEP_2)
	v_cmp_gt_i32_e32 vcc_lo, 32, v11
	v_dual_cndmask_b32 v10, v10, v11 :: v_dual_lshlrev_b32 v9, 2, v6
	v_cmp_eq_u32_e32 vcc_lo, 3, v3
	ds_bpermute_b32 v6, v9, v4
	ds_bpermute_b32 v7, v9, v5
	;; [unrolled: 1-line block ×4, first 2 shown]
	v_lshlrev_b32_e32 v10, 2, v10
	s_wait_dscnt 0x2
	v_pk_add_f32 v[4:5], v[4:5], v[6:7]
	s_wait_dscnt 0x0
	v_pk_add_f32 v[0:1], v[0:1], v[8:9]
	ds_bpermute_b32 v8, v10, v4
	ds_bpermute_b32 v9, v10, v5
	;; [unrolled: 1-line block ×4, first 2 shown]
	s_and_b32 exec_lo, exec_lo, vcc_lo
	s_cbranch_execz .LBB25_23
; %bb.19:
	s_load_b64 s[0:1], s[0:1], 0x38
	s_wait_dscnt 0x2
	v_pk_add_f32 v[4:5], v[4:5], v[8:9]
	s_wait_dscnt 0x0
	v_pk_add_f32 v[0:1], v[0:1], v[6:7]
	v_lshlrev_b32_e32 v2, 2, v2
	s_cmp_eq_f32 s12, 0
	s_cbranch_scc0 .LBB25_21
; %bb.20:
	s_delay_alu instid0(VALU_DEP_1)
	v_ashrrev_i32_e32 v3, 31, v2
	v_pk_mul_f32 v[6:7], s[14:15], v[4:5] op_sel_hi:[0,1]
	v_pk_mul_f32 v[8:9], s[14:15], v[0:1] op_sel_hi:[0,1]
	s_mov_b32 s2, 0
	s_wait_kmcnt 0x0
	v_lshl_add_u64 v[10:11], v[2:3], 2, s[0:1]
	global_store_b128 v[10:11], v[6:9], off
.LBB25_21:
	s_and_not1_b32 vcc_lo, exec_lo, s2
	s_cbranch_vccnz .LBB25_23
; %bb.22:
	v_ashrrev_i32_e32 v3, 31, v2
	s_wait_kmcnt 0x0
	s_delay_alu instid0(VALU_DEP_1)
	v_lshl_add_u64 v[10:11], v[2:3], 2, s[0:1]
	v_pk_mul_f32 v[2:3], s[14:15], v[4:5] op_sel_hi:[0,1]
	v_pk_mul_f32 v[4:5], s[14:15], v[0:1] op_sel_hi:[0,1]
	global_load_b128 v[6:9], v[10:11], off
	s_wait_loadcnt 0x0
	v_pk_fma_f32 v[0:1], s[12:13], v[6:7], v[2:3] op_sel_hi:[0,1,1]
	v_pk_fma_f32 v[2:3], s[12:13], v[8:9], v[4:5] op_sel_hi:[0,1,1]
	global_store_b128 v[10:11], v[0:3], off
.LBB25_23:
	s_endpgm
	.section	.rodata,"a",@progbits
	.p2align	6, 0x0
	.amdhsa_kernel _ZN9rocsparseL19gebsrmvn_4xn_kernelILj128ELj7ELj4EfEEvi20rocsparse_direction_NS_24const_host_device_scalarIT2_EEPKiS6_PKS3_S8_S4_PS3_21rocsparse_index_base_b
		.amdhsa_group_segment_fixed_size 0
		.amdhsa_private_segment_fixed_size 0
		.amdhsa_kernarg_size 72
		.amdhsa_user_sgpr_count 2
		.amdhsa_user_sgpr_dispatch_ptr 0
		.amdhsa_user_sgpr_queue_ptr 0
		.amdhsa_user_sgpr_kernarg_segment_ptr 1
		.amdhsa_user_sgpr_dispatch_id 0
		.amdhsa_user_sgpr_kernarg_preload_length 0
		.amdhsa_user_sgpr_kernarg_preload_offset 0
		.amdhsa_user_sgpr_private_segment_size 0
		.amdhsa_wavefront_size32 1
		.amdhsa_uses_dynamic_stack 0
		.amdhsa_enable_private_segment 0
		.amdhsa_system_sgpr_workgroup_id_x 1
		.amdhsa_system_sgpr_workgroup_id_y 0
		.amdhsa_system_sgpr_workgroup_id_z 0
		.amdhsa_system_sgpr_workgroup_info 0
		.amdhsa_system_vgpr_workitem_id 0
		.amdhsa_next_free_vgpr 56
		.amdhsa_next_free_sgpr 18
		.amdhsa_named_barrier_count 0
		.amdhsa_reserve_vcc 1
		.amdhsa_float_round_mode_32 0
		.amdhsa_float_round_mode_16_64 0
		.amdhsa_float_denorm_mode_32 3
		.amdhsa_float_denorm_mode_16_64 3
		.amdhsa_fp16_overflow 0
		.amdhsa_memory_ordered 1
		.amdhsa_forward_progress 1
		.amdhsa_inst_pref_size 17
		.amdhsa_round_robin_scheduling 0
		.amdhsa_exception_fp_ieee_invalid_op 0
		.amdhsa_exception_fp_denorm_src 0
		.amdhsa_exception_fp_ieee_div_zero 0
		.amdhsa_exception_fp_ieee_overflow 0
		.amdhsa_exception_fp_ieee_underflow 0
		.amdhsa_exception_fp_ieee_inexact 0
		.amdhsa_exception_int_div_zero 0
	.end_amdhsa_kernel
	.section	.text._ZN9rocsparseL19gebsrmvn_4xn_kernelILj128ELj7ELj4EfEEvi20rocsparse_direction_NS_24const_host_device_scalarIT2_EEPKiS6_PKS3_S8_S4_PS3_21rocsparse_index_base_b,"axG",@progbits,_ZN9rocsparseL19gebsrmvn_4xn_kernelILj128ELj7ELj4EfEEvi20rocsparse_direction_NS_24const_host_device_scalarIT2_EEPKiS6_PKS3_S8_S4_PS3_21rocsparse_index_base_b,comdat
.Lfunc_end25:
	.size	_ZN9rocsparseL19gebsrmvn_4xn_kernelILj128ELj7ELj4EfEEvi20rocsparse_direction_NS_24const_host_device_scalarIT2_EEPKiS6_PKS3_S8_S4_PS3_21rocsparse_index_base_b, .Lfunc_end25-_ZN9rocsparseL19gebsrmvn_4xn_kernelILj128ELj7ELj4EfEEvi20rocsparse_direction_NS_24const_host_device_scalarIT2_EEPKiS6_PKS3_S8_S4_PS3_21rocsparse_index_base_b
                                        ; -- End function
	.set _ZN9rocsparseL19gebsrmvn_4xn_kernelILj128ELj7ELj4EfEEvi20rocsparse_direction_NS_24const_host_device_scalarIT2_EEPKiS6_PKS3_S8_S4_PS3_21rocsparse_index_base_b.num_vgpr, 56
	.set _ZN9rocsparseL19gebsrmvn_4xn_kernelILj128ELj7ELj4EfEEvi20rocsparse_direction_NS_24const_host_device_scalarIT2_EEPKiS6_PKS3_S8_S4_PS3_21rocsparse_index_base_b.num_agpr, 0
	.set _ZN9rocsparseL19gebsrmvn_4xn_kernelILj128ELj7ELj4EfEEvi20rocsparse_direction_NS_24const_host_device_scalarIT2_EEPKiS6_PKS3_S8_S4_PS3_21rocsparse_index_base_b.numbered_sgpr, 18
	.set _ZN9rocsparseL19gebsrmvn_4xn_kernelILj128ELj7ELj4EfEEvi20rocsparse_direction_NS_24const_host_device_scalarIT2_EEPKiS6_PKS3_S8_S4_PS3_21rocsparse_index_base_b.num_named_barrier, 0
	.set _ZN9rocsparseL19gebsrmvn_4xn_kernelILj128ELj7ELj4EfEEvi20rocsparse_direction_NS_24const_host_device_scalarIT2_EEPKiS6_PKS3_S8_S4_PS3_21rocsparse_index_base_b.private_seg_size, 0
	.set _ZN9rocsparseL19gebsrmvn_4xn_kernelILj128ELj7ELj4EfEEvi20rocsparse_direction_NS_24const_host_device_scalarIT2_EEPKiS6_PKS3_S8_S4_PS3_21rocsparse_index_base_b.uses_vcc, 1
	.set _ZN9rocsparseL19gebsrmvn_4xn_kernelILj128ELj7ELj4EfEEvi20rocsparse_direction_NS_24const_host_device_scalarIT2_EEPKiS6_PKS3_S8_S4_PS3_21rocsparse_index_base_b.uses_flat_scratch, 0
	.set _ZN9rocsparseL19gebsrmvn_4xn_kernelILj128ELj7ELj4EfEEvi20rocsparse_direction_NS_24const_host_device_scalarIT2_EEPKiS6_PKS3_S8_S4_PS3_21rocsparse_index_base_b.has_dyn_sized_stack, 0
	.set _ZN9rocsparseL19gebsrmvn_4xn_kernelILj128ELj7ELj4EfEEvi20rocsparse_direction_NS_24const_host_device_scalarIT2_EEPKiS6_PKS3_S8_S4_PS3_21rocsparse_index_base_b.has_recursion, 0
	.set _ZN9rocsparseL19gebsrmvn_4xn_kernelILj128ELj7ELj4EfEEvi20rocsparse_direction_NS_24const_host_device_scalarIT2_EEPKiS6_PKS3_S8_S4_PS3_21rocsparse_index_base_b.has_indirect_call, 0
	.section	.AMDGPU.csdata,"",@progbits
; Kernel info:
; codeLenInByte = 2172
; TotalNumSgprs: 20
; NumVgprs: 56
; ScratchSize: 0
; MemoryBound: 0
; FloatMode: 240
; IeeeMode: 1
; LDSByteSize: 0 bytes/workgroup (compile time only)
; SGPRBlocks: 0
; VGPRBlocks: 3
; NumSGPRsForWavesPerEU: 20
; NumVGPRsForWavesPerEU: 56
; NamedBarCnt: 0
; Occupancy: 16
; WaveLimiterHint : 1
; COMPUTE_PGM_RSRC2:SCRATCH_EN: 0
; COMPUTE_PGM_RSRC2:USER_SGPR: 2
; COMPUTE_PGM_RSRC2:TRAP_HANDLER: 0
; COMPUTE_PGM_RSRC2:TGID_X_EN: 1
; COMPUTE_PGM_RSRC2:TGID_Y_EN: 0
; COMPUTE_PGM_RSRC2:TGID_Z_EN: 0
; COMPUTE_PGM_RSRC2:TIDIG_COMP_CNT: 0
	.section	.text._ZN9rocsparseL19gebsrmvn_4xn_kernelILj128ELj7ELj8EfEEvi20rocsparse_direction_NS_24const_host_device_scalarIT2_EEPKiS6_PKS3_S8_S4_PS3_21rocsparse_index_base_b,"axG",@progbits,_ZN9rocsparseL19gebsrmvn_4xn_kernelILj128ELj7ELj8EfEEvi20rocsparse_direction_NS_24const_host_device_scalarIT2_EEPKiS6_PKS3_S8_S4_PS3_21rocsparse_index_base_b,comdat
	.globl	_ZN9rocsparseL19gebsrmvn_4xn_kernelILj128ELj7ELj8EfEEvi20rocsparse_direction_NS_24const_host_device_scalarIT2_EEPKiS6_PKS3_S8_S4_PS3_21rocsparse_index_base_b ; -- Begin function _ZN9rocsparseL19gebsrmvn_4xn_kernelILj128ELj7ELj8EfEEvi20rocsparse_direction_NS_24const_host_device_scalarIT2_EEPKiS6_PKS3_S8_S4_PS3_21rocsparse_index_base_b
	.p2align	8
	.type	_ZN9rocsparseL19gebsrmvn_4xn_kernelILj128ELj7ELj8EfEEvi20rocsparse_direction_NS_24const_host_device_scalarIT2_EEPKiS6_PKS3_S8_S4_PS3_21rocsparse_index_base_b,@function
_ZN9rocsparseL19gebsrmvn_4xn_kernelILj128ELj7ELj8EfEEvi20rocsparse_direction_NS_24const_host_device_scalarIT2_EEPKiS6_PKS3_S8_S4_PS3_21rocsparse_index_base_b: ; @_ZN9rocsparseL19gebsrmvn_4xn_kernelILj128ELj7ELj8EfEEvi20rocsparse_direction_NS_24const_host_device_scalarIT2_EEPKiS6_PKS3_S8_S4_PS3_21rocsparse_index_base_b
; %bb.0:
	s_clause 0x2
	s_load_b64 s[16:17], s[0:1], 0x40
	s_load_b64 s[14:15], s[0:1], 0x8
	;; [unrolled: 1-line block ×3, first 2 shown]
	s_wait_kmcnt 0x0
	s_bitcmp1_b32 s17, 0
	s_cselect_b32 s2, -1, 0
	s_delay_alu instid0(SALU_CYCLE_1)
	s_and_b32 vcc_lo, exec_lo, s2
	s_xor_b32 s2, s2, -1
	s_cbranch_vccnz .LBB26_2
; %bb.1:
	s_load_b32 s14, s[14:15], 0x0
.LBB26_2:
	s_and_not1_b32 vcc_lo, exec_lo, s2
	s_cbranch_vccnz .LBB26_4
; %bb.3:
	s_load_b32 s12, s[12:13], 0x0
.LBB26_4:
	s_wait_kmcnt 0x0
	s_cmp_eq_f32 s14, 0
	s_cselect_b32 s2, -1, 0
	s_cmp_eq_f32 s12, 1.0
	s_cselect_b32 s3, -1, 0
	s_delay_alu instid0(SALU_CYCLE_1) | instskip(NEXT) | instid1(SALU_CYCLE_1)
	s_and_b32 s2, s2, s3
	s_and_b32 vcc_lo, exec_lo, s2
	s_cbranch_vccnz .LBB26_23
; %bb.5:
	s_load_b64 s[2:3], s[0:1], 0x0
	s_bfe_u32 s4, ttmp6, 0x4000c
	s_and_b32 s5, ttmp6, 15
	s_add_co_i32 s4, s4, 1
	s_getreg_b32 s6, hwreg(HW_REG_IB_STS2, 6, 4)
	s_mul_i32 s4, ttmp9, s4
	v_lshrrev_b32_e32 v1, 3, v0
	s_add_co_i32 s5, s5, s4
	s_cmp_eq_u32 s6, 0
	s_cselect_b32 s4, ttmp9, s5
	s_delay_alu instid0(VALU_DEP_1) | instid1(SALU_CYCLE_1)
	v_lshl_or_b32 v2, s4, 4, v1
	s_wait_kmcnt 0x0
	s_delay_alu instid0(VALU_DEP_1)
	v_cmp_gt_i32_e32 vcc_lo, s2, v2
	s_and_saveexec_b32 s2, vcc_lo
	s_cbranch_execz .LBB26_23
; %bb.6:
	s_load_b256 s[4:11], s[0:1], 0x10
	v_ashrrev_i32_e32 v3, 31, v2
	s_cmp_lg_u32 s3, 0
	s_wait_kmcnt 0x0
	s_delay_alu instid0(VALU_DEP_1)
	v_lshl_add_u64 v[4:5], v[2:3], 2, s[4:5]
	v_and_b32_e32 v3, 7, v0
	global_load_b64 v[4:5], v[4:5], off
	s_wait_loadcnt 0x0
	v_subrev_nc_u32_e32 v0, s16, v4
	v_subrev_nc_u32_e32 v10, s16, v5
	s_delay_alu instid0(VALU_DEP_2) | instskip(NEXT) | instid1(VALU_DEP_1)
	v_add_nc_u32_e32 v11, v0, v3
	v_cmp_lt_i32_e64 s2, v11, v10
	s_cbranch_scc0 .LBB26_12
; %bb.7:
	v_mov_b32_e32 v1, 0
	s_delay_alu instid0(VALU_DEP_1)
	v_dual_mov_b32 v0, v1 :: v_dual_mov_b32 v5, v1
	v_mov_b32_e32 v4, v1
	s_and_saveexec_b32 s3, s2
	s_cbranch_execz .LBB26_11
; %bb.8:
	v_mad_u32 v8, v11, 28, 24
	v_dual_mov_b32 v7, 0 :: v_dual_mov_b32 v12, v11
	s_mov_b32 s4, 0
	s_delay_alu instid0(VALU_DEP_1)
	v_dual_mov_b32 v0, v7 :: v_dual_mov_b32 v1, v7
	v_dual_mov_b32 v4, v7 :: v_dual_mov_b32 v5, v7
.LBB26_9:                               ; =>This Inner Loop Header: Depth=1
	global_load_b32 v13, v12, s[6:7] scale_offset
	v_subrev_nc_u32_e32 v6, 24, v8
	s_wait_xcnt 0x0
	v_dual_mov_b32 v9, v7 :: v_dual_add_nc_u32 v12, 8, v12
	s_delay_alu instid0(VALU_DEP_2) | instskip(SKIP_1) | instid1(VALU_DEP_3)
	v_lshl_add_u64 v[22:23], v[6:7], 2, s[8:9]
	v_subrev_nc_u32_e32 v6, 20, v8
	v_cmp_ge_i32_e32 vcc_lo, v12, v10
	s_delay_alu instid0(VALU_DEP_2)
	v_lshl_add_u64 v[24:25], v[6:7], 2, s[8:9]
	v_add_nc_u32_e32 v6, -16, v8
	s_clause 0x1
	global_load_b128 v[14:17], v[22:23], off
	global_load_b128 v[18:21], v[24:25], off
	v_lshl_add_u64 v[50:51], v[8:9], 2, s[8:9]
	s_wait_xcnt 0x1
	v_lshl_add_u64 v[22:23], v[6:7], 2, s[8:9]
	s_or_b32 s4, vcc_lo, s4
	global_load_b128 v[22:25], v[22:23], off
	s_wait_loadcnt 0x3
	v_subrev_nc_u32_e32 v13, s16, v13
	s_delay_alu instid0(VALU_DEP_1) | instskip(NEXT) | instid1(VALU_DEP_1)
	v_mul_lo_u32 v13, v13, 7
	v_dual_add_nc_u32 v6, -12, v8 :: v_dual_add_nc_u32 v28, 1, v13
	global_load_b32 v42, v13, s[10:11] scale_offset
	v_add_nc_u32_e32 v30, 2, v13
	v_lshl_add_u64 v[26:27], v[6:7], 2, s[8:9]
	v_add_nc_u32_e32 v6, -8, v8
	global_load_b32 v44, v28, s[10:11] scale_offset
	v_add_nc_u32_e32 v36, 3, v13
	global_load_b32 v46, v30, s[10:11] scale_offset
	global_load_b128 v[26:29], v[26:27], off
	v_lshl_add_u64 v[34:35], v[6:7], 2, s[8:9]
	v_dual_add_nc_u32 v6, -4, v8 :: v_dual_add_nc_u32 v37, 4, v13
	v_add_nc_u32_e32 v43, 5, v13
	global_load_b32 v48, v36, s[10:11] scale_offset
	global_load_b128 v[30:33], v[34:35], off
	v_add_nc_u32_e32 v9, 6, v13
	s_wait_xcnt 0x0
	v_lshl_add_u64 v[34:35], v[6:7], 2, s[8:9]
	global_load_b32 v6, v37, s[10:11] scale_offset
	v_add_nc_u32_e32 v8, 0xe0, v8
	global_load_b128 v[34:37], v[34:35], off
	global_load_b32 v52, v43, s[10:11] scale_offset
	global_load_b128 v[38:41], v[50:51], off
	global_load_b32 v54, v9, s[10:11] scale_offset
	s_wait_loadcnt 0xa
	v_pk_fma_f32 v[4:5], v[14:15], v[42:43], v[4:5] op_sel_hi:[1,0,1]
	v_pk_fma_f32 v[0:1], v[16:17], v[42:43], v[0:1] op_sel_hi:[1,0,1]
	s_wait_loadcnt 0x9
	s_delay_alu instid0(VALU_DEP_2) | instskip(NEXT) | instid1(VALU_DEP_2)
	v_pk_fma_f32 v[4:5], v[18:19], v[44:45], v[4:5] op_sel_hi:[1,0,1]
	v_pk_fma_f32 v[0:1], v[20:21], v[44:45], v[0:1] op_sel_hi:[1,0,1]
	s_wait_loadcnt 0x8
	s_delay_alu instid0(VALU_DEP_2) | instskip(NEXT) | instid1(VALU_DEP_2)
	;; [unrolled: 4-line block ×6, first 2 shown]
	v_pk_fma_f32 v[4:5], v[38:39], v[54:55], v[4:5] op_sel_hi:[1,0,1]
	v_pk_fma_f32 v[0:1], v[40:41], v[54:55], v[0:1] op_sel_hi:[1,0,1]
	s_and_not1_b32 exec_lo, exec_lo, s4
	s_cbranch_execnz .LBB26_9
; %bb.10:
	s_or_b32 exec_lo, exec_lo, s4
.LBB26_11:
	s_delay_alu instid0(SALU_CYCLE_1)
	s_or_b32 exec_lo, exec_lo, s3
	s_cbranch_execz .LBB26_13
	s_branch .LBB26_18
.LBB26_12:
                                        ; implicit-def: $vgpr1
                                        ; implicit-def: $vgpr5
.LBB26_13:
	v_mov_b32_e32 v1, 0
	s_delay_alu instid0(VALU_DEP_1)
	v_dual_mov_b32 v0, v1 :: v_dual_mov_b32 v5, v1
	v_mov_b32_e32 v4, v1
	s_and_saveexec_b32 s3, s2
	s_cbranch_execz .LBB26_17
; %bb.14:
	v_mad_u32 v8, v11, 28, 27
	v_mov_b32_e32 v7, 0
	s_mov_b32 s2, 0
	s_delay_alu instid0(VALU_DEP_1)
	v_dual_mov_b32 v0, v7 :: v_dual_mov_b32 v1, v7
	v_dual_mov_b32 v4, v7 :: v_dual_mov_b32 v5, v7
.LBB26_15:                              ; =>This Inner Loop Header: Depth=1
	global_load_b32 v9, v11, s[6:7] scale_offset
	v_subrev_nc_u32_e32 v6, 27, v8
	v_subrev_nc_u32_e32 v12, 19, v8
	;; [unrolled: 1-line block ×3, first 2 shown]
	v_dual_add_nc_u32 v25, -11, v8 :: v_dual_add_nc_u32 v29, -4, v8
	s_delay_alu instid0(VALU_DEP_4)
	v_lshl_add_u64 v[16:17], v[6:7], 2, s[8:9]
	v_dual_add_nc_u32 v13, -12, v8 :: v_dual_add_nc_u32 v14, -5, v8
	v_subrev_nc_u32_e32 v30, 17, v8
	v_dual_add_nc_u32 v34, -10, v8 :: v_dual_add_nc_u32 v35, -3, v8
	v_subrev_nc_u32_e32 v18, 20, v8
	v_dual_add_nc_u32 v22, -13, v8 :: v_dual_add_nc_u32 v26, -6, v8
	s_clause 0x4
	global_load_b32 v19, v12, s[8:9] scale_offset
	global_load_b32 v20, v13, s[8:9] scale_offset
	;; [unrolled: 1-line block ×5, first 2 shown]
	v_subrev_nc_u32_e32 v36, 23, v8
	v_dual_add_nc_u32 v37, -16, v8 :: v_dual_add_nc_u32 v38, -9, v8
	v_dual_add_nc_u32 v39, -2, v8 :: v_dual_add_nc_u32 v41, -15, v8
	v_subrev_nc_u32_e32 v40, 22, v8
	v_dual_add_nc_u32 v43, -8, v8 :: v_dual_add_nc_u32 v45, -1, v8
	v_subrev_nc_u32_e32 v47, 21, v8
	v_dual_add_nc_u32 v49, -14, v8 :: v_dual_add_nc_u32 v53, -7, v8
	s_wait_xcnt 0x5
	v_add_nc_u32_e32 v11, 8, v11
	s_delay_alu instid0(VALU_DEP_1) | instskip(SKIP_3) | instid1(VALU_DEP_1)
	v_cmp_ge_i32_e32 vcc_lo, v11, v10
	s_or_b32 s2, vcc_lo, s2
	s_wait_loadcnt 0x5
	v_subrev_nc_u32_e32 v6, s16, v9
	v_mul_lo_u32 v9, v6, 7
	s_clause 0x6
	global_load_b32 v25, v29, s[8:9] scale_offset
	global_load_b32 v27, v30, s[8:9] scale_offset
	;; [unrolled: 1-line block ×4, first 2 shown]
	global_load_b128 v[12:15], v[16:17], off
	global_load_b32 v32, v22, s[8:9] scale_offset
	global_load_b32 v33, v26, s[8:9] scale_offset
	;; [unrolled: 1-line block ×3, first 2 shown]
	s_clause 0x1
	global_load_b32 v29, v35, s[8:9] scale_offset
	global_load_b32 v16, v36, s[8:9] scale_offset
	s_wait_xcnt 0x4
	v_dual_add_nc_u32 v18, 1, v9 :: v_dual_add_nc_u32 v22, 2, v9
	global_load_b32 v26, v18, s[10:11] scale_offset
	s_clause 0x1
	global_load_b32 v17, v37, s[8:9] scale_offset
	global_load_b32 v34, v38, s[8:9] scale_offset
	s_wait_xcnt 0x2
	v_add_nc_u32_e32 v18, 3, v9
	global_load_b32 v36, v22, s[10:11] scale_offset
	s_clause 0x1
	global_load_b32 v35, v39, s[8:9] scale_offset
	global_load_b32 v38, v40, s[8:9] scale_offset
	s_wait_xcnt 0x2
	v_add_nc_u32_e32 v22, 4, v9
	global_load_b32 v40, v18, s[10:11] scale_offset
	s_clause 0x1
	global_load_b32 v39, v41, s[8:9] scale_offset
	global_load_b32 v42, v43, s[8:9] scale_offset
	;; [unrolled: 1-line block ×3, first 2 shown]
	s_clause 0x1
	global_load_b32 v43, v45, s[8:9] scale_offset
	global_load_b32 v46, v47, s[8:9] scale_offset
	v_dual_add_nc_u32 v18, 5, v9 :: v_dual_add_nc_u32 v9, 6, v9
	global_load_b32 v48, v18, s[10:11] scale_offset
	s_clause 0x2
	global_load_b32 v47, v49, s[8:9] scale_offset
	global_load_b32 v50, v53, s[8:9] scale_offset
	;; [unrolled: 1-line block ×4, first 2 shown]
	s_wait_xcnt 0x1
	v_add_nc_u32_e32 v8, 0xe0, v8
	s_wait_loadcnt 0x16
	v_dual_mov_b32 v30, v12 :: v_dual_mov_b32 v18, v13
	v_mov_b32_e32 v22, v14
	s_wait_loadcnt 0x13
	v_pk_fma_f32 v[0:1], v[32:33], v[6:7], v[0:1] op_sel_hi:[1,0,1]
	s_delay_alu instid0(VALU_DEP_3) | instskip(SKIP_1) | instid1(VALU_DEP_1)
	v_pk_fma_f32 v[4:5], v[30:31], v[6:7], v[4:5] op_sel_hi:[1,0,1]
	s_wait_loadcnt 0x10
	v_pk_fma_f32 v[4:5], v[18:19], v[26:27], v[4:5] op_sel_hi:[1,0,1]
	s_delay_alu instid0(VALU_DEP_3) | instskip(SKIP_2) | instid1(VALU_DEP_3)
	v_pk_fma_f32 v[0:1], v[20:21], v[26:27], v[0:1] op_sel_hi:[1,0,1]
	v_mov_b32_e32 v26, v15
	s_wait_loadcnt 0xd
	v_pk_fma_f32 v[4:5], v[22:23], v[36:37], v[4:5] op_sel_hi:[1,0,1]
	s_delay_alu instid0(VALU_DEP_3) | instskip(SKIP_1) | instid1(VALU_DEP_2)
	v_pk_fma_f32 v[0:1], v[24:25], v[36:37], v[0:1] op_sel_hi:[1,0,1]
	s_wait_loadcnt 0xa
	v_pk_fma_f32 v[4:5], v[26:27], v[40:41], v[4:5] op_sel_hi:[1,0,1]
	s_delay_alu instid0(VALU_DEP_2) | instskip(SKIP_1) | instid1(VALU_DEP_2)
	v_pk_fma_f32 v[0:1], v[28:29], v[40:41], v[0:1] op_sel_hi:[1,0,1]
	s_wait_loadcnt 0x7
	v_pk_fma_f32 v[4:5], v[16:17], v[44:45], v[4:5] op_sel_hi:[1,0,1]
	s_delay_alu instid0(VALU_DEP_2) | instskip(SKIP_1) | instid1(VALU_DEP_2)
	;; [unrolled: 4-line block ×3, first 2 shown]
	v_pk_fma_f32 v[0:1], v[42:43], v[48:49], v[0:1] op_sel_hi:[1,0,1]
	s_wait_loadcnt 0x0
	v_pk_fma_f32 v[4:5], v[46:47], v[52:53], v[4:5] op_sel_hi:[1,0,1]
	s_delay_alu instid0(VALU_DEP_2)
	v_pk_fma_f32 v[0:1], v[50:51], v[52:53], v[0:1] op_sel_hi:[1,0,1]
	s_and_not1_b32 exec_lo, exec_lo, s2
	s_cbranch_execnz .LBB26_15
; %bb.16:
	s_or_b32 exec_lo, exec_lo, s2
.LBB26_17:
	s_delay_alu instid0(SALU_CYCLE_1)
	s_or_b32 exec_lo, exec_lo, s3
.LBB26_18:
	v_mbcnt_lo_u32_b32 v10, -1, 0
	s_mov_b32 s2, -1
	s_delay_alu instid0(VALU_DEP_1) | instskip(SKIP_1) | instid1(VALU_DEP_1)
	v_xor_b32_e32 v11, 2, v10
	v_xor_b32_e32 v6, 4, v10
	v_cmp_gt_i32_e32 vcc_lo, 32, v6
	v_cndmask_b32_e32 v6, v10, v6, vcc_lo
	s_delay_alu instid0(VALU_DEP_4) | instskip(SKIP_1) | instid1(VALU_DEP_1)
	v_cmp_gt_i32_e32 vcc_lo, 32, v11
	v_cndmask_b32_e32 v11, v10, v11, vcc_lo
	v_dual_lshlrev_b32 v11, 2, v11 :: v_dual_lshlrev_b32 v9, 2, v6
	ds_bpermute_b32 v6, v9, v4
	ds_bpermute_b32 v7, v9, v5
	;; [unrolled: 1-line block ×4, first 2 shown]
	s_wait_dscnt 0x2
	v_pk_add_f32 v[4:5], v[4:5], v[6:7]
	s_wait_dscnt 0x0
	v_pk_add_f32 v[6:7], v[0:1], v[8:9]
	ds_bpermute_b32 v0, v11, v4
	ds_bpermute_b32 v1, v11, v5
	;; [unrolled: 1-line block ×4, first 2 shown]
	v_xor_b32_e32 v11, 1, v10
	s_delay_alu instid0(VALU_DEP_1) | instskip(SKIP_2) | instid1(VALU_DEP_2)
	v_cmp_gt_i32_e32 vcc_lo, 32, v11
	v_cndmask_b32_e32 v10, v10, v11, vcc_lo
	v_cmp_eq_u32_e32 vcc_lo, 7, v3
	v_lshlrev_b32_e32 v10, 2, v10
	s_wait_dscnt 0x2
	v_pk_add_f32 v[0:1], v[4:5], v[0:1]
	s_wait_dscnt 0x0
	v_pk_add_f32 v[6:7], v[6:7], v[8:9]
	ds_bpermute_b32 v4, v10, v0
	ds_bpermute_b32 v5, v10, v1
	;; [unrolled: 1-line block ×4, first 2 shown]
	s_and_b32 exec_lo, exec_lo, vcc_lo
	s_cbranch_execz .LBB26_23
; %bb.19:
	s_load_b64 s[0:1], s[0:1], 0x38
	s_wait_dscnt 0x2
	v_pk_add_f32 v[4:5], v[0:1], v[4:5]
	s_wait_dscnt 0x0
	v_pk_add_f32 v[0:1], v[6:7], v[8:9]
	v_lshlrev_b32_e32 v2, 2, v2
	s_cmp_eq_f32 s12, 0
	s_cbranch_scc0 .LBB26_21
; %bb.20:
	s_delay_alu instid0(VALU_DEP_1)
	v_ashrrev_i32_e32 v3, 31, v2
	v_pk_mul_f32 v[6:7], s[14:15], v[4:5] op_sel_hi:[0,1]
	v_pk_mul_f32 v[8:9], s[14:15], v[0:1] op_sel_hi:[0,1]
	s_mov_b32 s2, 0
	s_wait_kmcnt 0x0
	v_lshl_add_u64 v[10:11], v[2:3], 2, s[0:1]
	global_store_b128 v[10:11], v[6:9], off
.LBB26_21:
	s_and_not1_b32 vcc_lo, exec_lo, s2
	s_cbranch_vccnz .LBB26_23
; %bb.22:
	v_ashrrev_i32_e32 v3, 31, v2
	s_wait_kmcnt 0x0
	s_delay_alu instid0(VALU_DEP_1)
	v_lshl_add_u64 v[10:11], v[2:3], 2, s[0:1]
	v_pk_mul_f32 v[2:3], s[14:15], v[4:5] op_sel_hi:[0,1]
	v_pk_mul_f32 v[4:5], s[14:15], v[0:1] op_sel_hi:[0,1]
	global_load_b128 v[6:9], v[10:11], off
	s_wait_loadcnt 0x0
	v_pk_fma_f32 v[0:1], s[12:13], v[6:7], v[2:3] op_sel_hi:[0,1,1]
	v_pk_fma_f32 v[2:3], s[12:13], v[8:9], v[4:5] op_sel_hi:[0,1,1]
	global_store_b128 v[10:11], v[0:3], off
.LBB26_23:
	s_endpgm
	.section	.rodata,"a",@progbits
	.p2align	6, 0x0
	.amdhsa_kernel _ZN9rocsparseL19gebsrmvn_4xn_kernelILj128ELj7ELj8EfEEvi20rocsparse_direction_NS_24const_host_device_scalarIT2_EEPKiS6_PKS3_S8_S4_PS3_21rocsparse_index_base_b
		.amdhsa_group_segment_fixed_size 0
		.amdhsa_private_segment_fixed_size 0
		.amdhsa_kernarg_size 72
		.amdhsa_user_sgpr_count 2
		.amdhsa_user_sgpr_dispatch_ptr 0
		.amdhsa_user_sgpr_queue_ptr 0
		.amdhsa_user_sgpr_kernarg_segment_ptr 1
		.amdhsa_user_sgpr_dispatch_id 0
		.amdhsa_user_sgpr_kernarg_preload_length 0
		.amdhsa_user_sgpr_kernarg_preload_offset 0
		.amdhsa_user_sgpr_private_segment_size 0
		.amdhsa_wavefront_size32 1
		.amdhsa_uses_dynamic_stack 0
		.amdhsa_enable_private_segment 0
		.amdhsa_system_sgpr_workgroup_id_x 1
		.amdhsa_system_sgpr_workgroup_id_y 0
		.amdhsa_system_sgpr_workgroup_id_z 0
		.amdhsa_system_sgpr_workgroup_info 0
		.amdhsa_system_vgpr_workitem_id 0
		.amdhsa_next_free_vgpr 56
		.amdhsa_next_free_sgpr 18
		.amdhsa_named_barrier_count 0
		.amdhsa_reserve_vcc 1
		.amdhsa_float_round_mode_32 0
		.amdhsa_float_round_mode_16_64 0
		.amdhsa_float_denorm_mode_32 3
		.amdhsa_float_denorm_mode_16_64 3
		.amdhsa_fp16_overflow 0
		.amdhsa_memory_ordered 1
		.amdhsa_forward_progress 1
		.amdhsa_inst_pref_size 18
		.amdhsa_round_robin_scheduling 0
		.amdhsa_exception_fp_ieee_invalid_op 0
		.amdhsa_exception_fp_denorm_src 0
		.amdhsa_exception_fp_ieee_div_zero 0
		.amdhsa_exception_fp_ieee_overflow 0
		.amdhsa_exception_fp_ieee_underflow 0
		.amdhsa_exception_fp_ieee_inexact 0
		.amdhsa_exception_int_div_zero 0
	.end_amdhsa_kernel
	.section	.text._ZN9rocsparseL19gebsrmvn_4xn_kernelILj128ELj7ELj8EfEEvi20rocsparse_direction_NS_24const_host_device_scalarIT2_EEPKiS6_PKS3_S8_S4_PS3_21rocsparse_index_base_b,"axG",@progbits,_ZN9rocsparseL19gebsrmvn_4xn_kernelILj128ELj7ELj8EfEEvi20rocsparse_direction_NS_24const_host_device_scalarIT2_EEPKiS6_PKS3_S8_S4_PS3_21rocsparse_index_base_b,comdat
.Lfunc_end26:
	.size	_ZN9rocsparseL19gebsrmvn_4xn_kernelILj128ELj7ELj8EfEEvi20rocsparse_direction_NS_24const_host_device_scalarIT2_EEPKiS6_PKS3_S8_S4_PS3_21rocsparse_index_base_b, .Lfunc_end26-_ZN9rocsparseL19gebsrmvn_4xn_kernelILj128ELj7ELj8EfEEvi20rocsparse_direction_NS_24const_host_device_scalarIT2_EEPKiS6_PKS3_S8_S4_PS3_21rocsparse_index_base_b
                                        ; -- End function
	.set _ZN9rocsparseL19gebsrmvn_4xn_kernelILj128ELj7ELj8EfEEvi20rocsparse_direction_NS_24const_host_device_scalarIT2_EEPKiS6_PKS3_S8_S4_PS3_21rocsparse_index_base_b.num_vgpr, 56
	.set _ZN9rocsparseL19gebsrmvn_4xn_kernelILj128ELj7ELj8EfEEvi20rocsparse_direction_NS_24const_host_device_scalarIT2_EEPKiS6_PKS3_S8_S4_PS3_21rocsparse_index_base_b.num_agpr, 0
	.set _ZN9rocsparseL19gebsrmvn_4xn_kernelILj128ELj7ELj8EfEEvi20rocsparse_direction_NS_24const_host_device_scalarIT2_EEPKiS6_PKS3_S8_S4_PS3_21rocsparse_index_base_b.numbered_sgpr, 18
	.set _ZN9rocsparseL19gebsrmvn_4xn_kernelILj128ELj7ELj8EfEEvi20rocsparse_direction_NS_24const_host_device_scalarIT2_EEPKiS6_PKS3_S8_S4_PS3_21rocsparse_index_base_b.num_named_barrier, 0
	.set _ZN9rocsparseL19gebsrmvn_4xn_kernelILj128ELj7ELj8EfEEvi20rocsparse_direction_NS_24const_host_device_scalarIT2_EEPKiS6_PKS3_S8_S4_PS3_21rocsparse_index_base_b.private_seg_size, 0
	.set _ZN9rocsparseL19gebsrmvn_4xn_kernelILj128ELj7ELj8EfEEvi20rocsparse_direction_NS_24const_host_device_scalarIT2_EEPKiS6_PKS3_S8_S4_PS3_21rocsparse_index_base_b.uses_vcc, 1
	.set _ZN9rocsparseL19gebsrmvn_4xn_kernelILj128ELj7ELj8EfEEvi20rocsparse_direction_NS_24const_host_device_scalarIT2_EEPKiS6_PKS3_S8_S4_PS3_21rocsparse_index_base_b.uses_flat_scratch, 0
	.set _ZN9rocsparseL19gebsrmvn_4xn_kernelILj128ELj7ELj8EfEEvi20rocsparse_direction_NS_24const_host_device_scalarIT2_EEPKiS6_PKS3_S8_S4_PS3_21rocsparse_index_base_b.has_dyn_sized_stack, 0
	.set _ZN9rocsparseL19gebsrmvn_4xn_kernelILj128ELj7ELj8EfEEvi20rocsparse_direction_NS_24const_host_device_scalarIT2_EEPKiS6_PKS3_S8_S4_PS3_21rocsparse_index_base_b.has_recursion, 0
	.set _ZN9rocsparseL19gebsrmvn_4xn_kernelILj128ELj7ELj8EfEEvi20rocsparse_direction_NS_24const_host_device_scalarIT2_EEPKiS6_PKS3_S8_S4_PS3_21rocsparse_index_base_b.has_indirect_call, 0
	.section	.AMDGPU.csdata,"",@progbits
; Kernel info:
; codeLenInByte = 2252
; TotalNumSgprs: 20
; NumVgprs: 56
; ScratchSize: 0
; MemoryBound: 0
; FloatMode: 240
; IeeeMode: 1
; LDSByteSize: 0 bytes/workgroup (compile time only)
; SGPRBlocks: 0
; VGPRBlocks: 3
; NumSGPRsForWavesPerEU: 20
; NumVGPRsForWavesPerEU: 56
; NamedBarCnt: 0
; Occupancy: 16
; WaveLimiterHint : 1
; COMPUTE_PGM_RSRC2:SCRATCH_EN: 0
; COMPUTE_PGM_RSRC2:USER_SGPR: 2
; COMPUTE_PGM_RSRC2:TRAP_HANDLER: 0
; COMPUTE_PGM_RSRC2:TGID_X_EN: 1
; COMPUTE_PGM_RSRC2:TGID_Y_EN: 0
; COMPUTE_PGM_RSRC2:TGID_Z_EN: 0
; COMPUTE_PGM_RSRC2:TIDIG_COMP_CNT: 0
	.section	.text._ZN9rocsparseL19gebsrmvn_4xn_kernelILj128ELj7ELj16EfEEvi20rocsparse_direction_NS_24const_host_device_scalarIT2_EEPKiS6_PKS3_S8_S4_PS3_21rocsparse_index_base_b,"axG",@progbits,_ZN9rocsparseL19gebsrmvn_4xn_kernelILj128ELj7ELj16EfEEvi20rocsparse_direction_NS_24const_host_device_scalarIT2_EEPKiS6_PKS3_S8_S4_PS3_21rocsparse_index_base_b,comdat
	.globl	_ZN9rocsparseL19gebsrmvn_4xn_kernelILj128ELj7ELj16EfEEvi20rocsparse_direction_NS_24const_host_device_scalarIT2_EEPKiS6_PKS3_S8_S4_PS3_21rocsparse_index_base_b ; -- Begin function _ZN9rocsparseL19gebsrmvn_4xn_kernelILj128ELj7ELj16EfEEvi20rocsparse_direction_NS_24const_host_device_scalarIT2_EEPKiS6_PKS3_S8_S4_PS3_21rocsparse_index_base_b
	.p2align	8
	.type	_ZN9rocsparseL19gebsrmvn_4xn_kernelILj128ELj7ELj16EfEEvi20rocsparse_direction_NS_24const_host_device_scalarIT2_EEPKiS6_PKS3_S8_S4_PS3_21rocsparse_index_base_b,@function
_ZN9rocsparseL19gebsrmvn_4xn_kernelILj128ELj7ELj16EfEEvi20rocsparse_direction_NS_24const_host_device_scalarIT2_EEPKiS6_PKS3_S8_S4_PS3_21rocsparse_index_base_b: ; @_ZN9rocsparseL19gebsrmvn_4xn_kernelILj128ELj7ELj16EfEEvi20rocsparse_direction_NS_24const_host_device_scalarIT2_EEPKiS6_PKS3_S8_S4_PS3_21rocsparse_index_base_b
; %bb.0:
	s_clause 0x2
	s_load_b64 s[16:17], s[0:1], 0x40
	s_load_b64 s[14:15], s[0:1], 0x8
	;; [unrolled: 1-line block ×3, first 2 shown]
	s_wait_kmcnt 0x0
	s_bitcmp1_b32 s17, 0
	s_cselect_b32 s2, -1, 0
	s_delay_alu instid0(SALU_CYCLE_1)
	s_and_b32 vcc_lo, exec_lo, s2
	s_xor_b32 s2, s2, -1
	s_cbranch_vccnz .LBB27_2
; %bb.1:
	s_load_b32 s14, s[14:15], 0x0
.LBB27_2:
	s_and_not1_b32 vcc_lo, exec_lo, s2
	s_cbranch_vccnz .LBB27_4
; %bb.3:
	s_load_b32 s12, s[12:13], 0x0
.LBB27_4:
	s_wait_kmcnt 0x0
	s_cmp_eq_f32 s14, 0
	s_cselect_b32 s2, -1, 0
	s_cmp_eq_f32 s12, 1.0
	s_cselect_b32 s3, -1, 0
	s_delay_alu instid0(SALU_CYCLE_1) | instskip(NEXT) | instid1(SALU_CYCLE_1)
	s_and_b32 s2, s2, s3
	s_and_b32 vcc_lo, exec_lo, s2
	s_cbranch_vccnz .LBB27_23
; %bb.5:
	s_load_b64 s[2:3], s[0:1], 0x0
	s_bfe_u32 s4, ttmp6, 0x4000c
	s_and_b32 s5, ttmp6, 15
	s_add_co_i32 s4, s4, 1
	s_getreg_b32 s6, hwreg(HW_REG_IB_STS2, 6, 4)
	s_mul_i32 s4, ttmp9, s4
	v_lshrrev_b32_e32 v1, 4, v0
	s_add_co_i32 s5, s5, s4
	s_cmp_eq_u32 s6, 0
	s_cselect_b32 s4, ttmp9, s5
	s_delay_alu instid0(VALU_DEP_1) | instid1(SALU_CYCLE_1)
	v_lshl_or_b32 v2, s4, 3, v1
	s_wait_kmcnt 0x0
	s_delay_alu instid0(VALU_DEP_1)
	v_cmp_gt_i32_e32 vcc_lo, s2, v2
	s_and_saveexec_b32 s2, vcc_lo
	s_cbranch_execz .LBB27_23
; %bb.6:
	s_load_b256 s[4:11], s[0:1], 0x10
	v_ashrrev_i32_e32 v3, 31, v2
	s_cmp_lg_u32 s3, 0
	s_wait_kmcnt 0x0
	s_delay_alu instid0(VALU_DEP_1)
	v_lshl_add_u64 v[4:5], v[2:3], 2, s[4:5]
	v_and_b32_e32 v3, 15, v0
	global_load_b64 v[4:5], v[4:5], off
	s_wait_loadcnt 0x0
	v_subrev_nc_u32_e32 v0, s16, v4
	v_subrev_nc_u32_e32 v10, s16, v5
	s_delay_alu instid0(VALU_DEP_2) | instskip(NEXT) | instid1(VALU_DEP_1)
	v_add_nc_u32_e32 v11, v0, v3
	v_cmp_lt_i32_e64 s2, v11, v10
	s_cbranch_scc0 .LBB27_12
; %bb.7:
	v_mov_b32_e32 v1, 0
	s_delay_alu instid0(VALU_DEP_1)
	v_dual_mov_b32 v0, v1 :: v_dual_mov_b32 v5, v1
	v_mov_b32_e32 v4, v1
	s_and_saveexec_b32 s3, s2
	s_cbranch_execz .LBB27_11
; %bb.8:
	v_mad_u32 v8, v11, 28, 24
	v_dual_mov_b32 v7, 0 :: v_dual_mov_b32 v12, v11
	s_mov_b32 s4, 0
	s_delay_alu instid0(VALU_DEP_1)
	v_dual_mov_b32 v0, v7 :: v_dual_mov_b32 v1, v7
	v_dual_mov_b32 v4, v7 :: v_dual_mov_b32 v5, v7
.LBB27_9:                               ; =>This Inner Loop Header: Depth=1
	global_load_b32 v13, v12, s[6:7] scale_offset
	v_subrev_nc_u32_e32 v6, 24, v8
	s_wait_xcnt 0x0
	v_dual_mov_b32 v9, v7 :: v_dual_add_nc_u32 v12, 16, v12
	s_delay_alu instid0(VALU_DEP_2) | instskip(SKIP_1) | instid1(VALU_DEP_3)
	v_lshl_add_u64 v[22:23], v[6:7], 2, s[8:9]
	v_subrev_nc_u32_e32 v6, 20, v8
	v_cmp_ge_i32_e32 vcc_lo, v12, v10
	s_delay_alu instid0(VALU_DEP_2)
	v_lshl_add_u64 v[24:25], v[6:7], 2, s[8:9]
	v_add_nc_u32_e32 v6, -16, v8
	s_clause 0x1
	global_load_b128 v[14:17], v[22:23], off
	global_load_b128 v[18:21], v[24:25], off
	v_lshl_add_u64 v[50:51], v[8:9], 2, s[8:9]
	s_wait_xcnt 0x1
	v_lshl_add_u64 v[22:23], v[6:7], 2, s[8:9]
	s_or_b32 s4, vcc_lo, s4
	global_load_b128 v[22:25], v[22:23], off
	s_wait_loadcnt 0x3
	v_subrev_nc_u32_e32 v13, s16, v13
	s_delay_alu instid0(VALU_DEP_1) | instskip(NEXT) | instid1(VALU_DEP_1)
	v_mul_lo_u32 v13, v13, 7
	v_dual_add_nc_u32 v6, -12, v8 :: v_dual_add_nc_u32 v28, 1, v13
	global_load_b32 v42, v13, s[10:11] scale_offset
	v_add_nc_u32_e32 v30, 2, v13
	v_lshl_add_u64 v[26:27], v[6:7], 2, s[8:9]
	v_add_nc_u32_e32 v6, -8, v8
	global_load_b32 v44, v28, s[10:11] scale_offset
	v_add_nc_u32_e32 v36, 3, v13
	global_load_b32 v46, v30, s[10:11] scale_offset
	global_load_b128 v[26:29], v[26:27], off
	v_lshl_add_u64 v[34:35], v[6:7], 2, s[8:9]
	v_dual_add_nc_u32 v6, -4, v8 :: v_dual_add_nc_u32 v37, 4, v13
	v_add_nc_u32_e32 v43, 5, v13
	global_load_b32 v48, v36, s[10:11] scale_offset
	global_load_b128 v[30:33], v[34:35], off
	v_add_nc_u32_e32 v9, 6, v13
	s_wait_xcnt 0x0
	v_lshl_add_u64 v[34:35], v[6:7], 2, s[8:9]
	global_load_b32 v6, v37, s[10:11] scale_offset
	v_add_nc_u32_e32 v8, 0x1c0, v8
	global_load_b128 v[34:37], v[34:35], off
	global_load_b32 v52, v43, s[10:11] scale_offset
	global_load_b128 v[38:41], v[50:51], off
	global_load_b32 v54, v9, s[10:11] scale_offset
	s_wait_loadcnt 0xa
	v_pk_fma_f32 v[4:5], v[14:15], v[42:43], v[4:5] op_sel_hi:[1,0,1]
	v_pk_fma_f32 v[0:1], v[16:17], v[42:43], v[0:1] op_sel_hi:[1,0,1]
	s_wait_loadcnt 0x9
	s_delay_alu instid0(VALU_DEP_2) | instskip(NEXT) | instid1(VALU_DEP_2)
	v_pk_fma_f32 v[4:5], v[18:19], v[44:45], v[4:5] op_sel_hi:[1,0,1]
	v_pk_fma_f32 v[0:1], v[20:21], v[44:45], v[0:1] op_sel_hi:[1,0,1]
	s_wait_loadcnt 0x8
	s_delay_alu instid0(VALU_DEP_2) | instskip(NEXT) | instid1(VALU_DEP_2)
	;; [unrolled: 4-line block ×6, first 2 shown]
	v_pk_fma_f32 v[4:5], v[38:39], v[54:55], v[4:5] op_sel_hi:[1,0,1]
	v_pk_fma_f32 v[0:1], v[40:41], v[54:55], v[0:1] op_sel_hi:[1,0,1]
	s_and_not1_b32 exec_lo, exec_lo, s4
	s_cbranch_execnz .LBB27_9
; %bb.10:
	s_or_b32 exec_lo, exec_lo, s4
.LBB27_11:
	s_delay_alu instid0(SALU_CYCLE_1)
	s_or_b32 exec_lo, exec_lo, s3
	s_cbranch_execz .LBB27_13
	s_branch .LBB27_18
.LBB27_12:
                                        ; implicit-def: $vgpr1
                                        ; implicit-def: $vgpr5
.LBB27_13:
	v_mov_b32_e32 v1, 0
	s_delay_alu instid0(VALU_DEP_1)
	v_dual_mov_b32 v0, v1 :: v_dual_mov_b32 v5, v1
	v_mov_b32_e32 v4, v1
	s_and_saveexec_b32 s3, s2
	s_cbranch_execz .LBB27_17
; %bb.14:
	v_mad_u32 v8, v11, 28, 27
	v_mov_b32_e32 v7, 0
	s_mov_b32 s2, 0
	s_delay_alu instid0(VALU_DEP_1)
	v_dual_mov_b32 v0, v7 :: v_dual_mov_b32 v1, v7
	v_dual_mov_b32 v4, v7 :: v_dual_mov_b32 v5, v7
.LBB27_15:                              ; =>This Inner Loop Header: Depth=1
	global_load_b32 v9, v11, s[6:7] scale_offset
	v_subrev_nc_u32_e32 v6, 27, v8
	v_subrev_nc_u32_e32 v12, 19, v8
	;; [unrolled: 1-line block ×3, first 2 shown]
	v_dual_add_nc_u32 v25, -11, v8 :: v_dual_add_nc_u32 v29, -4, v8
	s_delay_alu instid0(VALU_DEP_4)
	v_lshl_add_u64 v[16:17], v[6:7], 2, s[8:9]
	v_dual_add_nc_u32 v13, -12, v8 :: v_dual_add_nc_u32 v14, -5, v8
	v_subrev_nc_u32_e32 v30, 17, v8
	v_dual_add_nc_u32 v34, -10, v8 :: v_dual_add_nc_u32 v35, -3, v8
	v_subrev_nc_u32_e32 v18, 20, v8
	v_dual_add_nc_u32 v22, -13, v8 :: v_dual_add_nc_u32 v26, -6, v8
	s_clause 0x4
	global_load_b32 v19, v12, s[8:9] scale_offset
	global_load_b32 v20, v13, s[8:9] scale_offset
	global_load_b32 v21, v14, s[8:9] scale_offset
	global_load_b32 v23, v15, s[8:9] scale_offset
	global_load_b32 v24, v25, s[8:9] scale_offset
	v_subrev_nc_u32_e32 v36, 23, v8
	v_dual_add_nc_u32 v37, -16, v8 :: v_dual_add_nc_u32 v38, -9, v8
	v_dual_add_nc_u32 v39, -2, v8 :: v_dual_add_nc_u32 v41, -15, v8
	v_subrev_nc_u32_e32 v40, 22, v8
	v_dual_add_nc_u32 v43, -8, v8 :: v_dual_add_nc_u32 v45, -1, v8
	v_subrev_nc_u32_e32 v47, 21, v8
	v_dual_add_nc_u32 v49, -14, v8 :: v_dual_add_nc_u32 v53, -7, v8
	s_wait_xcnt 0x5
	v_add_nc_u32_e32 v11, 16, v11
	s_delay_alu instid0(VALU_DEP_1) | instskip(SKIP_3) | instid1(VALU_DEP_1)
	v_cmp_ge_i32_e32 vcc_lo, v11, v10
	s_or_b32 s2, vcc_lo, s2
	s_wait_loadcnt 0x5
	v_subrev_nc_u32_e32 v6, s16, v9
	v_mul_lo_u32 v9, v6, 7
	s_clause 0x6
	global_load_b32 v25, v29, s[8:9] scale_offset
	global_load_b32 v27, v30, s[8:9] scale_offset
	;; [unrolled: 1-line block ×4, first 2 shown]
	global_load_b128 v[12:15], v[16:17], off
	global_load_b32 v32, v22, s[8:9] scale_offset
	global_load_b32 v33, v26, s[8:9] scale_offset
	;; [unrolled: 1-line block ×3, first 2 shown]
	s_clause 0x1
	global_load_b32 v29, v35, s[8:9] scale_offset
	global_load_b32 v16, v36, s[8:9] scale_offset
	s_wait_xcnt 0x4
	v_dual_add_nc_u32 v18, 1, v9 :: v_dual_add_nc_u32 v22, 2, v9
	global_load_b32 v26, v18, s[10:11] scale_offset
	s_clause 0x1
	global_load_b32 v17, v37, s[8:9] scale_offset
	global_load_b32 v34, v38, s[8:9] scale_offset
	s_wait_xcnt 0x2
	v_add_nc_u32_e32 v18, 3, v9
	global_load_b32 v36, v22, s[10:11] scale_offset
	s_clause 0x1
	global_load_b32 v35, v39, s[8:9] scale_offset
	global_load_b32 v38, v40, s[8:9] scale_offset
	s_wait_xcnt 0x2
	v_add_nc_u32_e32 v22, 4, v9
	global_load_b32 v40, v18, s[10:11] scale_offset
	s_clause 0x1
	global_load_b32 v39, v41, s[8:9] scale_offset
	global_load_b32 v42, v43, s[8:9] scale_offset
	;; [unrolled: 1-line block ×3, first 2 shown]
	s_clause 0x1
	global_load_b32 v43, v45, s[8:9] scale_offset
	global_load_b32 v46, v47, s[8:9] scale_offset
	v_dual_add_nc_u32 v18, 5, v9 :: v_dual_add_nc_u32 v9, 6, v9
	global_load_b32 v48, v18, s[10:11] scale_offset
	s_clause 0x2
	global_load_b32 v47, v49, s[8:9] scale_offset
	global_load_b32 v50, v53, s[8:9] scale_offset
	;; [unrolled: 1-line block ×4, first 2 shown]
	s_wait_xcnt 0x1
	v_add_nc_u32_e32 v8, 0x1c0, v8
	s_wait_loadcnt 0x16
	v_dual_mov_b32 v30, v12 :: v_dual_mov_b32 v18, v13
	v_mov_b32_e32 v22, v14
	s_wait_loadcnt 0x13
	v_pk_fma_f32 v[0:1], v[32:33], v[6:7], v[0:1] op_sel_hi:[1,0,1]
	s_delay_alu instid0(VALU_DEP_3) | instskip(SKIP_1) | instid1(VALU_DEP_1)
	v_pk_fma_f32 v[4:5], v[30:31], v[6:7], v[4:5] op_sel_hi:[1,0,1]
	s_wait_loadcnt 0x10
	v_pk_fma_f32 v[4:5], v[18:19], v[26:27], v[4:5] op_sel_hi:[1,0,1]
	s_delay_alu instid0(VALU_DEP_3) | instskip(SKIP_2) | instid1(VALU_DEP_3)
	v_pk_fma_f32 v[0:1], v[20:21], v[26:27], v[0:1] op_sel_hi:[1,0,1]
	v_mov_b32_e32 v26, v15
	s_wait_loadcnt 0xd
	v_pk_fma_f32 v[4:5], v[22:23], v[36:37], v[4:5] op_sel_hi:[1,0,1]
	s_delay_alu instid0(VALU_DEP_3) | instskip(SKIP_1) | instid1(VALU_DEP_2)
	v_pk_fma_f32 v[0:1], v[24:25], v[36:37], v[0:1] op_sel_hi:[1,0,1]
	s_wait_loadcnt 0xa
	v_pk_fma_f32 v[4:5], v[26:27], v[40:41], v[4:5] op_sel_hi:[1,0,1]
	s_delay_alu instid0(VALU_DEP_2) | instskip(SKIP_1) | instid1(VALU_DEP_2)
	v_pk_fma_f32 v[0:1], v[28:29], v[40:41], v[0:1] op_sel_hi:[1,0,1]
	s_wait_loadcnt 0x7
	v_pk_fma_f32 v[4:5], v[16:17], v[44:45], v[4:5] op_sel_hi:[1,0,1]
	s_delay_alu instid0(VALU_DEP_2) | instskip(SKIP_1) | instid1(VALU_DEP_2)
	;; [unrolled: 4-line block ×3, first 2 shown]
	v_pk_fma_f32 v[0:1], v[42:43], v[48:49], v[0:1] op_sel_hi:[1,0,1]
	s_wait_loadcnt 0x0
	v_pk_fma_f32 v[4:5], v[46:47], v[52:53], v[4:5] op_sel_hi:[1,0,1]
	s_delay_alu instid0(VALU_DEP_2)
	v_pk_fma_f32 v[0:1], v[50:51], v[52:53], v[0:1] op_sel_hi:[1,0,1]
	s_and_not1_b32 exec_lo, exec_lo, s2
	s_cbranch_execnz .LBB27_15
; %bb.16:
	s_or_b32 exec_lo, exec_lo, s2
.LBB27_17:
	s_delay_alu instid0(SALU_CYCLE_1)
	s_or_b32 exec_lo, exec_lo, s3
.LBB27_18:
	v_mbcnt_lo_u32_b32 v10, -1, 0
	s_mov_b32 s2, -1
	s_delay_alu instid0(VALU_DEP_1) | instskip(SKIP_1) | instid1(VALU_DEP_1)
	v_xor_b32_e32 v11, 4, v10
	v_xor_b32_e32 v6, 8, v10
	v_cmp_gt_i32_e32 vcc_lo, 32, v6
	v_cndmask_b32_e32 v6, v10, v6, vcc_lo
	s_delay_alu instid0(VALU_DEP_4) | instskip(SKIP_1) | instid1(VALU_DEP_1)
	v_cmp_gt_i32_e32 vcc_lo, 32, v11
	v_cndmask_b32_e32 v11, v10, v11, vcc_lo
	v_dual_lshlrev_b32 v11, 2, v11 :: v_dual_lshlrev_b32 v9, 2, v6
	ds_bpermute_b32 v6, v9, v4
	ds_bpermute_b32 v7, v9, v5
	;; [unrolled: 1-line block ×4, first 2 shown]
	s_wait_dscnt 0x2
	v_pk_add_f32 v[4:5], v[4:5], v[6:7]
	s_wait_dscnt 0x0
	v_pk_add_f32 v[0:1], v[0:1], v[8:9]
	ds_bpermute_b32 v6, v11, v4
	ds_bpermute_b32 v7, v11, v5
	;; [unrolled: 1-line block ×4, first 2 shown]
	v_xor_b32_e32 v11, 2, v10
	s_delay_alu instid0(VALU_DEP_1) | instskip(SKIP_1) | instid1(VALU_DEP_1)
	v_cmp_gt_i32_e32 vcc_lo, 32, v11
	v_cndmask_b32_e32 v11, v10, v11, vcc_lo
	v_lshlrev_b32_e32 v11, 2, v11
	s_wait_dscnt 0x2
	v_pk_add_f32 v[4:5], v[4:5], v[6:7]
	s_wait_dscnt 0x0
	v_pk_add_f32 v[6:7], v[0:1], v[8:9]
	ds_bpermute_b32 v0, v11, v4
	ds_bpermute_b32 v1, v11, v5
	;; [unrolled: 1-line block ×4, first 2 shown]
	v_xor_b32_e32 v11, 1, v10
	s_delay_alu instid0(VALU_DEP_1) | instskip(SKIP_2) | instid1(VALU_DEP_2)
	v_cmp_gt_i32_e32 vcc_lo, 32, v11
	v_cndmask_b32_e32 v10, v10, v11, vcc_lo
	v_cmp_eq_u32_e32 vcc_lo, 15, v3
	v_lshlrev_b32_e32 v10, 2, v10
	s_wait_dscnt 0x2
	v_pk_add_f32 v[0:1], v[4:5], v[0:1]
	s_wait_dscnt 0x0
	v_pk_add_f32 v[6:7], v[6:7], v[8:9]
	ds_bpermute_b32 v4, v10, v0
	ds_bpermute_b32 v5, v10, v1
	;; [unrolled: 1-line block ×4, first 2 shown]
	s_and_b32 exec_lo, exec_lo, vcc_lo
	s_cbranch_execz .LBB27_23
; %bb.19:
	s_load_b64 s[0:1], s[0:1], 0x38
	s_wait_dscnt 0x2
	v_pk_add_f32 v[4:5], v[0:1], v[4:5]
	s_wait_dscnt 0x0
	v_pk_add_f32 v[0:1], v[6:7], v[8:9]
	v_lshlrev_b32_e32 v2, 2, v2
	s_cmp_eq_f32 s12, 0
	s_cbranch_scc0 .LBB27_21
; %bb.20:
	s_delay_alu instid0(VALU_DEP_1)
	v_ashrrev_i32_e32 v3, 31, v2
	v_pk_mul_f32 v[6:7], s[14:15], v[4:5] op_sel_hi:[0,1]
	v_pk_mul_f32 v[8:9], s[14:15], v[0:1] op_sel_hi:[0,1]
	s_mov_b32 s2, 0
	s_wait_kmcnt 0x0
	v_lshl_add_u64 v[10:11], v[2:3], 2, s[0:1]
	global_store_b128 v[10:11], v[6:9], off
.LBB27_21:
	s_and_not1_b32 vcc_lo, exec_lo, s2
	s_cbranch_vccnz .LBB27_23
; %bb.22:
	v_ashrrev_i32_e32 v3, 31, v2
	s_wait_kmcnt 0x0
	s_delay_alu instid0(VALU_DEP_1)
	v_lshl_add_u64 v[10:11], v[2:3], 2, s[0:1]
	v_pk_mul_f32 v[2:3], s[14:15], v[4:5] op_sel_hi:[0,1]
	v_pk_mul_f32 v[4:5], s[14:15], v[0:1] op_sel_hi:[0,1]
	global_load_b128 v[6:9], v[10:11], off
	s_wait_loadcnt 0x0
	v_pk_fma_f32 v[0:1], s[12:13], v[6:7], v[2:3] op_sel_hi:[0,1,1]
	v_pk_fma_f32 v[2:3], s[12:13], v[8:9], v[4:5] op_sel_hi:[0,1,1]
	global_store_b128 v[10:11], v[0:3], off
.LBB27_23:
	s_endpgm
	.section	.rodata,"a",@progbits
	.p2align	6, 0x0
	.amdhsa_kernel _ZN9rocsparseL19gebsrmvn_4xn_kernelILj128ELj7ELj16EfEEvi20rocsparse_direction_NS_24const_host_device_scalarIT2_EEPKiS6_PKS3_S8_S4_PS3_21rocsparse_index_base_b
		.amdhsa_group_segment_fixed_size 0
		.amdhsa_private_segment_fixed_size 0
		.amdhsa_kernarg_size 72
		.amdhsa_user_sgpr_count 2
		.amdhsa_user_sgpr_dispatch_ptr 0
		.amdhsa_user_sgpr_queue_ptr 0
		.amdhsa_user_sgpr_kernarg_segment_ptr 1
		.amdhsa_user_sgpr_dispatch_id 0
		.amdhsa_user_sgpr_kernarg_preload_length 0
		.amdhsa_user_sgpr_kernarg_preload_offset 0
		.amdhsa_user_sgpr_private_segment_size 0
		.amdhsa_wavefront_size32 1
		.amdhsa_uses_dynamic_stack 0
		.amdhsa_enable_private_segment 0
		.amdhsa_system_sgpr_workgroup_id_x 1
		.amdhsa_system_sgpr_workgroup_id_y 0
		.amdhsa_system_sgpr_workgroup_id_z 0
		.amdhsa_system_sgpr_workgroup_info 0
		.amdhsa_system_vgpr_workitem_id 0
		.amdhsa_next_free_vgpr 56
		.amdhsa_next_free_sgpr 18
		.amdhsa_named_barrier_count 0
		.amdhsa_reserve_vcc 1
		.amdhsa_float_round_mode_32 0
		.amdhsa_float_round_mode_16_64 0
		.amdhsa_float_denorm_mode_32 3
		.amdhsa_float_denorm_mode_16_64 3
		.amdhsa_fp16_overflow 0
		.amdhsa_memory_ordered 1
		.amdhsa_forward_progress 1
		.amdhsa_inst_pref_size 19
		.amdhsa_round_robin_scheduling 0
		.amdhsa_exception_fp_ieee_invalid_op 0
		.amdhsa_exception_fp_denorm_src 0
		.amdhsa_exception_fp_ieee_div_zero 0
		.amdhsa_exception_fp_ieee_overflow 0
		.amdhsa_exception_fp_ieee_underflow 0
		.amdhsa_exception_fp_ieee_inexact 0
		.amdhsa_exception_int_div_zero 0
	.end_amdhsa_kernel
	.section	.text._ZN9rocsparseL19gebsrmvn_4xn_kernelILj128ELj7ELj16EfEEvi20rocsparse_direction_NS_24const_host_device_scalarIT2_EEPKiS6_PKS3_S8_S4_PS3_21rocsparse_index_base_b,"axG",@progbits,_ZN9rocsparseL19gebsrmvn_4xn_kernelILj128ELj7ELj16EfEEvi20rocsparse_direction_NS_24const_host_device_scalarIT2_EEPKiS6_PKS3_S8_S4_PS3_21rocsparse_index_base_b,comdat
.Lfunc_end27:
	.size	_ZN9rocsparseL19gebsrmvn_4xn_kernelILj128ELj7ELj16EfEEvi20rocsparse_direction_NS_24const_host_device_scalarIT2_EEPKiS6_PKS3_S8_S4_PS3_21rocsparse_index_base_b, .Lfunc_end27-_ZN9rocsparseL19gebsrmvn_4xn_kernelILj128ELj7ELj16EfEEvi20rocsparse_direction_NS_24const_host_device_scalarIT2_EEPKiS6_PKS3_S8_S4_PS3_21rocsparse_index_base_b
                                        ; -- End function
	.set _ZN9rocsparseL19gebsrmvn_4xn_kernelILj128ELj7ELj16EfEEvi20rocsparse_direction_NS_24const_host_device_scalarIT2_EEPKiS6_PKS3_S8_S4_PS3_21rocsparse_index_base_b.num_vgpr, 56
	.set _ZN9rocsparseL19gebsrmvn_4xn_kernelILj128ELj7ELj16EfEEvi20rocsparse_direction_NS_24const_host_device_scalarIT2_EEPKiS6_PKS3_S8_S4_PS3_21rocsparse_index_base_b.num_agpr, 0
	.set _ZN9rocsparseL19gebsrmvn_4xn_kernelILj128ELj7ELj16EfEEvi20rocsparse_direction_NS_24const_host_device_scalarIT2_EEPKiS6_PKS3_S8_S4_PS3_21rocsparse_index_base_b.numbered_sgpr, 18
	.set _ZN9rocsparseL19gebsrmvn_4xn_kernelILj128ELj7ELj16EfEEvi20rocsparse_direction_NS_24const_host_device_scalarIT2_EEPKiS6_PKS3_S8_S4_PS3_21rocsparse_index_base_b.num_named_barrier, 0
	.set _ZN9rocsparseL19gebsrmvn_4xn_kernelILj128ELj7ELj16EfEEvi20rocsparse_direction_NS_24const_host_device_scalarIT2_EEPKiS6_PKS3_S8_S4_PS3_21rocsparse_index_base_b.private_seg_size, 0
	.set _ZN9rocsparseL19gebsrmvn_4xn_kernelILj128ELj7ELj16EfEEvi20rocsparse_direction_NS_24const_host_device_scalarIT2_EEPKiS6_PKS3_S8_S4_PS3_21rocsparse_index_base_b.uses_vcc, 1
	.set _ZN9rocsparseL19gebsrmvn_4xn_kernelILj128ELj7ELj16EfEEvi20rocsparse_direction_NS_24const_host_device_scalarIT2_EEPKiS6_PKS3_S8_S4_PS3_21rocsparse_index_base_b.uses_flat_scratch, 0
	.set _ZN9rocsparseL19gebsrmvn_4xn_kernelILj128ELj7ELj16EfEEvi20rocsparse_direction_NS_24const_host_device_scalarIT2_EEPKiS6_PKS3_S8_S4_PS3_21rocsparse_index_base_b.has_dyn_sized_stack, 0
	.set _ZN9rocsparseL19gebsrmvn_4xn_kernelILj128ELj7ELj16EfEEvi20rocsparse_direction_NS_24const_host_device_scalarIT2_EEPKiS6_PKS3_S8_S4_PS3_21rocsparse_index_base_b.has_recursion, 0
	.set _ZN9rocsparseL19gebsrmvn_4xn_kernelILj128ELj7ELj16EfEEvi20rocsparse_direction_NS_24const_host_device_scalarIT2_EEPKiS6_PKS3_S8_S4_PS3_21rocsparse_index_base_b.has_indirect_call, 0
	.section	.AMDGPU.csdata,"",@progbits
; Kernel info:
; codeLenInByte = 2328
; TotalNumSgprs: 20
; NumVgprs: 56
; ScratchSize: 0
; MemoryBound: 0
; FloatMode: 240
; IeeeMode: 1
; LDSByteSize: 0 bytes/workgroup (compile time only)
; SGPRBlocks: 0
; VGPRBlocks: 3
; NumSGPRsForWavesPerEU: 20
; NumVGPRsForWavesPerEU: 56
; NamedBarCnt: 0
; Occupancy: 16
; WaveLimiterHint : 1
; COMPUTE_PGM_RSRC2:SCRATCH_EN: 0
; COMPUTE_PGM_RSRC2:USER_SGPR: 2
; COMPUTE_PGM_RSRC2:TRAP_HANDLER: 0
; COMPUTE_PGM_RSRC2:TGID_X_EN: 1
; COMPUTE_PGM_RSRC2:TGID_Y_EN: 0
; COMPUTE_PGM_RSRC2:TGID_Z_EN: 0
; COMPUTE_PGM_RSRC2:TIDIG_COMP_CNT: 0
	.section	.text._ZN9rocsparseL19gebsrmvn_4xn_kernelILj128ELj7ELj32EfEEvi20rocsparse_direction_NS_24const_host_device_scalarIT2_EEPKiS6_PKS3_S8_S4_PS3_21rocsparse_index_base_b,"axG",@progbits,_ZN9rocsparseL19gebsrmvn_4xn_kernelILj128ELj7ELj32EfEEvi20rocsparse_direction_NS_24const_host_device_scalarIT2_EEPKiS6_PKS3_S8_S4_PS3_21rocsparse_index_base_b,comdat
	.globl	_ZN9rocsparseL19gebsrmvn_4xn_kernelILj128ELj7ELj32EfEEvi20rocsparse_direction_NS_24const_host_device_scalarIT2_EEPKiS6_PKS3_S8_S4_PS3_21rocsparse_index_base_b ; -- Begin function _ZN9rocsparseL19gebsrmvn_4xn_kernelILj128ELj7ELj32EfEEvi20rocsparse_direction_NS_24const_host_device_scalarIT2_EEPKiS6_PKS3_S8_S4_PS3_21rocsparse_index_base_b
	.p2align	8
	.type	_ZN9rocsparseL19gebsrmvn_4xn_kernelILj128ELj7ELj32EfEEvi20rocsparse_direction_NS_24const_host_device_scalarIT2_EEPKiS6_PKS3_S8_S4_PS3_21rocsparse_index_base_b,@function
_ZN9rocsparseL19gebsrmvn_4xn_kernelILj128ELj7ELj32EfEEvi20rocsparse_direction_NS_24const_host_device_scalarIT2_EEPKiS6_PKS3_S8_S4_PS3_21rocsparse_index_base_b: ; @_ZN9rocsparseL19gebsrmvn_4xn_kernelILj128ELj7ELj32EfEEvi20rocsparse_direction_NS_24const_host_device_scalarIT2_EEPKiS6_PKS3_S8_S4_PS3_21rocsparse_index_base_b
; %bb.0:
	s_clause 0x2
	s_load_b64 s[16:17], s[0:1], 0x40
	s_load_b64 s[14:15], s[0:1], 0x8
	;; [unrolled: 1-line block ×3, first 2 shown]
	s_wait_kmcnt 0x0
	s_bitcmp1_b32 s17, 0
	s_cselect_b32 s2, -1, 0
	s_delay_alu instid0(SALU_CYCLE_1)
	s_and_b32 vcc_lo, exec_lo, s2
	s_xor_b32 s2, s2, -1
	s_cbranch_vccnz .LBB28_2
; %bb.1:
	s_load_b32 s14, s[14:15], 0x0
.LBB28_2:
	s_and_not1_b32 vcc_lo, exec_lo, s2
	s_cbranch_vccnz .LBB28_4
; %bb.3:
	s_load_b32 s12, s[12:13], 0x0
.LBB28_4:
	s_wait_kmcnt 0x0
	s_cmp_eq_f32 s14, 0
	s_cselect_b32 s2, -1, 0
	s_cmp_eq_f32 s12, 1.0
	s_cselect_b32 s3, -1, 0
	s_delay_alu instid0(SALU_CYCLE_1) | instskip(NEXT) | instid1(SALU_CYCLE_1)
	s_and_b32 s2, s2, s3
	s_and_b32 vcc_lo, exec_lo, s2
	s_cbranch_vccnz .LBB28_23
; %bb.5:
	s_load_b64 s[2:3], s[0:1], 0x0
	s_bfe_u32 s4, ttmp6, 0x4000c
	s_and_b32 s5, ttmp6, 15
	s_add_co_i32 s4, s4, 1
	s_getreg_b32 s6, hwreg(HW_REG_IB_STS2, 6, 4)
	s_mul_i32 s4, ttmp9, s4
	v_lshrrev_b32_e32 v1, 5, v0
	s_add_co_i32 s5, s5, s4
	s_cmp_eq_u32 s6, 0
	s_cselect_b32 s4, ttmp9, s5
	s_delay_alu instid0(VALU_DEP_1) | instid1(SALU_CYCLE_1)
	v_lshl_or_b32 v2, s4, 2, v1
	s_wait_kmcnt 0x0
	s_delay_alu instid0(VALU_DEP_1)
	v_cmp_gt_i32_e32 vcc_lo, s2, v2
	s_and_saveexec_b32 s2, vcc_lo
	s_cbranch_execz .LBB28_23
; %bb.6:
	s_load_b256 s[4:11], s[0:1], 0x10
	v_ashrrev_i32_e32 v3, 31, v2
	s_cmp_lg_u32 s3, 0
	s_wait_kmcnt 0x0
	s_delay_alu instid0(VALU_DEP_1)
	v_lshl_add_u64 v[4:5], v[2:3], 2, s[4:5]
	v_and_b32_e32 v3, 31, v0
	global_load_b64 v[4:5], v[4:5], off
	s_wait_loadcnt 0x0
	v_subrev_nc_u32_e32 v0, s16, v4
	v_subrev_nc_u32_e32 v10, s16, v5
	s_delay_alu instid0(VALU_DEP_2) | instskip(NEXT) | instid1(VALU_DEP_1)
	v_add_nc_u32_e32 v11, v0, v3
	v_cmp_lt_i32_e64 s2, v11, v10
	s_cbranch_scc0 .LBB28_12
; %bb.7:
	v_mov_b32_e32 v1, 0
	s_delay_alu instid0(VALU_DEP_1)
	v_dual_mov_b32 v0, v1 :: v_dual_mov_b32 v5, v1
	v_mov_b32_e32 v4, v1
	s_and_saveexec_b32 s3, s2
	s_cbranch_execz .LBB28_11
; %bb.8:
	v_mad_u32 v8, v11, 28, 24
	v_dual_mov_b32 v7, 0 :: v_dual_mov_b32 v12, v11
	s_mov_b32 s4, 0
	s_delay_alu instid0(VALU_DEP_1)
	v_dual_mov_b32 v0, v7 :: v_dual_mov_b32 v1, v7
	v_dual_mov_b32 v4, v7 :: v_dual_mov_b32 v5, v7
.LBB28_9:                               ; =>This Inner Loop Header: Depth=1
	global_load_b32 v13, v12, s[6:7] scale_offset
	v_subrev_nc_u32_e32 v6, 24, v8
	s_wait_xcnt 0x0
	v_dual_mov_b32 v9, v7 :: v_dual_add_nc_u32 v12, 32, v12
	s_delay_alu instid0(VALU_DEP_2) | instskip(SKIP_1) | instid1(VALU_DEP_3)
	v_lshl_add_u64 v[22:23], v[6:7], 2, s[8:9]
	v_subrev_nc_u32_e32 v6, 20, v8
	v_cmp_ge_i32_e32 vcc_lo, v12, v10
	s_delay_alu instid0(VALU_DEP_2)
	v_lshl_add_u64 v[24:25], v[6:7], 2, s[8:9]
	v_add_nc_u32_e32 v6, -16, v8
	s_clause 0x1
	global_load_b128 v[14:17], v[22:23], off
	global_load_b128 v[18:21], v[24:25], off
	v_lshl_add_u64 v[50:51], v[8:9], 2, s[8:9]
	s_wait_xcnt 0x1
	v_lshl_add_u64 v[22:23], v[6:7], 2, s[8:9]
	s_or_b32 s4, vcc_lo, s4
	global_load_b128 v[22:25], v[22:23], off
	s_wait_loadcnt 0x3
	v_subrev_nc_u32_e32 v13, s16, v13
	s_delay_alu instid0(VALU_DEP_1) | instskip(NEXT) | instid1(VALU_DEP_1)
	v_mul_lo_u32 v13, v13, 7
	v_dual_add_nc_u32 v6, -12, v8 :: v_dual_add_nc_u32 v28, 1, v13
	global_load_b32 v42, v13, s[10:11] scale_offset
	v_add_nc_u32_e32 v30, 2, v13
	v_lshl_add_u64 v[26:27], v[6:7], 2, s[8:9]
	v_add_nc_u32_e32 v6, -8, v8
	global_load_b32 v44, v28, s[10:11] scale_offset
	v_add_nc_u32_e32 v36, 3, v13
	global_load_b32 v46, v30, s[10:11] scale_offset
	global_load_b128 v[26:29], v[26:27], off
	v_lshl_add_u64 v[34:35], v[6:7], 2, s[8:9]
	v_dual_add_nc_u32 v6, -4, v8 :: v_dual_add_nc_u32 v37, 4, v13
	v_add_nc_u32_e32 v43, 5, v13
	global_load_b32 v48, v36, s[10:11] scale_offset
	global_load_b128 v[30:33], v[34:35], off
	v_add_nc_u32_e32 v9, 6, v13
	s_wait_xcnt 0x0
	v_lshl_add_u64 v[34:35], v[6:7], 2, s[8:9]
	global_load_b32 v6, v37, s[10:11] scale_offset
	v_add_nc_u32_e32 v8, 0x380, v8
	global_load_b128 v[34:37], v[34:35], off
	global_load_b32 v52, v43, s[10:11] scale_offset
	global_load_b128 v[38:41], v[50:51], off
	global_load_b32 v54, v9, s[10:11] scale_offset
	s_wait_loadcnt 0xa
	v_pk_fma_f32 v[4:5], v[14:15], v[42:43], v[4:5] op_sel_hi:[1,0,1]
	v_pk_fma_f32 v[0:1], v[16:17], v[42:43], v[0:1] op_sel_hi:[1,0,1]
	s_wait_loadcnt 0x9
	s_delay_alu instid0(VALU_DEP_2) | instskip(NEXT) | instid1(VALU_DEP_2)
	v_pk_fma_f32 v[4:5], v[18:19], v[44:45], v[4:5] op_sel_hi:[1,0,1]
	v_pk_fma_f32 v[0:1], v[20:21], v[44:45], v[0:1] op_sel_hi:[1,0,1]
	s_wait_loadcnt 0x8
	s_delay_alu instid0(VALU_DEP_2) | instskip(NEXT) | instid1(VALU_DEP_2)
	;; [unrolled: 4-line block ×6, first 2 shown]
	v_pk_fma_f32 v[4:5], v[38:39], v[54:55], v[4:5] op_sel_hi:[1,0,1]
	v_pk_fma_f32 v[0:1], v[40:41], v[54:55], v[0:1] op_sel_hi:[1,0,1]
	s_and_not1_b32 exec_lo, exec_lo, s4
	s_cbranch_execnz .LBB28_9
; %bb.10:
	s_or_b32 exec_lo, exec_lo, s4
.LBB28_11:
	s_delay_alu instid0(SALU_CYCLE_1)
	s_or_b32 exec_lo, exec_lo, s3
	s_cbranch_execz .LBB28_13
	s_branch .LBB28_18
.LBB28_12:
                                        ; implicit-def: $vgpr1
                                        ; implicit-def: $vgpr5
.LBB28_13:
	v_mov_b32_e32 v1, 0
	s_delay_alu instid0(VALU_DEP_1)
	v_dual_mov_b32 v0, v1 :: v_dual_mov_b32 v5, v1
	v_mov_b32_e32 v4, v1
	s_and_saveexec_b32 s3, s2
	s_cbranch_execz .LBB28_17
; %bb.14:
	v_mad_u32 v8, v11, 28, 27
	v_mov_b32_e32 v7, 0
	s_mov_b32 s2, 0
	s_delay_alu instid0(VALU_DEP_1)
	v_dual_mov_b32 v0, v7 :: v_dual_mov_b32 v1, v7
	v_dual_mov_b32 v4, v7 :: v_dual_mov_b32 v5, v7
.LBB28_15:                              ; =>This Inner Loop Header: Depth=1
	global_load_b32 v9, v11, s[6:7] scale_offset
	v_subrev_nc_u32_e32 v6, 27, v8
	v_subrev_nc_u32_e32 v12, 19, v8
	;; [unrolled: 1-line block ×3, first 2 shown]
	v_dual_add_nc_u32 v25, -11, v8 :: v_dual_add_nc_u32 v29, -4, v8
	s_delay_alu instid0(VALU_DEP_4)
	v_lshl_add_u64 v[16:17], v[6:7], 2, s[8:9]
	v_dual_add_nc_u32 v13, -12, v8 :: v_dual_add_nc_u32 v14, -5, v8
	v_subrev_nc_u32_e32 v30, 17, v8
	v_dual_add_nc_u32 v34, -10, v8 :: v_dual_add_nc_u32 v35, -3, v8
	v_subrev_nc_u32_e32 v18, 20, v8
	v_dual_add_nc_u32 v22, -13, v8 :: v_dual_add_nc_u32 v26, -6, v8
	s_clause 0x4
	global_load_b32 v19, v12, s[8:9] scale_offset
	global_load_b32 v20, v13, s[8:9] scale_offset
	;; [unrolled: 1-line block ×5, first 2 shown]
	v_subrev_nc_u32_e32 v36, 23, v8
	v_dual_add_nc_u32 v37, -16, v8 :: v_dual_add_nc_u32 v38, -9, v8
	v_dual_add_nc_u32 v39, -2, v8 :: v_dual_add_nc_u32 v41, -15, v8
	v_subrev_nc_u32_e32 v40, 22, v8
	v_dual_add_nc_u32 v43, -8, v8 :: v_dual_add_nc_u32 v45, -1, v8
	v_subrev_nc_u32_e32 v47, 21, v8
	v_dual_add_nc_u32 v49, -14, v8 :: v_dual_add_nc_u32 v53, -7, v8
	s_wait_xcnt 0x5
	v_add_nc_u32_e32 v11, 32, v11
	s_delay_alu instid0(VALU_DEP_1) | instskip(SKIP_3) | instid1(VALU_DEP_1)
	v_cmp_ge_i32_e32 vcc_lo, v11, v10
	s_or_b32 s2, vcc_lo, s2
	s_wait_loadcnt 0x5
	v_subrev_nc_u32_e32 v6, s16, v9
	v_mul_lo_u32 v9, v6, 7
	s_clause 0x6
	global_load_b32 v25, v29, s[8:9] scale_offset
	global_load_b32 v27, v30, s[8:9] scale_offset
	;; [unrolled: 1-line block ×4, first 2 shown]
	global_load_b128 v[12:15], v[16:17], off
	global_load_b32 v32, v22, s[8:9] scale_offset
	global_load_b32 v33, v26, s[8:9] scale_offset
	;; [unrolled: 1-line block ×3, first 2 shown]
	s_clause 0x1
	global_load_b32 v29, v35, s[8:9] scale_offset
	global_load_b32 v16, v36, s[8:9] scale_offset
	s_wait_xcnt 0x4
	v_dual_add_nc_u32 v18, 1, v9 :: v_dual_add_nc_u32 v22, 2, v9
	global_load_b32 v26, v18, s[10:11] scale_offset
	s_clause 0x1
	global_load_b32 v17, v37, s[8:9] scale_offset
	global_load_b32 v34, v38, s[8:9] scale_offset
	s_wait_xcnt 0x2
	v_add_nc_u32_e32 v18, 3, v9
	global_load_b32 v36, v22, s[10:11] scale_offset
	s_clause 0x1
	global_load_b32 v35, v39, s[8:9] scale_offset
	global_load_b32 v38, v40, s[8:9] scale_offset
	s_wait_xcnt 0x2
	v_add_nc_u32_e32 v22, 4, v9
	global_load_b32 v40, v18, s[10:11] scale_offset
	s_clause 0x1
	global_load_b32 v39, v41, s[8:9] scale_offset
	global_load_b32 v42, v43, s[8:9] scale_offset
	global_load_b32 v44, v22, s[10:11] scale_offset
	s_clause 0x1
	global_load_b32 v43, v45, s[8:9] scale_offset
	global_load_b32 v46, v47, s[8:9] scale_offset
	v_dual_add_nc_u32 v18, 5, v9 :: v_dual_add_nc_u32 v9, 6, v9
	global_load_b32 v48, v18, s[10:11] scale_offset
	s_clause 0x2
	global_load_b32 v47, v49, s[8:9] scale_offset
	global_load_b32 v50, v53, s[8:9] scale_offset
	;; [unrolled: 1-line block ×4, first 2 shown]
	s_wait_xcnt 0x1
	v_add_nc_u32_e32 v8, 0x380, v8
	s_wait_loadcnt 0x16
	v_dual_mov_b32 v30, v12 :: v_dual_mov_b32 v18, v13
	v_mov_b32_e32 v22, v14
	s_wait_loadcnt 0x13
	v_pk_fma_f32 v[0:1], v[32:33], v[6:7], v[0:1] op_sel_hi:[1,0,1]
	s_delay_alu instid0(VALU_DEP_3) | instskip(SKIP_1) | instid1(VALU_DEP_1)
	v_pk_fma_f32 v[4:5], v[30:31], v[6:7], v[4:5] op_sel_hi:[1,0,1]
	s_wait_loadcnt 0x10
	v_pk_fma_f32 v[4:5], v[18:19], v[26:27], v[4:5] op_sel_hi:[1,0,1]
	s_delay_alu instid0(VALU_DEP_3) | instskip(SKIP_2) | instid1(VALU_DEP_3)
	v_pk_fma_f32 v[0:1], v[20:21], v[26:27], v[0:1] op_sel_hi:[1,0,1]
	v_mov_b32_e32 v26, v15
	s_wait_loadcnt 0xd
	v_pk_fma_f32 v[4:5], v[22:23], v[36:37], v[4:5] op_sel_hi:[1,0,1]
	s_delay_alu instid0(VALU_DEP_3) | instskip(SKIP_1) | instid1(VALU_DEP_2)
	v_pk_fma_f32 v[0:1], v[24:25], v[36:37], v[0:1] op_sel_hi:[1,0,1]
	s_wait_loadcnt 0xa
	v_pk_fma_f32 v[4:5], v[26:27], v[40:41], v[4:5] op_sel_hi:[1,0,1]
	s_delay_alu instid0(VALU_DEP_2) | instskip(SKIP_1) | instid1(VALU_DEP_2)
	v_pk_fma_f32 v[0:1], v[28:29], v[40:41], v[0:1] op_sel_hi:[1,0,1]
	s_wait_loadcnt 0x7
	v_pk_fma_f32 v[4:5], v[16:17], v[44:45], v[4:5] op_sel_hi:[1,0,1]
	s_delay_alu instid0(VALU_DEP_2) | instskip(SKIP_1) | instid1(VALU_DEP_2)
	;; [unrolled: 4-line block ×3, first 2 shown]
	v_pk_fma_f32 v[0:1], v[42:43], v[48:49], v[0:1] op_sel_hi:[1,0,1]
	s_wait_loadcnt 0x0
	v_pk_fma_f32 v[4:5], v[46:47], v[52:53], v[4:5] op_sel_hi:[1,0,1]
	s_delay_alu instid0(VALU_DEP_2)
	v_pk_fma_f32 v[0:1], v[50:51], v[52:53], v[0:1] op_sel_hi:[1,0,1]
	s_and_not1_b32 exec_lo, exec_lo, s2
	s_cbranch_execnz .LBB28_15
; %bb.16:
	s_or_b32 exec_lo, exec_lo, s2
.LBB28_17:
	s_delay_alu instid0(SALU_CYCLE_1)
	s_or_b32 exec_lo, exec_lo, s3
.LBB28_18:
	v_mbcnt_lo_u32_b32 v10, -1, 0
	s_mov_b32 s2, -1
	s_delay_alu instid0(VALU_DEP_1) | instskip(SKIP_1) | instid1(VALU_DEP_1)
	v_xor_b32_e32 v11, 8, v10
	v_xor_b32_e32 v6, 16, v10
	v_cmp_gt_i32_e32 vcc_lo, 32, v6
	v_cndmask_b32_e32 v6, v10, v6, vcc_lo
	s_delay_alu instid0(VALU_DEP_4) | instskip(SKIP_1) | instid1(VALU_DEP_1)
	v_cmp_gt_i32_e32 vcc_lo, 32, v11
	v_cndmask_b32_e32 v11, v10, v11, vcc_lo
	v_dual_lshlrev_b32 v11, 2, v11 :: v_dual_lshlrev_b32 v9, 2, v6
	ds_bpermute_b32 v6, v9, v4
	ds_bpermute_b32 v7, v9, v5
	;; [unrolled: 1-line block ×4, first 2 shown]
	s_wait_dscnt 0x2
	v_pk_add_f32 v[4:5], v[4:5], v[6:7]
	s_wait_dscnt 0x0
	v_pk_add_f32 v[0:1], v[0:1], v[8:9]
	ds_bpermute_b32 v6, v11, v4
	ds_bpermute_b32 v7, v11, v5
	;; [unrolled: 1-line block ×4, first 2 shown]
	v_xor_b32_e32 v11, 4, v10
	s_delay_alu instid0(VALU_DEP_1) | instskip(SKIP_1) | instid1(VALU_DEP_1)
	v_cmp_gt_i32_e32 vcc_lo, 32, v11
	v_cndmask_b32_e32 v11, v10, v11, vcc_lo
	v_lshlrev_b32_e32 v11, 2, v11
	s_wait_dscnt 0x2
	v_pk_add_f32 v[4:5], v[4:5], v[6:7]
	s_wait_dscnt 0x0
	v_pk_add_f32 v[0:1], v[0:1], v[8:9]
	ds_bpermute_b32 v6, v11, v4
	ds_bpermute_b32 v7, v11, v5
	;; [unrolled: 1-line block ×4, first 2 shown]
	v_xor_b32_e32 v11, 2, v10
	s_delay_alu instid0(VALU_DEP_1) | instskip(SKIP_1) | instid1(VALU_DEP_1)
	v_cmp_gt_i32_e32 vcc_lo, 32, v11
	v_cndmask_b32_e32 v11, v10, v11, vcc_lo
	v_lshlrev_b32_e32 v11, 2, v11
	s_wait_dscnt 0x2
	v_pk_add_f32 v[4:5], v[4:5], v[6:7]
	s_wait_dscnt 0x0
	v_pk_add_f32 v[6:7], v[0:1], v[8:9]
	ds_bpermute_b32 v0, v11, v4
	ds_bpermute_b32 v1, v11, v5
	;; [unrolled: 1-line block ×4, first 2 shown]
	v_xor_b32_e32 v11, 1, v10
	s_delay_alu instid0(VALU_DEP_1) | instskip(SKIP_2) | instid1(VALU_DEP_2)
	v_cmp_gt_i32_e32 vcc_lo, 32, v11
	v_cndmask_b32_e32 v10, v10, v11, vcc_lo
	v_cmp_eq_u32_e32 vcc_lo, 31, v3
	v_lshlrev_b32_e32 v10, 2, v10
	s_wait_dscnt 0x2
	v_pk_add_f32 v[0:1], v[4:5], v[0:1]
	s_wait_dscnt 0x0
	v_pk_add_f32 v[6:7], v[6:7], v[8:9]
	ds_bpermute_b32 v4, v10, v0
	ds_bpermute_b32 v5, v10, v1
	;; [unrolled: 1-line block ×4, first 2 shown]
	s_and_b32 exec_lo, exec_lo, vcc_lo
	s_cbranch_execz .LBB28_23
; %bb.19:
	s_load_b64 s[0:1], s[0:1], 0x38
	s_wait_dscnt 0x2
	v_pk_add_f32 v[4:5], v[0:1], v[4:5]
	s_wait_dscnt 0x0
	v_pk_add_f32 v[0:1], v[6:7], v[8:9]
	v_lshlrev_b32_e32 v2, 2, v2
	s_cmp_eq_f32 s12, 0
	s_cbranch_scc0 .LBB28_21
; %bb.20:
	s_delay_alu instid0(VALU_DEP_1)
	v_ashrrev_i32_e32 v3, 31, v2
	v_pk_mul_f32 v[6:7], s[14:15], v[4:5] op_sel_hi:[0,1]
	v_pk_mul_f32 v[8:9], s[14:15], v[0:1] op_sel_hi:[0,1]
	s_mov_b32 s2, 0
	s_wait_kmcnt 0x0
	v_lshl_add_u64 v[10:11], v[2:3], 2, s[0:1]
	global_store_b128 v[10:11], v[6:9], off
.LBB28_21:
	s_and_not1_b32 vcc_lo, exec_lo, s2
	s_cbranch_vccnz .LBB28_23
; %bb.22:
	v_ashrrev_i32_e32 v3, 31, v2
	s_wait_kmcnt 0x0
	s_delay_alu instid0(VALU_DEP_1)
	v_lshl_add_u64 v[10:11], v[2:3], 2, s[0:1]
	v_pk_mul_f32 v[2:3], s[14:15], v[4:5] op_sel_hi:[0,1]
	v_pk_mul_f32 v[4:5], s[14:15], v[0:1] op_sel_hi:[0,1]
	global_load_b128 v[6:9], v[10:11], off
	s_wait_loadcnt 0x0
	v_pk_fma_f32 v[0:1], s[12:13], v[6:7], v[2:3] op_sel_hi:[0,1,1]
	v_pk_fma_f32 v[2:3], s[12:13], v[8:9], v[4:5] op_sel_hi:[0,1,1]
	global_store_b128 v[10:11], v[0:3], off
.LBB28_23:
	s_endpgm
	.section	.rodata,"a",@progbits
	.p2align	6, 0x0
	.amdhsa_kernel _ZN9rocsparseL19gebsrmvn_4xn_kernelILj128ELj7ELj32EfEEvi20rocsparse_direction_NS_24const_host_device_scalarIT2_EEPKiS6_PKS3_S8_S4_PS3_21rocsparse_index_base_b
		.amdhsa_group_segment_fixed_size 0
		.amdhsa_private_segment_fixed_size 0
		.amdhsa_kernarg_size 72
		.amdhsa_user_sgpr_count 2
		.amdhsa_user_sgpr_dispatch_ptr 0
		.amdhsa_user_sgpr_queue_ptr 0
		.amdhsa_user_sgpr_kernarg_segment_ptr 1
		.amdhsa_user_sgpr_dispatch_id 0
		.amdhsa_user_sgpr_kernarg_preload_length 0
		.amdhsa_user_sgpr_kernarg_preload_offset 0
		.amdhsa_user_sgpr_private_segment_size 0
		.amdhsa_wavefront_size32 1
		.amdhsa_uses_dynamic_stack 0
		.amdhsa_enable_private_segment 0
		.amdhsa_system_sgpr_workgroup_id_x 1
		.amdhsa_system_sgpr_workgroup_id_y 0
		.amdhsa_system_sgpr_workgroup_id_z 0
		.amdhsa_system_sgpr_workgroup_info 0
		.amdhsa_system_vgpr_workitem_id 0
		.amdhsa_next_free_vgpr 56
		.amdhsa_next_free_sgpr 18
		.amdhsa_named_barrier_count 0
		.amdhsa_reserve_vcc 1
		.amdhsa_float_round_mode_32 0
		.amdhsa_float_round_mode_16_64 0
		.amdhsa_float_denorm_mode_32 3
		.amdhsa_float_denorm_mode_16_64 3
		.amdhsa_fp16_overflow 0
		.amdhsa_memory_ordered 1
		.amdhsa_forward_progress 1
		.amdhsa_inst_pref_size 19
		.amdhsa_round_robin_scheduling 0
		.amdhsa_exception_fp_ieee_invalid_op 0
		.amdhsa_exception_fp_denorm_src 0
		.amdhsa_exception_fp_ieee_div_zero 0
		.amdhsa_exception_fp_ieee_overflow 0
		.amdhsa_exception_fp_ieee_underflow 0
		.amdhsa_exception_fp_ieee_inexact 0
		.amdhsa_exception_int_div_zero 0
	.end_amdhsa_kernel
	.section	.text._ZN9rocsparseL19gebsrmvn_4xn_kernelILj128ELj7ELj32EfEEvi20rocsparse_direction_NS_24const_host_device_scalarIT2_EEPKiS6_PKS3_S8_S4_PS3_21rocsparse_index_base_b,"axG",@progbits,_ZN9rocsparseL19gebsrmvn_4xn_kernelILj128ELj7ELj32EfEEvi20rocsparse_direction_NS_24const_host_device_scalarIT2_EEPKiS6_PKS3_S8_S4_PS3_21rocsparse_index_base_b,comdat
.Lfunc_end28:
	.size	_ZN9rocsparseL19gebsrmvn_4xn_kernelILj128ELj7ELj32EfEEvi20rocsparse_direction_NS_24const_host_device_scalarIT2_EEPKiS6_PKS3_S8_S4_PS3_21rocsparse_index_base_b, .Lfunc_end28-_ZN9rocsparseL19gebsrmvn_4xn_kernelILj128ELj7ELj32EfEEvi20rocsparse_direction_NS_24const_host_device_scalarIT2_EEPKiS6_PKS3_S8_S4_PS3_21rocsparse_index_base_b
                                        ; -- End function
	.set _ZN9rocsparseL19gebsrmvn_4xn_kernelILj128ELj7ELj32EfEEvi20rocsparse_direction_NS_24const_host_device_scalarIT2_EEPKiS6_PKS3_S8_S4_PS3_21rocsparse_index_base_b.num_vgpr, 56
	.set _ZN9rocsparseL19gebsrmvn_4xn_kernelILj128ELj7ELj32EfEEvi20rocsparse_direction_NS_24const_host_device_scalarIT2_EEPKiS6_PKS3_S8_S4_PS3_21rocsparse_index_base_b.num_agpr, 0
	.set _ZN9rocsparseL19gebsrmvn_4xn_kernelILj128ELj7ELj32EfEEvi20rocsparse_direction_NS_24const_host_device_scalarIT2_EEPKiS6_PKS3_S8_S4_PS3_21rocsparse_index_base_b.numbered_sgpr, 18
	.set _ZN9rocsparseL19gebsrmvn_4xn_kernelILj128ELj7ELj32EfEEvi20rocsparse_direction_NS_24const_host_device_scalarIT2_EEPKiS6_PKS3_S8_S4_PS3_21rocsparse_index_base_b.num_named_barrier, 0
	.set _ZN9rocsparseL19gebsrmvn_4xn_kernelILj128ELj7ELj32EfEEvi20rocsparse_direction_NS_24const_host_device_scalarIT2_EEPKiS6_PKS3_S8_S4_PS3_21rocsparse_index_base_b.private_seg_size, 0
	.set _ZN9rocsparseL19gebsrmvn_4xn_kernelILj128ELj7ELj32EfEEvi20rocsparse_direction_NS_24const_host_device_scalarIT2_EEPKiS6_PKS3_S8_S4_PS3_21rocsparse_index_base_b.uses_vcc, 1
	.set _ZN9rocsparseL19gebsrmvn_4xn_kernelILj128ELj7ELj32EfEEvi20rocsparse_direction_NS_24const_host_device_scalarIT2_EEPKiS6_PKS3_S8_S4_PS3_21rocsparse_index_base_b.uses_flat_scratch, 0
	.set _ZN9rocsparseL19gebsrmvn_4xn_kernelILj128ELj7ELj32EfEEvi20rocsparse_direction_NS_24const_host_device_scalarIT2_EEPKiS6_PKS3_S8_S4_PS3_21rocsparse_index_base_b.has_dyn_sized_stack, 0
	.set _ZN9rocsparseL19gebsrmvn_4xn_kernelILj128ELj7ELj32EfEEvi20rocsparse_direction_NS_24const_host_device_scalarIT2_EEPKiS6_PKS3_S8_S4_PS3_21rocsparse_index_base_b.has_recursion, 0
	.set _ZN9rocsparseL19gebsrmvn_4xn_kernelILj128ELj7ELj32EfEEvi20rocsparse_direction_NS_24const_host_device_scalarIT2_EEPKiS6_PKS3_S8_S4_PS3_21rocsparse_index_base_b.has_indirect_call, 0
	.section	.AMDGPU.csdata,"",@progbits
; Kernel info:
; codeLenInByte = 2404
; TotalNumSgprs: 20
; NumVgprs: 56
; ScratchSize: 0
; MemoryBound: 0
; FloatMode: 240
; IeeeMode: 1
; LDSByteSize: 0 bytes/workgroup (compile time only)
; SGPRBlocks: 0
; VGPRBlocks: 3
; NumSGPRsForWavesPerEU: 20
; NumVGPRsForWavesPerEU: 56
; NamedBarCnt: 0
; Occupancy: 16
; WaveLimiterHint : 1
; COMPUTE_PGM_RSRC2:SCRATCH_EN: 0
; COMPUTE_PGM_RSRC2:USER_SGPR: 2
; COMPUTE_PGM_RSRC2:TRAP_HANDLER: 0
; COMPUTE_PGM_RSRC2:TGID_X_EN: 1
; COMPUTE_PGM_RSRC2:TGID_Y_EN: 0
; COMPUTE_PGM_RSRC2:TGID_Z_EN: 0
; COMPUTE_PGM_RSRC2:TIDIG_COMP_CNT: 0
	.section	.text._ZN9rocsparseL19gebsrmvn_4xn_kernelILj128ELj7ELj64EfEEvi20rocsparse_direction_NS_24const_host_device_scalarIT2_EEPKiS6_PKS3_S8_S4_PS3_21rocsparse_index_base_b,"axG",@progbits,_ZN9rocsparseL19gebsrmvn_4xn_kernelILj128ELj7ELj64EfEEvi20rocsparse_direction_NS_24const_host_device_scalarIT2_EEPKiS6_PKS3_S8_S4_PS3_21rocsparse_index_base_b,comdat
	.globl	_ZN9rocsparseL19gebsrmvn_4xn_kernelILj128ELj7ELj64EfEEvi20rocsparse_direction_NS_24const_host_device_scalarIT2_EEPKiS6_PKS3_S8_S4_PS3_21rocsparse_index_base_b ; -- Begin function _ZN9rocsparseL19gebsrmvn_4xn_kernelILj128ELj7ELj64EfEEvi20rocsparse_direction_NS_24const_host_device_scalarIT2_EEPKiS6_PKS3_S8_S4_PS3_21rocsparse_index_base_b
	.p2align	8
	.type	_ZN9rocsparseL19gebsrmvn_4xn_kernelILj128ELj7ELj64EfEEvi20rocsparse_direction_NS_24const_host_device_scalarIT2_EEPKiS6_PKS3_S8_S4_PS3_21rocsparse_index_base_b,@function
_ZN9rocsparseL19gebsrmvn_4xn_kernelILj128ELj7ELj64EfEEvi20rocsparse_direction_NS_24const_host_device_scalarIT2_EEPKiS6_PKS3_S8_S4_PS3_21rocsparse_index_base_b: ; @_ZN9rocsparseL19gebsrmvn_4xn_kernelILj128ELj7ELj64EfEEvi20rocsparse_direction_NS_24const_host_device_scalarIT2_EEPKiS6_PKS3_S8_S4_PS3_21rocsparse_index_base_b
; %bb.0:
	s_clause 0x2
	s_load_b64 s[16:17], s[0:1], 0x40
	s_load_b64 s[14:15], s[0:1], 0x8
	;; [unrolled: 1-line block ×3, first 2 shown]
	s_wait_kmcnt 0x0
	s_bitcmp1_b32 s17, 0
	s_cselect_b32 s2, -1, 0
	s_delay_alu instid0(SALU_CYCLE_1)
	s_and_b32 vcc_lo, exec_lo, s2
	s_xor_b32 s2, s2, -1
	s_cbranch_vccnz .LBB29_2
; %bb.1:
	s_load_b32 s14, s[14:15], 0x0
.LBB29_2:
	s_and_not1_b32 vcc_lo, exec_lo, s2
	s_cbranch_vccnz .LBB29_4
; %bb.3:
	s_load_b32 s12, s[12:13], 0x0
.LBB29_4:
	s_wait_kmcnt 0x0
	s_cmp_eq_f32 s14, 0
	s_cselect_b32 s2, -1, 0
	s_cmp_eq_f32 s12, 1.0
	s_cselect_b32 s3, -1, 0
	s_delay_alu instid0(SALU_CYCLE_1) | instskip(NEXT) | instid1(SALU_CYCLE_1)
	s_and_b32 s2, s2, s3
	s_and_b32 vcc_lo, exec_lo, s2
	s_cbranch_vccnz .LBB29_23
; %bb.5:
	s_load_b64 s[2:3], s[0:1], 0x0
	s_bfe_u32 s4, ttmp6, 0x4000c
	s_and_b32 s5, ttmp6, 15
	s_add_co_i32 s4, s4, 1
	s_getreg_b32 s6, hwreg(HW_REG_IB_STS2, 6, 4)
	s_mul_i32 s4, ttmp9, s4
	v_lshrrev_b32_e32 v1, 6, v0
	s_add_co_i32 s5, s5, s4
	s_cmp_eq_u32 s6, 0
	s_cselect_b32 s4, ttmp9, s5
	s_delay_alu instid0(VALU_DEP_1) | instid1(SALU_CYCLE_1)
	v_lshl_or_b32 v2, s4, 1, v1
	s_wait_kmcnt 0x0
	s_delay_alu instid0(VALU_DEP_1)
	v_cmp_gt_i32_e32 vcc_lo, s2, v2
	s_and_saveexec_b32 s2, vcc_lo
	s_cbranch_execz .LBB29_23
; %bb.6:
	s_load_b256 s[4:11], s[0:1], 0x10
	v_ashrrev_i32_e32 v3, 31, v2
	s_cmp_lg_u32 s3, 0
	s_wait_kmcnt 0x0
	s_delay_alu instid0(VALU_DEP_1)
	v_lshl_add_u64 v[4:5], v[2:3], 2, s[4:5]
	v_and_b32_e32 v3, 63, v0
	global_load_b64 v[4:5], v[4:5], off
	s_wait_loadcnt 0x0
	v_subrev_nc_u32_e32 v0, s16, v4
	v_subrev_nc_u32_e32 v10, s16, v5
	s_delay_alu instid0(VALU_DEP_2) | instskip(NEXT) | instid1(VALU_DEP_1)
	v_add_nc_u32_e32 v11, v0, v3
	v_cmp_lt_i32_e64 s2, v11, v10
	s_cbranch_scc0 .LBB29_12
; %bb.7:
	v_mov_b32_e32 v1, 0
	s_delay_alu instid0(VALU_DEP_1)
	v_dual_mov_b32 v0, v1 :: v_dual_mov_b32 v5, v1
	v_mov_b32_e32 v4, v1
	s_and_saveexec_b32 s3, s2
	s_cbranch_execz .LBB29_11
; %bb.8:
	v_mad_u32 v8, v11, 28, 24
	v_dual_mov_b32 v7, 0 :: v_dual_mov_b32 v12, v11
	s_mov_b32 s4, 0
	s_delay_alu instid0(VALU_DEP_1)
	v_dual_mov_b32 v0, v7 :: v_dual_mov_b32 v1, v7
	v_dual_mov_b32 v4, v7 :: v_dual_mov_b32 v5, v7
.LBB29_9:                               ; =>This Inner Loop Header: Depth=1
	global_load_b32 v13, v12, s[6:7] scale_offset
	v_subrev_nc_u32_e32 v6, 24, v8
	s_wait_xcnt 0x0
	v_dual_mov_b32 v9, v7 :: v_dual_add_nc_u32 v12, 64, v12
	s_delay_alu instid0(VALU_DEP_2) | instskip(SKIP_1) | instid1(VALU_DEP_3)
	v_lshl_add_u64 v[22:23], v[6:7], 2, s[8:9]
	v_subrev_nc_u32_e32 v6, 20, v8
	v_cmp_ge_i32_e32 vcc_lo, v12, v10
	s_delay_alu instid0(VALU_DEP_2)
	v_lshl_add_u64 v[24:25], v[6:7], 2, s[8:9]
	v_add_nc_u32_e32 v6, -16, v8
	s_clause 0x1
	global_load_b128 v[14:17], v[22:23], off
	global_load_b128 v[18:21], v[24:25], off
	v_lshl_add_u64 v[50:51], v[8:9], 2, s[8:9]
	s_wait_xcnt 0x1
	v_lshl_add_u64 v[22:23], v[6:7], 2, s[8:9]
	s_or_b32 s4, vcc_lo, s4
	global_load_b128 v[22:25], v[22:23], off
	s_wait_loadcnt 0x3
	v_subrev_nc_u32_e32 v13, s16, v13
	s_delay_alu instid0(VALU_DEP_1) | instskip(NEXT) | instid1(VALU_DEP_1)
	v_mul_lo_u32 v13, v13, 7
	v_dual_add_nc_u32 v6, -12, v8 :: v_dual_add_nc_u32 v28, 1, v13
	global_load_b32 v42, v13, s[10:11] scale_offset
	v_add_nc_u32_e32 v30, 2, v13
	v_lshl_add_u64 v[26:27], v[6:7], 2, s[8:9]
	v_add_nc_u32_e32 v6, -8, v8
	global_load_b32 v44, v28, s[10:11] scale_offset
	v_add_nc_u32_e32 v36, 3, v13
	global_load_b32 v46, v30, s[10:11] scale_offset
	global_load_b128 v[26:29], v[26:27], off
	v_lshl_add_u64 v[34:35], v[6:7], 2, s[8:9]
	v_dual_add_nc_u32 v6, -4, v8 :: v_dual_add_nc_u32 v37, 4, v13
	v_add_nc_u32_e32 v43, 5, v13
	global_load_b32 v48, v36, s[10:11] scale_offset
	global_load_b128 v[30:33], v[34:35], off
	v_add_nc_u32_e32 v9, 6, v13
	s_wait_xcnt 0x0
	v_lshl_add_u64 v[34:35], v[6:7], 2, s[8:9]
	global_load_b32 v6, v37, s[10:11] scale_offset
	v_add_nc_u32_e32 v8, 0x700, v8
	global_load_b128 v[34:37], v[34:35], off
	global_load_b32 v52, v43, s[10:11] scale_offset
	global_load_b128 v[38:41], v[50:51], off
	global_load_b32 v54, v9, s[10:11] scale_offset
	s_wait_loadcnt 0xa
	v_pk_fma_f32 v[4:5], v[14:15], v[42:43], v[4:5] op_sel_hi:[1,0,1]
	v_pk_fma_f32 v[0:1], v[16:17], v[42:43], v[0:1] op_sel_hi:[1,0,1]
	s_wait_loadcnt 0x9
	s_delay_alu instid0(VALU_DEP_2) | instskip(NEXT) | instid1(VALU_DEP_2)
	v_pk_fma_f32 v[4:5], v[18:19], v[44:45], v[4:5] op_sel_hi:[1,0,1]
	v_pk_fma_f32 v[0:1], v[20:21], v[44:45], v[0:1] op_sel_hi:[1,0,1]
	s_wait_loadcnt 0x8
	s_delay_alu instid0(VALU_DEP_2) | instskip(NEXT) | instid1(VALU_DEP_2)
	;; [unrolled: 4-line block ×6, first 2 shown]
	v_pk_fma_f32 v[4:5], v[38:39], v[54:55], v[4:5] op_sel_hi:[1,0,1]
	v_pk_fma_f32 v[0:1], v[40:41], v[54:55], v[0:1] op_sel_hi:[1,0,1]
	s_and_not1_b32 exec_lo, exec_lo, s4
	s_cbranch_execnz .LBB29_9
; %bb.10:
	s_or_b32 exec_lo, exec_lo, s4
.LBB29_11:
	s_delay_alu instid0(SALU_CYCLE_1)
	s_or_b32 exec_lo, exec_lo, s3
	s_cbranch_execz .LBB29_13
	s_branch .LBB29_18
.LBB29_12:
                                        ; implicit-def: $vgpr1
                                        ; implicit-def: $vgpr5
.LBB29_13:
	v_mov_b32_e32 v1, 0
	s_delay_alu instid0(VALU_DEP_1)
	v_dual_mov_b32 v0, v1 :: v_dual_mov_b32 v5, v1
	v_mov_b32_e32 v4, v1
	s_and_saveexec_b32 s3, s2
	s_cbranch_execz .LBB29_17
; %bb.14:
	v_mad_u32 v8, v11, 28, 27
	v_mov_b32_e32 v7, 0
	s_mov_b32 s2, 0
	s_delay_alu instid0(VALU_DEP_1)
	v_dual_mov_b32 v0, v7 :: v_dual_mov_b32 v1, v7
	v_dual_mov_b32 v4, v7 :: v_dual_mov_b32 v5, v7
.LBB29_15:                              ; =>This Inner Loop Header: Depth=1
	global_load_b32 v9, v11, s[6:7] scale_offset
	v_subrev_nc_u32_e32 v6, 27, v8
	v_subrev_nc_u32_e32 v12, 19, v8
	v_subrev_nc_u32_e32 v15, 18, v8
	v_dual_add_nc_u32 v25, -11, v8 :: v_dual_add_nc_u32 v29, -4, v8
	s_delay_alu instid0(VALU_DEP_4)
	v_lshl_add_u64 v[16:17], v[6:7], 2, s[8:9]
	v_dual_add_nc_u32 v13, -12, v8 :: v_dual_add_nc_u32 v14, -5, v8
	v_subrev_nc_u32_e32 v30, 17, v8
	v_dual_add_nc_u32 v34, -10, v8 :: v_dual_add_nc_u32 v35, -3, v8
	v_subrev_nc_u32_e32 v18, 20, v8
	v_dual_add_nc_u32 v22, -13, v8 :: v_dual_add_nc_u32 v26, -6, v8
	s_clause 0x4
	global_load_b32 v19, v12, s[8:9] scale_offset
	global_load_b32 v20, v13, s[8:9] scale_offset
	;; [unrolled: 1-line block ×5, first 2 shown]
	v_subrev_nc_u32_e32 v36, 23, v8
	v_dual_add_nc_u32 v37, -16, v8 :: v_dual_add_nc_u32 v38, -9, v8
	v_dual_add_nc_u32 v39, -2, v8 :: v_dual_add_nc_u32 v41, -15, v8
	v_subrev_nc_u32_e32 v40, 22, v8
	v_dual_add_nc_u32 v43, -8, v8 :: v_dual_add_nc_u32 v45, -1, v8
	v_subrev_nc_u32_e32 v47, 21, v8
	v_dual_add_nc_u32 v49, -14, v8 :: v_dual_add_nc_u32 v53, -7, v8
	s_wait_xcnt 0x5
	v_add_nc_u32_e32 v11, 64, v11
	s_delay_alu instid0(VALU_DEP_1) | instskip(SKIP_3) | instid1(VALU_DEP_1)
	v_cmp_ge_i32_e32 vcc_lo, v11, v10
	s_or_b32 s2, vcc_lo, s2
	s_wait_loadcnt 0x5
	v_subrev_nc_u32_e32 v6, s16, v9
	v_mul_lo_u32 v9, v6, 7
	s_clause 0x6
	global_load_b32 v25, v29, s[8:9] scale_offset
	global_load_b32 v27, v30, s[8:9] scale_offset
	global_load_b32 v28, v34, s[8:9] scale_offset
	global_load_b32 v31, v18, s[8:9] scale_offset
	global_load_b128 v[12:15], v[16:17], off
	global_load_b32 v32, v22, s[8:9] scale_offset
	global_load_b32 v33, v26, s[8:9] scale_offset
	global_load_b32 v6, v9, s[10:11] scale_offset
	s_clause 0x1
	global_load_b32 v29, v35, s[8:9] scale_offset
	global_load_b32 v16, v36, s[8:9] scale_offset
	s_wait_xcnt 0x4
	v_dual_add_nc_u32 v18, 1, v9 :: v_dual_add_nc_u32 v22, 2, v9
	global_load_b32 v26, v18, s[10:11] scale_offset
	s_clause 0x1
	global_load_b32 v17, v37, s[8:9] scale_offset
	global_load_b32 v34, v38, s[8:9] scale_offset
	s_wait_xcnt 0x2
	v_add_nc_u32_e32 v18, 3, v9
	global_load_b32 v36, v22, s[10:11] scale_offset
	s_clause 0x1
	global_load_b32 v35, v39, s[8:9] scale_offset
	global_load_b32 v38, v40, s[8:9] scale_offset
	s_wait_xcnt 0x2
	v_add_nc_u32_e32 v22, 4, v9
	global_load_b32 v40, v18, s[10:11] scale_offset
	s_clause 0x1
	global_load_b32 v39, v41, s[8:9] scale_offset
	global_load_b32 v42, v43, s[8:9] scale_offset
	;; [unrolled: 1-line block ×3, first 2 shown]
	s_clause 0x1
	global_load_b32 v43, v45, s[8:9] scale_offset
	global_load_b32 v46, v47, s[8:9] scale_offset
	v_dual_add_nc_u32 v18, 5, v9 :: v_dual_add_nc_u32 v9, 6, v9
	global_load_b32 v48, v18, s[10:11] scale_offset
	s_clause 0x2
	global_load_b32 v47, v49, s[8:9] scale_offset
	global_load_b32 v50, v53, s[8:9] scale_offset
	;; [unrolled: 1-line block ×4, first 2 shown]
	s_wait_xcnt 0x1
	v_add_nc_u32_e32 v8, 0x700, v8
	s_wait_loadcnt 0x16
	v_dual_mov_b32 v30, v12 :: v_dual_mov_b32 v18, v13
	v_mov_b32_e32 v22, v14
	s_wait_loadcnt 0x13
	v_pk_fma_f32 v[0:1], v[32:33], v[6:7], v[0:1] op_sel_hi:[1,0,1]
	s_delay_alu instid0(VALU_DEP_3) | instskip(SKIP_1) | instid1(VALU_DEP_1)
	v_pk_fma_f32 v[4:5], v[30:31], v[6:7], v[4:5] op_sel_hi:[1,0,1]
	s_wait_loadcnt 0x10
	v_pk_fma_f32 v[4:5], v[18:19], v[26:27], v[4:5] op_sel_hi:[1,0,1]
	s_delay_alu instid0(VALU_DEP_3) | instskip(SKIP_2) | instid1(VALU_DEP_3)
	v_pk_fma_f32 v[0:1], v[20:21], v[26:27], v[0:1] op_sel_hi:[1,0,1]
	v_mov_b32_e32 v26, v15
	s_wait_loadcnt 0xd
	v_pk_fma_f32 v[4:5], v[22:23], v[36:37], v[4:5] op_sel_hi:[1,0,1]
	s_delay_alu instid0(VALU_DEP_3) | instskip(SKIP_1) | instid1(VALU_DEP_2)
	v_pk_fma_f32 v[0:1], v[24:25], v[36:37], v[0:1] op_sel_hi:[1,0,1]
	s_wait_loadcnt 0xa
	v_pk_fma_f32 v[4:5], v[26:27], v[40:41], v[4:5] op_sel_hi:[1,0,1]
	s_delay_alu instid0(VALU_DEP_2) | instskip(SKIP_1) | instid1(VALU_DEP_2)
	v_pk_fma_f32 v[0:1], v[28:29], v[40:41], v[0:1] op_sel_hi:[1,0,1]
	s_wait_loadcnt 0x7
	v_pk_fma_f32 v[4:5], v[16:17], v[44:45], v[4:5] op_sel_hi:[1,0,1]
	s_delay_alu instid0(VALU_DEP_2) | instskip(SKIP_1) | instid1(VALU_DEP_2)
	;; [unrolled: 4-line block ×3, first 2 shown]
	v_pk_fma_f32 v[0:1], v[42:43], v[48:49], v[0:1] op_sel_hi:[1,0,1]
	s_wait_loadcnt 0x0
	v_pk_fma_f32 v[4:5], v[46:47], v[52:53], v[4:5] op_sel_hi:[1,0,1]
	s_delay_alu instid0(VALU_DEP_2)
	v_pk_fma_f32 v[0:1], v[50:51], v[52:53], v[0:1] op_sel_hi:[1,0,1]
	s_and_not1_b32 exec_lo, exec_lo, s2
	s_cbranch_execnz .LBB29_15
; %bb.16:
	s_or_b32 exec_lo, exec_lo, s2
.LBB29_17:
	s_delay_alu instid0(SALU_CYCLE_1)
	s_or_b32 exec_lo, exec_lo, s3
.LBB29_18:
	v_mbcnt_lo_u32_b32 v10, -1, 0
	s_mov_b32 s2, -1
	s_delay_alu instid0(VALU_DEP_1) | instskip(SKIP_1) | instid1(VALU_DEP_1)
	v_xor_b32_e32 v11, 16, v10
	v_or_b32_e32 v6, 32, v10
	v_cmp_gt_i32_e32 vcc_lo, 32, v6
	v_cndmask_b32_e32 v6, v10, v6, vcc_lo
	s_delay_alu instid0(VALU_DEP_4) | instskip(SKIP_1) | instid1(VALU_DEP_1)
	v_cmp_gt_i32_e32 vcc_lo, 32, v11
	v_cndmask_b32_e32 v11, v10, v11, vcc_lo
	v_dual_lshlrev_b32 v11, 2, v11 :: v_dual_lshlrev_b32 v9, 2, v6
	ds_bpermute_b32 v6, v9, v4
	ds_bpermute_b32 v7, v9, v5
	;; [unrolled: 1-line block ×4, first 2 shown]
	s_wait_dscnt 0x2
	v_pk_add_f32 v[4:5], v[4:5], v[6:7]
	s_wait_dscnt 0x0
	v_pk_add_f32 v[0:1], v[0:1], v[8:9]
	ds_bpermute_b32 v6, v11, v4
	ds_bpermute_b32 v7, v11, v5
	ds_bpermute_b32 v8, v11, v0
	ds_bpermute_b32 v9, v11, v1
	v_xor_b32_e32 v11, 8, v10
	s_delay_alu instid0(VALU_DEP_1) | instskip(SKIP_1) | instid1(VALU_DEP_1)
	v_cmp_gt_i32_e32 vcc_lo, 32, v11
	v_cndmask_b32_e32 v11, v10, v11, vcc_lo
	v_lshlrev_b32_e32 v11, 2, v11
	s_wait_dscnt 0x2
	v_pk_add_f32 v[4:5], v[4:5], v[6:7]
	s_wait_dscnt 0x0
	v_pk_add_f32 v[0:1], v[0:1], v[8:9]
	ds_bpermute_b32 v6, v11, v4
	ds_bpermute_b32 v7, v11, v5
	ds_bpermute_b32 v8, v11, v0
	ds_bpermute_b32 v9, v11, v1
	v_xor_b32_e32 v11, 4, v10
	s_delay_alu instid0(VALU_DEP_1) | instskip(SKIP_1) | instid1(VALU_DEP_1)
	v_cmp_gt_i32_e32 vcc_lo, 32, v11
	v_cndmask_b32_e32 v11, v10, v11, vcc_lo
	v_lshlrev_b32_e32 v11, 2, v11
	;; [unrolled: 13-line block ×3, first 2 shown]
	s_wait_dscnt 0x2
	v_pk_add_f32 v[4:5], v[4:5], v[6:7]
	s_wait_dscnt 0x0
	v_pk_add_f32 v[6:7], v[0:1], v[8:9]
	ds_bpermute_b32 v0, v11, v4
	ds_bpermute_b32 v1, v11, v5
	;; [unrolled: 1-line block ×4, first 2 shown]
	v_xor_b32_e32 v11, 1, v10
	s_delay_alu instid0(VALU_DEP_1) | instskip(SKIP_2) | instid1(VALU_DEP_2)
	v_cmp_gt_i32_e32 vcc_lo, 32, v11
	v_cndmask_b32_e32 v10, v10, v11, vcc_lo
	v_cmp_eq_u32_e32 vcc_lo, 63, v3
	v_lshlrev_b32_e32 v10, 2, v10
	s_wait_dscnt 0x2
	v_pk_add_f32 v[0:1], v[4:5], v[0:1]
	s_wait_dscnt 0x0
	v_pk_add_f32 v[6:7], v[6:7], v[8:9]
	ds_bpermute_b32 v4, v10, v0
	ds_bpermute_b32 v5, v10, v1
	;; [unrolled: 1-line block ×4, first 2 shown]
	s_and_b32 exec_lo, exec_lo, vcc_lo
	s_cbranch_execz .LBB29_23
; %bb.19:
	s_load_b64 s[0:1], s[0:1], 0x38
	s_wait_dscnt 0x2
	v_pk_add_f32 v[4:5], v[0:1], v[4:5]
	s_wait_dscnt 0x0
	v_pk_add_f32 v[0:1], v[6:7], v[8:9]
	v_lshlrev_b32_e32 v2, 2, v2
	s_cmp_eq_f32 s12, 0
	s_cbranch_scc0 .LBB29_21
; %bb.20:
	s_delay_alu instid0(VALU_DEP_1)
	v_ashrrev_i32_e32 v3, 31, v2
	v_pk_mul_f32 v[6:7], s[14:15], v[4:5] op_sel_hi:[0,1]
	v_pk_mul_f32 v[8:9], s[14:15], v[0:1] op_sel_hi:[0,1]
	s_mov_b32 s2, 0
	s_wait_kmcnt 0x0
	v_lshl_add_u64 v[10:11], v[2:3], 2, s[0:1]
	global_store_b128 v[10:11], v[6:9], off
.LBB29_21:
	s_and_not1_b32 vcc_lo, exec_lo, s2
	s_cbranch_vccnz .LBB29_23
; %bb.22:
	v_ashrrev_i32_e32 v3, 31, v2
	s_wait_kmcnt 0x0
	s_delay_alu instid0(VALU_DEP_1)
	v_lshl_add_u64 v[10:11], v[2:3], 2, s[0:1]
	v_pk_mul_f32 v[2:3], s[14:15], v[4:5] op_sel_hi:[0,1]
	v_pk_mul_f32 v[4:5], s[14:15], v[0:1] op_sel_hi:[0,1]
	global_load_b128 v[6:9], v[10:11], off
	s_wait_loadcnt 0x0
	v_pk_fma_f32 v[0:1], s[12:13], v[6:7], v[2:3] op_sel_hi:[0,1,1]
	v_pk_fma_f32 v[2:3], s[12:13], v[8:9], v[4:5] op_sel_hi:[0,1,1]
	global_store_b128 v[10:11], v[0:3], off
.LBB29_23:
	s_endpgm
	.section	.rodata,"a",@progbits
	.p2align	6, 0x0
	.amdhsa_kernel _ZN9rocsparseL19gebsrmvn_4xn_kernelILj128ELj7ELj64EfEEvi20rocsparse_direction_NS_24const_host_device_scalarIT2_EEPKiS6_PKS3_S8_S4_PS3_21rocsparse_index_base_b
		.amdhsa_group_segment_fixed_size 0
		.amdhsa_private_segment_fixed_size 0
		.amdhsa_kernarg_size 72
		.amdhsa_user_sgpr_count 2
		.amdhsa_user_sgpr_dispatch_ptr 0
		.amdhsa_user_sgpr_queue_ptr 0
		.amdhsa_user_sgpr_kernarg_segment_ptr 1
		.amdhsa_user_sgpr_dispatch_id 0
		.amdhsa_user_sgpr_kernarg_preload_length 0
		.amdhsa_user_sgpr_kernarg_preload_offset 0
		.amdhsa_user_sgpr_private_segment_size 0
		.amdhsa_wavefront_size32 1
		.amdhsa_uses_dynamic_stack 0
		.amdhsa_enable_private_segment 0
		.amdhsa_system_sgpr_workgroup_id_x 1
		.amdhsa_system_sgpr_workgroup_id_y 0
		.amdhsa_system_sgpr_workgroup_id_z 0
		.amdhsa_system_sgpr_workgroup_info 0
		.amdhsa_system_vgpr_workitem_id 0
		.amdhsa_next_free_vgpr 56
		.amdhsa_next_free_sgpr 18
		.amdhsa_named_barrier_count 0
		.amdhsa_reserve_vcc 1
		.amdhsa_float_round_mode_32 0
		.amdhsa_float_round_mode_16_64 0
		.amdhsa_float_denorm_mode_32 3
		.amdhsa_float_denorm_mode_16_64 3
		.amdhsa_fp16_overflow 0
		.amdhsa_memory_ordered 1
		.amdhsa_forward_progress 1
		.amdhsa_inst_pref_size 20
		.amdhsa_round_robin_scheduling 0
		.amdhsa_exception_fp_ieee_invalid_op 0
		.amdhsa_exception_fp_denorm_src 0
		.amdhsa_exception_fp_ieee_div_zero 0
		.amdhsa_exception_fp_ieee_overflow 0
		.amdhsa_exception_fp_ieee_underflow 0
		.amdhsa_exception_fp_ieee_inexact 0
		.amdhsa_exception_int_div_zero 0
	.end_amdhsa_kernel
	.section	.text._ZN9rocsparseL19gebsrmvn_4xn_kernelILj128ELj7ELj64EfEEvi20rocsparse_direction_NS_24const_host_device_scalarIT2_EEPKiS6_PKS3_S8_S4_PS3_21rocsparse_index_base_b,"axG",@progbits,_ZN9rocsparseL19gebsrmvn_4xn_kernelILj128ELj7ELj64EfEEvi20rocsparse_direction_NS_24const_host_device_scalarIT2_EEPKiS6_PKS3_S8_S4_PS3_21rocsparse_index_base_b,comdat
.Lfunc_end29:
	.size	_ZN9rocsparseL19gebsrmvn_4xn_kernelILj128ELj7ELj64EfEEvi20rocsparse_direction_NS_24const_host_device_scalarIT2_EEPKiS6_PKS3_S8_S4_PS3_21rocsparse_index_base_b, .Lfunc_end29-_ZN9rocsparseL19gebsrmvn_4xn_kernelILj128ELj7ELj64EfEEvi20rocsparse_direction_NS_24const_host_device_scalarIT2_EEPKiS6_PKS3_S8_S4_PS3_21rocsparse_index_base_b
                                        ; -- End function
	.set _ZN9rocsparseL19gebsrmvn_4xn_kernelILj128ELj7ELj64EfEEvi20rocsparse_direction_NS_24const_host_device_scalarIT2_EEPKiS6_PKS3_S8_S4_PS3_21rocsparse_index_base_b.num_vgpr, 56
	.set _ZN9rocsparseL19gebsrmvn_4xn_kernelILj128ELj7ELj64EfEEvi20rocsparse_direction_NS_24const_host_device_scalarIT2_EEPKiS6_PKS3_S8_S4_PS3_21rocsparse_index_base_b.num_agpr, 0
	.set _ZN9rocsparseL19gebsrmvn_4xn_kernelILj128ELj7ELj64EfEEvi20rocsparse_direction_NS_24const_host_device_scalarIT2_EEPKiS6_PKS3_S8_S4_PS3_21rocsparse_index_base_b.numbered_sgpr, 18
	.set _ZN9rocsparseL19gebsrmvn_4xn_kernelILj128ELj7ELj64EfEEvi20rocsparse_direction_NS_24const_host_device_scalarIT2_EEPKiS6_PKS3_S8_S4_PS3_21rocsparse_index_base_b.num_named_barrier, 0
	.set _ZN9rocsparseL19gebsrmvn_4xn_kernelILj128ELj7ELj64EfEEvi20rocsparse_direction_NS_24const_host_device_scalarIT2_EEPKiS6_PKS3_S8_S4_PS3_21rocsparse_index_base_b.private_seg_size, 0
	.set _ZN9rocsparseL19gebsrmvn_4xn_kernelILj128ELj7ELj64EfEEvi20rocsparse_direction_NS_24const_host_device_scalarIT2_EEPKiS6_PKS3_S8_S4_PS3_21rocsparse_index_base_b.uses_vcc, 1
	.set _ZN9rocsparseL19gebsrmvn_4xn_kernelILj128ELj7ELj64EfEEvi20rocsparse_direction_NS_24const_host_device_scalarIT2_EEPKiS6_PKS3_S8_S4_PS3_21rocsparse_index_base_b.uses_flat_scratch, 0
	.set _ZN9rocsparseL19gebsrmvn_4xn_kernelILj128ELj7ELj64EfEEvi20rocsparse_direction_NS_24const_host_device_scalarIT2_EEPKiS6_PKS3_S8_S4_PS3_21rocsparse_index_base_b.has_dyn_sized_stack, 0
	.set _ZN9rocsparseL19gebsrmvn_4xn_kernelILj128ELj7ELj64EfEEvi20rocsparse_direction_NS_24const_host_device_scalarIT2_EEPKiS6_PKS3_S8_S4_PS3_21rocsparse_index_base_b.has_recursion, 0
	.set _ZN9rocsparseL19gebsrmvn_4xn_kernelILj128ELj7ELj64EfEEvi20rocsparse_direction_NS_24const_host_device_scalarIT2_EEPKiS6_PKS3_S8_S4_PS3_21rocsparse_index_base_b.has_indirect_call, 0
	.section	.AMDGPU.csdata,"",@progbits
; Kernel info:
; codeLenInByte = 2480
; TotalNumSgprs: 20
; NumVgprs: 56
; ScratchSize: 0
; MemoryBound: 0
; FloatMode: 240
; IeeeMode: 1
; LDSByteSize: 0 bytes/workgroup (compile time only)
; SGPRBlocks: 0
; VGPRBlocks: 3
; NumSGPRsForWavesPerEU: 20
; NumVGPRsForWavesPerEU: 56
; NamedBarCnt: 0
; Occupancy: 16
; WaveLimiterHint : 1
; COMPUTE_PGM_RSRC2:SCRATCH_EN: 0
; COMPUTE_PGM_RSRC2:USER_SGPR: 2
; COMPUTE_PGM_RSRC2:TRAP_HANDLER: 0
; COMPUTE_PGM_RSRC2:TGID_X_EN: 1
; COMPUTE_PGM_RSRC2:TGID_Y_EN: 0
; COMPUTE_PGM_RSRC2:TGID_Z_EN: 0
; COMPUTE_PGM_RSRC2:TIDIG_COMP_CNT: 0
	.section	.text._ZN9rocsparseL19gebsrmvn_4xn_kernelILj128ELj8ELj4EfEEvi20rocsparse_direction_NS_24const_host_device_scalarIT2_EEPKiS6_PKS3_S8_S4_PS3_21rocsparse_index_base_b,"axG",@progbits,_ZN9rocsparseL19gebsrmvn_4xn_kernelILj128ELj8ELj4EfEEvi20rocsparse_direction_NS_24const_host_device_scalarIT2_EEPKiS6_PKS3_S8_S4_PS3_21rocsparse_index_base_b,comdat
	.globl	_ZN9rocsparseL19gebsrmvn_4xn_kernelILj128ELj8ELj4EfEEvi20rocsparse_direction_NS_24const_host_device_scalarIT2_EEPKiS6_PKS3_S8_S4_PS3_21rocsparse_index_base_b ; -- Begin function _ZN9rocsparseL19gebsrmvn_4xn_kernelILj128ELj8ELj4EfEEvi20rocsparse_direction_NS_24const_host_device_scalarIT2_EEPKiS6_PKS3_S8_S4_PS3_21rocsparse_index_base_b
	.p2align	8
	.type	_ZN9rocsparseL19gebsrmvn_4xn_kernelILj128ELj8ELj4EfEEvi20rocsparse_direction_NS_24const_host_device_scalarIT2_EEPKiS6_PKS3_S8_S4_PS3_21rocsparse_index_base_b,@function
_ZN9rocsparseL19gebsrmvn_4xn_kernelILj128ELj8ELj4EfEEvi20rocsparse_direction_NS_24const_host_device_scalarIT2_EEPKiS6_PKS3_S8_S4_PS3_21rocsparse_index_base_b: ; @_ZN9rocsparseL19gebsrmvn_4xn_kernelILj128ELj8ELj4EfEEvi20rocsparse_direction_NS_24const_host_device_scalarIT2_EEPKiS6_PKS3_S8_S4_PS3_21rocsparse_index_base_b
; %bb.0:
	s_clause 0x2
	s_load_b64 s[16:17], s[0:1], 0x40
	s_load_b64 s[14:15], s[0:1], 0x8
	;; [unrolled: 1-line block ×3, first 2 shown]
	s_wait_kmcnt 0x0
	s_bitcmp1_b32 s17, 0
	s_cselect_b32 s2, -1, 0
	s_delay_alu instid0(SALU_CYCLE_1)
	s_and_b32 vcc_lo, exec_lo, s2
	s_xor_b32 s2, s2, -1
	s_cbranch_vccnz .LBB30_2
; %bb.1:
	s_load_b32 s14, s[14:15], 0x0
.LBB30_2:
	s_and_not1_b32 vcc_lo, exec_lo, s2
	s_cbranch_vccnz .LBB30_4
; %bb.3:
	s_load_b32 s12, s[12:13], 0x0
.LBB30_4:
	s_wait_kmcnt 0x0
	s_cmp_eq_f32 s14, 0
	s_cselect_b32 s2, -1, 0
	s_cmp_eq_f32 s12, 1.0
	s_cselect_b32 s3, -1, 0
	s_delay_alu instid0(SALU_CYCLE_1) | instskip(NEXT) | instid1(SALU_CYCLE_1)
	s_and_b32 s2, s2, s3
	s_and_b32 vcc_lo, exec_lo, s2
	s_cbranch_vccnz .LBB30_23
; %bb.5:
	s_load_b64 s[2:3], s[0:1], 0x0
	s_bfe_u32 s4, ttmp6, 0x4000c
	s_and_b32 s5, ttmp6, 15
	s_add_co_i32 s4, s4, 1
	s_getreg_b32 s6, hwreg(HW_REG_IB_STS2, 6, 4)
	s_mul_i32 s4, ttmp9, s4
	v_lshrrev_b32_e32 v1, 2, v0
	s_add_co_i32 s5, s5, s4
	s_cmp_eq_u32 s6, 0
	s_cselect_b32 s4, ttmp9, s5
	s_delay_alu instid0(VALU_DEP_1) | instid1(SALU_CYCLE_1)
	v_lshl_or_b32 v2, s4, 5, v1
	s_wait_kmcnt 0x0
	s_delay_alu instid0(VALU_DEP_1)
	v_cmp_gt_i32_e32 vcc_lo, s2, v2
	s_and_saveexec_b32 s2, vcc_lo
	s_cbranch_execz .LBB30_23
; %bb.6:
	s_load_b256 s[4:11], s[0:1], 0x10
	v_ashrrev_i32_e32 v3, 31, v2
	s_cmp_lg_u32 s3, 0
	s_wait_kmcnt 0x0
	s_delay_alu instid0(VALU_DEP_1)
	v_lshl_add_u64 v[4:5], v[2:3], 2, s[4:5]
	v_and_b32_e32 v3, 3, v0
	global_load_b64 v[4:5], v[4:5], off
	s_wait_loadcnt 0x0
	v_subrev_nc_u32_e32 v0, s16, v4
	v_subrev_nc_u32_e32 v8, s16, v5
	s_delay_alu instid0(VALU_DEP_2) | instskip(NEXT) | instid1(VALU_DEP_1)
	v_add_nc_u32_e32 v9, v0, v3
	v_cmp_lt_i32_e64 s2, v9, v8
	s_cbranch_scc0 .LBB30_12
; %bb.7:
	v_mov_b32_e32 v1, 0
	s_delay_alu instid0(VALU_DEP_1)
	v_dual_mov_b32 v0, v1 :: v_dual_mov_b32 v5, v1
	v_mov_b32_e32 v4, v1
	s_and_saveexec_b32 s3, s2
	s_cbranch_execz .LBB30_11
; %bb.8:
	v_dual_mov_b32 v7, 0 :: v_dual_lshlrev_b32 v6, 5, v9
	v_mov_b32_e32 v10, v9
	s_mov_b32 s4, 0
	s_delay_alu instid0(VALU_DEP_2)
	v_dual_mov_b32 v0, v7 :: v_dual_mov_b32 v1, v7
	v_dual_mov_b32 v4, v7 :: v_dual_mov_b32 v5, v7
.LBB30_9:                               ; =>This Inner Loop Header: Depth=1
	global_load_b32 v11, v10, s[6:7] scale_offset
	v_lshl_add_u64 v[52:53], v[6:7], 2, s[8:9]
	v_add_nc_u32_e32 v6, 0x80, v6
	s_wait_xcnt 0x0
	v_add_nc_u32_e32 v10, 4, v10
	s_delay_alu instid0(VALU_DEP_1) | instskip(SKIP_3) | instid1(VALU_DEP_1)
	v_cmp_ge_i32_e32 vcc_lo, v10, v8
	s_or_b32 s4, vcc_lo, s4
	s_wait_loadcnt 0x0
	v_subrev_nc_u32_e32 v11, s16, v11
	v_dual_mov_b32 v13, v7 :: v_dual_lshlrev_b32 v12, 3, v11
	s_delay_alu instid0(VALU_DEP_1)
	v_lshl_add_u64 v[54:55], v[12:13], 2, s[10:11]
	s_clause 0x1
	global_load_b128 v[12:15], v[52:53], off offset:16
	global_load_b128 v[16:19], v[52:53], off
	s_clause 0x1
	global_load_b128 v[20:23], v[54:55], off
	global_load_b128 v[24:27], v[54:55], off offset:16
	s_clause 0x5
	global_load_b128 v[28:31], v[52:53], off offset:32
	global_load_b128 v[32:35], v[52:53], off offset:48
	;; [unrolled: 1-line block ×6, first 2 shown]
	s_wait_loadcnt 0x7
	v_pk_fma_f32 v[4:5], v[16:17], v[20:21], v[4:5] op_sel_hi:[1,0,1]
	v_pk_fma_f32 v[0:1], v[18:19], v[20:21], v[0:1] op_sel_hi:[1,0,1]
	s_delay_alu instid0(VALU_DEP_2) | instskip(NEXT) | instid1(VALU_DEP_2)
	v_pk_fma_f32 v[4:5], v[12:13], v[20:21], v[4:5] op_sel:[0,1,0]
	v_pk_fma_f32 v[0:1], v[14:15], v[20:21], v[0:1] op_sel:[0,1,0]
	v_mov_b32_e32 v12, v23
	s_wait_loadcnt 0x5
	s_delay_alu instid0(VALU_DEP_3) | instskip(NEXT) | instid1(VALU_DEP_3)
	v_pk_fma_f32 v[4:5], v[28:29], v[22:23], v[4:5] op_sel_hi:[1,0,1]
	v_pk_fma_f32 v[0:1], v[30:31], v[22:23], v[0:1] op_sel_hi:[1,0,1]
	s_wait_loadcnt 0x4
	s_delay_alu instid0(VALU_DEP_2) | instskip(NEXT) | instid1(VALU_DEP_2)
	v_pk_fma_f32 v[4:5], v[32:33], v[12:13], v[4:5] op_sel_hi:[1,0,1]
	v_pk_fma_f32 v[0:1], v[34:35], v[12:13], v[0:1] op_sel_hi:[1,0,1]
	v_mov_b32_e32 v12, v27
	s_wait_loadcnt 0x3
	s_delay_alu instid0(VALU_DEP_3) | instskip(NEXT) | instid1(VALU_DEP_3)
	v_pk_fma_f32 v[4:5], v[36:37], v[24:25], v[4:5] op_sel_hi:[1,0,1]
	v_pk_fma_f32 v[0:1], v[38:39], v[24:25], v[0:1] op_sel_hi:[1,0,1]
	s_wait_loadcnt 0x2
	s_delay_alu instid0(VALU_DEP_2) | instskip(NEXT) | instid1(VALU_DEP_2)
	v_pk_fma_f32 v[4:5], v[40:41], v[24:25], v[4:5] op_sel:[0,1,0]
	v_pk_fma_f32 v[0:1], v[42:43], v[24:25], v[0:1] op_sel:[0,1,0]
	s_wait_loadcnt 0x1
	s_delay_alu instid0(VALU_DEP_2) | instskip(NEXT) | instid1(VALU_DEP_2)
	v_pk_fma_f32 v[4:5], v[44:45], v[26:27], v[4:5] op_sel_hi:[1,0,1]
	v_pk_fma_f32 v[0:1], v[46:47], v[26:27], v[0:1] op_sel_hi:[1,0,1]
	s_wait_loadcnt 0x0
	s_delay_alu instid0(VALU_DEP_2) | instskip(NEXT) | instid1(VALU_DEP_2)
	v_pk_fma_f32 v[4:5], v[48:49], v[12:13], v[4:5] op_sel_hi:[1,0,1]
	v_pk_fma_f32 v[0:1], v[50:51], v[12:13], v[0:1] op_sel_hi:[1,0,1]
	s_and_not1_b32 exec_lo, exec_lo, s4
	s_cbranch_execnz .LBB30_9
; %bb.10:
	s_or_b32 exec_lo, exec_lo, s4
.LBB30_11:
	s_delay_alu instid0(SALU_CYCLE_1)
	s_or_b32 exec_lo, exec_lo, s3
	s_cbranch_execz .LBB30_13
	s_branch .LBB30_18
.LBB30_12:
                                        ; implicit-def: $vgpr1
                                        ; implicit-def: $vgpr5
.LBB30_13:
	v_mov_b32_e32 v1, 0
	s_delay_alu instid0(VALU_DEP_1)
	v_dual_mov_b32 v0, v1 :: v_dual_mov_b32 v5, v1
	v_mov_b32_e32 v4, v1
	s_and_saveexec_b32 s3, s2
	s_cbranch_execz .LBB30_17
; %bb.14:
	v_dual_mov_b32 v7, 0 :: v_dual_lshlrev_b32 v6, 5, v9
	s_mov_b32 s2, 0
	s_delay_alu instid0(VALU_DEP_1)
	v_dual_mov_b32 v0, v7 :: v_dual_mov_b32 v1, v7
	v_dual_mov_b32 v4, v7 :: v_dual_mov_b32 v5, v7
.LBB30_15:                              ; =>This Inner Loop Header: Depth=1
	global_load_b32 v18, v9, s[6:7] scale_offset
	v_lshl_add_u64 v[42:43], v[6:7], 2, s[8:9]
	v_add_nc_u32_e32 v6, 0x80, v6
	s_clause 0x1
	global_load_b128 v[10:13], v[42:43], off offset:48
	global_load_b128 v[14:17], v[42:43], off offset:32
	s_wait_loadcnt 0x2
	v_subrev_nc_u32_e32 v30, s16, v18
	v_mov_b32_e32 v45, v7
	s_clause 0x2
	global_load_b128 v[18:21], v[42:43], off offset:16
	global_load_b128 v[22:25], v[42:43], off
	global_load_b128 v[26:29], v[42:43], off offset:112
	v_dual_add_nc_u32 v9, 4, v9 :: v_dual_lshlrev_b32 v44, 3, v30
	s_clause 0x2
	global_load_b128 v[30:33], v[42:43], off offset:96
	global_load_b128 v[34:37], v[42:43], off offset:80
	;; [unrolled: 1-line block ×3, first 2 shown]
	v_lshl_add_u64 v[50:51], v[44:45], 2, s[10:11]
	s_clause 0x1
	global_load_b128 v[42:45], v[50:51], off
	global_load_b128 v[46:49], v[50:51], off offset:16
	s_wait_loadcnt 0x6
	s_wait_xcnt 0x0
	v_dual_mov_b32 v51, v14 :: v_dual_mov_b32 v14, v23
	v_mov_b32_e32 v50, v22
	v_cmp_ge_i32_e32 vcc_lo, v9, v8
	s_wait_loadcnt 0x2
	v_dual_mov_b32 v23, v30 :: v_dual_mov_b32 v22, v38
	v_dual_mov_b32 v30, v39 :: v_dual_mov_b32 v38, v24
	;; [unrolled: 1-line block ×3, first 2 shown]
	s_or_b32 s2, vcc_lo, s2
	s_wait_loadcnt 0x1
	v_pk_fma_f32 v[4:5], v[50:51], v[42:43], v[4:5] op_sel_hi:[1,0,1]
	v_pk_fma_f32 v[0:1], v[22:23], v[42:43], v[0:1] op_sel_hi:[1,0,1]
	v_dual_mov_b32 v22, v40 :: v_dual_mov_b32 v23, v32
	v_mov_b32_e32 v32, v41
	s_delay_alu instid0(VALU_DEP_4) | instskip(NEXT) | instid1(VALU_DEP_4)
	v_pk_fma_f32 v[4:5], v[14:15], v[42:43], v[4:5] op_sel:[0,1,0]
	v_pk_fma_f32 v[0:1], v[30:31], v[42:43], v[0:1] op_sel:[0,1,0]
	v_dual_mov_b32 v14, v18 :: v_dual_mov_b32 v18, v45
	v_mov_b32_e32 v15, v10
	s_delay_alu instid0(VALU_DEP_4) | instskip(NEXT) | instid1(VALU_DEP_4)
	v_pk_fma_f32 v[4:5], v[38:39], v[44:45], v[4:5] op_sel_hi:[1,0,1]
	v_pk_fma_f32 v[0:1], v[22:23], v[44:45], v[0:1] op_sel_hi:[1,0,1]
	v_dual_mov_b32 v22, v34 :: v_dual_mov_b32 v23, v26
	v_mov_b32_e32 v10, v19
	s_delay_alu instid0(VALU_DEP_4) | instskip(NEXT) | instid1(VALU_DEP_4)
	v_pk_fma_f32 v[4:5], v[16:17], v[18:19], v[4:5] op_sel_hi:[1,0,1]
	v_pk_fma_f32 v[0:1], v[32:33], v[18:19], v[0:1] op_sel_hi:[1,0,1]
	v_dual_mov_b32 v26, v35 :: v_dual_mov_b32 v17, v12
	v_mov_b32_e32 v16, v20
	s_wait_loadcnt 0x0
	v_pk_fma_f32 v[4:5], v[14:15], v[46:47], v[4:5] op_sel_hi:[1,0,1]
	v_pk_fma_f32 v[0:1], v[22:23], v[46:47], v[0:1] op_sel_hi:[1,0,1]
	v_dual_mov_b32 v14, v36 :: v_dual_mov_b32 v15, v28
	v_dual_mov_b32 v12, v21 :: v_dual_mov_b32 v28, v37
	s_delay_alu instid0(VALU_DEP_4) | instskip(NEXT) | instid1(VALU_DEP_4)
	v_pk_fma_f32 v[4:5], v[10:11], v[46:47], v[4:5] op_sel:[0,1,0]
	v_pk_fma_f32 v[0:1], v[26:27], v[46:47], v[0:1] op_sel:[0,1,0]
	v_mov_b32_e32 v10, v49
	s_delay_alu instid0(VALU_DEP_3) | instskip(NEXT) | instid1(VALU_DEP_3)
	v_pk_fma_f32 v[4:5], v[16:17], v[48:49], v[4:5] op_sel_hi:[1,0,1]
	v_pk_fma_f32 v[0:1], v[14:15], v[48:49], v[0:1] op_sel_hi:[1,0,1]
	s_delay_alu instid0(VALU_DEP_2) | instskip(NEXT) | instid1(VALU_DEP_2)
	v_pk_fma_f32 v[4:5], v[12:13], v[10:11], v[4:5] op_sel_hi:[1,0,1]
	v_pk_fma_f32 v[0:1], v[28:29], v[10:11], v[0:1] op_sel_hi:[1,0,1]
	s_and_not1_b32 exec_lo, exec_lo, s2
	s_cbranch_execnz .LBB30_15
; %bb.16:
	s_or_b32 exec_lo, exec_lo, s2
.LBB30_17:
	s_delay_alu instid0(SALU_CYCLE_1)
	s_or_b32 exec_lo, exec_lo, s3
.LBB30_18:
	v_mbcnt_lo_u32_b32 v10, -1, 0
	s_mov_b32 s2, -1
	s_delay_alu instid0(VALU_DEP_1) | instskip(SKIP_1) | instid1(VALU_DEP_1)
	v_xor_b32_e32 v11, 1, v10
	v_xor_b32_e32 v6, 2, v10
	v_cmp_gt_i32_e32 vcc_lo, 32, v6
	v_cndmask_b32_e32 v6, v10, v6, vcc_lo
	s_delay_alu instid0(VALU_DEP_4) | instskip(NEXT) | instid1(VALU_DEP_2)
	v_cmp_gt_i32_e32 vcc_lo, 32, v11
	v_dual_cndmask_b32 v10, v10, v11 :: v_dual_lshlrev_b32 v9, 2, v6
	v_cmp_eq_u32_e32 vcc_lo, 3, v3
	ds_bpermute_b32 v6, v9, v4
	ds_bpermute_b32 v7, v9, v5
	;; [unrolled: 1-line block ×4, first 2 shown]
	v_lshlrev_b32_e32 v10, 2, v10
	s_wait_dscnt 0x2
	v_pk_add_f32 v[4:5], v[4:5], v[6:7]
	s_wait_dscnt 0x0
	v_pk_add_f32 v[0:1], v[0:1], v[8:9]
	ds_bpermute_b32 v8, v10, v4
	ds_bpermute_b32 v9, v10, v5
	;; [unrolled: 1-line block ×4, first 2 shown]
	s_and_b32 exec_lo, exec_lo, vcc_lo
	s_cbranch_execz .LBB30_23
; %bb.19:
	s_load_b64 s[0:1], s[0:1], 0x38
	s_wait_dscnt 0x2
	v_pk_add_f32 v[4:5], v[4:5], v[8:9]
	s_wait_dscnt 0x0
	v_pk_add_f32 v[0:1], v[0:1], v[6:7]
	v_lshlrev_b32_e32 v2, 2, v2
	s_cmp_eq_f32 s12, 0
	s_cbranch_scc0 .LBB30_21
; %bb.20:
	s_delay_alu instid0(VALU_DEP_1)
	v_ashrrev_i32_e32 v3, 31, v2
	v_pk_mul_f32 v[6:7], s[14:15], v[4:5] op_sel_hi:[0,1]
	v_pk_mul_f32 v[8:9], s[14:15], v[0:1] op_sel_hi:[0,1]
	s_mov_b32 s2, 0
	s_wait_kmcnt 0x0
	v_lshl_add_u64 v[10:11], v[2:3], 2, s[0:1]
	global_store_b128 v[10:11], v[6:9], off
.LBB30_21:
	s_and_not1_b32 vcc_lo, exec_lo, s2
	s_cbranch_vccnz .LBB30_23
; %bb.22:
	v_ashrrev_i32_e32 v3, 31, v2
	s_wait_kmcnt 0x0
	s_delay_alu instid0(VALU_DEP_1)
	v_lshl_add_u64 v[10:11], v[2:3], 2, s[0:1]
	v_pk_mul_f32 v[2:3], s[14:15], v[4:5] op_sel_hi:[0,1]
	v_pk_mul_f32 v[4:5], s[14:15], v[0:1] op_sel_hi:[0,1]
	global_load_b128 v[6:9], v[10:11], off
	s_wait_loadcnt 0x0
	v_pk_fma_f32 v[0:1], s[12:13], v[6:7], v[2:3] op_sel_hi:[0,1,1]
	v_pk_fma_f32 v[2:3], s[12:13], v[8:9], v[4:5] op_sel_hi:[0,1,1]
	global_store_b128 v[10:11], v[0:3], off
.LBB30_23:
	s_endpgm
	.section	.rodata,"a",@progbits
	.p2align	6, 0x0
	.amdhsa_kernel _ZN9rocsparseL19gebsrmvn_4xn_kernelILj128ELj8ELj4EfEEvi20rocsparse_direction_NS_24const_host_device_scalarIT2_EEPKiS6_PKS3_S8_S4_PS3_21rocsparse_index_base_b
		.amdhsa_group_segment_fixed_size 0
		.amdhsa_private_segment_fixed_size 0
		.amdhsa_kernarg_size 72
		.amdhsa_user_sgpr_count 2
		.amdhsa_user_sgpr_dispatch_ptr 0
		.amdhsa_user_sgpr_queue_ptr 0
		.amdhsa_user_sgpr_kernarg_segment_ptr 1
		.amdhsa_user_sgpr_dispatch_id 0
		.amdhsa_user_sgpr_kernarg_preload_length 0
		.amdhsa_user_sgpr_kernarg_preload_offset 0
		.amdhsa_user_sgpr_private_segment_size 0
		.amdhsa_wavefront_size32 1
		.amdhsa_uses_dynamic_stack 0
		.amdhsa_enable_private_segment 0
		.amdhsa_system_sgpr_workgroup_id_x 1
		.amdhsa_system_sgpr_workgroup_id_y 0
		.amdhsa_system_sgpr_workgroup_id_z 0
		.amdhsa_system_sgpr_workgroup_info 0
		.amdhsa_system_vgpr_workitem_id 0
		.amdhsa_next_free_vgpr 56
		.amdhsa_next_free_sgpr 18
		.amdhsa_named_barrier_count 0
		.amdhsa_reserve_vcc 1
		.amdhsa_float_round_mode_32 0
		.amdhsa_float_round_mode_16_64 0
		.amdhsa_float_denorm_mode_32 3
		.amdhsa_float_denorm_mode_16_64 3
		.amdhsa_fp16_overflow 0
		.amdhsa_memory_ordered 1
		.amdhsa_forward_progress 1
		.amdhsa_inst_pref_size 14
		.amdhsa_round_robin_scheduling 0
		.amdhsa_exception_fp_ieee_invalid_op 0
		.amdhsa_exception_fp_denorm_src 0
		.amdhsa_exception_fp_ieee_div_zero 0
		.amdhsa_exception_fp_ieee_overflow 0
		.amdhsa_exception_fp_ieee_underflow 0
		.amdhsa_exception_fp_ieee_inexact 0
		.amdhsa_exception_int_div_zero 0
	.end_amdhsa_kernel
	.section	.text._ZN9rocsparseL19gebsrmvn_4xn_kernelILj128ELj8ELj4EfEEvi20rocsparse_direction_NS_24const_host_device_scalarIT2_EEPKiS6_PKS3_S8_S4_PS3_21rocsparse_index_base_b,"axG",@progbits,_ZN9rocsparseL19gebsrmvn_4xn_kernelILj128ELj8ELj4EfEEvi20rocsparse_direction_NS_24const_host_device_scalarIT2_EEPKiS6_PKS3_S8_S4_PS3_21rocsparse_index_base_b,comdat
.Lfunc_end30:
	.size	_ZN9rocsparseL19gebsrmvn_4xn_kernelILj128ELj8ELj4EfEEvi20rocsparse_direction_NS_24const_host_device_scalarIT2_EEPKiS6_PKS3_S8_S4_PS3_21rocsparse_index_base_b, .Lfunc_end30-_ZN9rocsparseL19gebsrmvn_4xn_kernelILj128ELj8ELj4EfEEvi20rocsparse_direction_NS_24const_host_device_scalarIT2_EEPKiS6_PKS3_S8_S4_PS3_21rocsparse_index_base_b
                                        ; -- End function
	.set _ZN9rocsparseL19gebsrmvn_4xn_kernelILj128ELj8ELj4EfEEvi20rocsparse_direction_NS_24const_host_device_scalarIT2_EEPKiS6_PKS3_S8_S4_PS3_21rocsparse_index_base_b.num_vgpr, 56
	.set _ZN9rocsparseL19gebsrmvn_4xn_kernelILj128ELj8ELj4EfEEvi20rocsparse_direction_NS_24const_host_device_scalarIT2_EEPKiS6_PKS3_S8_S4_PS3_21rocsparse_index_base_b.num_agpr, 0
	.set _ZN9rocsparseL19gebsrmvn_4xn_kernelILj128ELj8ELj4EfEEvi20rocsparse_direction_NS_24const_host_device_scalarIT2_EEPKiS6_PKS3_S8_S4_PS3_21rocsparse_index_base_b.numbered_sgpr, 18
	.set _ZN9rocsparseL19gebsrmvn_4xn_kernelILj128ELj8ELj4EfEEvi20rocsparse_direction_NS_24const_host_device_scalarIT2_EEPKiS6_PKS3_S8_S4_PS3_21rocsparse_index_base_b.num_named_barrier, 0
	.set _ZN9rocsparseL19gebsrmvn_4xn_kernelILj128ELj8ELj4EfEEvi20rocsparse_direction_NS_24const_host_device_scalarIT2_EEPKiS6_PKS3_S8_S4_PS3_21rocsparse_index_base_b.private_seg_size, 0
	.set _ZN9rocsparseL19gebsrmvn_4xn_kernelILj128ELj8ELj4EfEEvi20rocsparse_direction_NS_24const_host_device_scalarIT2_EEPKiS6_PKS3_S8_S4_PS3_21rocsparse_index_base_b.uses_vcc, 1
	.set _ZN9rocsparseL19gebsrmvn_4xn_kernelILj128ELj8ELj4EfEEvi20rocsparse_direction_NS_24const_host_device_scalarIT2_EEPKiS6_PKS3_S8_S4_PS3_21rocsparse_index_base_b.uses_flat_scratch, 0
	.set _ZN9rocsparseL19gebsrmvn_4xn_kernelILj128ELj8ELj4EfEEvi20rocsparse_direction_NS_24const_host_device_scalarIT2_EEPKiS6_PKS3_S8_S4_PS3_21rocsparse_index_base_b.has_dyn_sized_stack, 0
	.set _ZN9rocsparseL19gebsrmvn_4xn_kernelILj128ELj8ELj4EfEEvi20rocsparse_direction_NS_24const_host_device_scalarIT2_EEPKiS6_PKS3_S8_S4_PS3_21rocsparse_index_base_b.has_recursion, 0
	.set _ZN9rocsparseL19gebsrmvn_4xn_kernelILj128ELj8ELj4EfEEvi20rocsparse_direction_NS_24const_host_device_scalarIT2_EEPKiS6_PKS3_S8_S4_PS3_21rocsparse_index_base_b.has_indirect_call, 0
	.section	.AMDGPU.csdata,"",@progbits
; Kernel info:
; codeLenInByte = 1680
; TotalNumSgprs: 20
; NumVgprs: 56
; ScratchSize: 0
; MemoryBound: 0
; FloatMode: 240
; IeeeMode: 1
; LDSByteSize: 0 bytes/workgroup (compile time only)
; SGPRBlocks: 0
; VGPRBlocks: 3
; NumSGPRsForWavesPerEU: 20
; NumVGPRsForWavesPerEU: 56
; NamedBarCnt: 0
; Occupancy: 16
; WaveLimiterHint : 1
; COMPUTE_PGM_RSRC2:SCRATCH_EN: 0
; COMPUTE_PGM_RSRC2:USER_SGPR: 2
; COMPUTE_PGM_RSRC2:TRAP_HANDLER: 0
; COMPUTE_PGM_RSRC2:TGID_X_EN: 1
; COMPUTE_PGM_RSRC2:TGID_Y_EN: 0
; COMPUTE_PGM_RSRC2:TGID_Z_EN: 0
; COMPUTE_PGM_RSRC2:TIDIG_COMP_CNT: 0
	.section	.text._ZN9rocsparseL19gebsrmvn_4xn_kernelILj128ELj8ELj8EfEEvi20rocsparse_direction_NS_24const_host_device_scalarIT2_EEPKiS6_PKS3_S8_S4_PS3_21rocsparse_index_base_b,"axG",@progbits,_ZN9rocsparseL19gebsrmvn_4xn_kernelILj128ELj8ELj8EfEEvi20rocsparse_direction_NS_24const_host_device_scalarIT2_EEPKiS6_PKS3_S8_S4_PS3_21rocsparse_index_base_b,comdat
	.globl	_ZN9rocsparseL19gebsrmvn_4xn_kernelILj128ELj8ELj8EfEEvi20rocsparse_direction_NS_24const_host_device_scalarIT2_EEPKiS6_PKS3_S8_S4_PS3_21rocsparse_index_base_b ; -- Begin function _ZN9rocsparseL19gebsrmvn_4xn_kernelILj128ELj8ELj8EfEEvi20rocsparse_direction_NS_24const_host_device_scalarIT2_EEPKiS6_PKS3_S8_S4_PS3_21rocsparse_index_base_b
	.p2align	8
	.type	_ZN9rocsparseL19gebsrmvn_4xn_kernelILj128ELj8ELj8EfEEvi20rocsparse_direction_NS_24const_host_device_scalarIT2_EEPKiS6_PKS3_S8_S4_PS3_21rocsparse_index_base_b,@function
_ZN9rocsparseL19gebsrmvn_4xn_kernelILj128ELj8ELj8EfEEvi20rocsparse_direction_NS_24const_host_device_scalarIT2_EEPKiS6_PKS3_S8_S4_PS3_21rocsparse_index_base_b: ; @_ZN9rocsparseL19gebsrmvn_4xn_kernelILj128ELj8ELj8EfEEvi20rocsparse_direction_NS_24const_host_device_scalarIT2_EEPKiS6_PKS3_S8_S4_PS3_21rocsparse_index_base_b
; %bb.0:
	s_clause 0x2
	s_load_b64 s[16:17], s[0:1], 0x40
	s_load_b64 s[14:15], s[0:1], 0x8
	;; [unrolled: 1-line block ×3, first 2 shown]
	s_wait_kmcnt 0x0
	s_bitcmp1_b32 s17, 0
	s_cselect_b32 s2, -1, 0
	s_delay_alu instid0(SALU_CYCLE_1)
	s_and_b32 vcc_lo, exec_lo, s2
	s_xor_b32 s2, s2, -1
	s_cbranch_vccnz .LBB31_2
; %bb.1:
	s_load_b32 s14, s[14:15], 0x0
.LBB31_2:
	s_and_not1_b32 vcc_lo, exec_lo, s2
	s_cbranch_vccnz .LBB31_4
; %bb.3:
	s_load_b32 s12, s[12:13], 0x0
.LBB31_4:
	s_wait_kmcnt 0x0
	s_cmp_eq_f32 s14, 0
	s_cselect_b32 s2, -1, 0
	s_cmp_eq_f32 s12, 1.0
	s_cselect_b32 s3, -1, 0
	s_delay_alu instid0(SALU_CYCLE_1) | instskip(NEXT) | instid1(SALU_CYCLE_1)
	s_and_b32 s2, s2, s3
	s_and_b32 vcc_lo, exec_lo, s2
	s_cbranch_vccnz .LBB31_23
; %bb.5:
	s_load_b64 s[2:3], s[0:1], 0x0
	s_bfe_u32 s4, ttmp6, 0x4000c
	s_and_b32 s5, ttmp6, 15
	s_add_co_i32 s4, s4, 1
	s_getreg_b32 s6, hwreg(HW_REG_IB_STS2, 6, 4)
	s_mul_i32 s4, ttmp9, s4
	v_lshrrev_b32_e32 v1, 3, v0
	s_add_co_i32 s5, s5, s4
	s_cmp_eq_u32 s6, 0
	s_cselect_b32 s4, ttmp9, s5
	s_delay_alu instid0(VALU_DEP_1) | instid1(SALU_CYCLE_1)
	v_lshl_or_b32 v2, s4, 4, v1
	s_wait_kmcnt 0x0
	s_delay_alu instid0(VALU_DEP_1)
	v_cmp_gt_i32_e32 vcc_lo, s2, v2
	s_and_saveexec_b32 s2, vcc_lo
	s_cbranch_execz .LBB31_23
; %bb.6:
	s_load_b256 s[4:11], s[0:1], 0x10
	v_ashrrev_i32_e32 v3, 31, v2
	s_cmp_lg_u32 s3, 0
	s_wait_kmcnt 0x0
	s_delay_alu instid0(VALU_DEP_1)
	v_lshl_add_u64 v[4:5], v[2:3], 2, s[4:5]
	v_and_b32_e32 v3, 7, v0
	global_load_b64 v[4:5], v[4:5], off
	s_wait_loadcnt 0x0
	v_subrev_nc_u32_e32 v0, s16, v4
	v_subrev_nc_u32_e32 v8, s16, v5
	s_delay_alu instid0(VALU_DEP_2) | instskip(NEXT) | instid1(VALU_DEP_1)
	v_add_nc_u32_e32 v9, v0, v3
	v_cmp_lt_i32_e64 s2, v9, v8
	s_cbranch_scc0 .LBB31_12
; %bb.7:
	v_mov_b32_e32 v1, 0
	s_delay_alu instid0(VALU_DEP_1)
	v_dual_mov_b32 v0, v1 :: v_dual_mov_b32 v5, v1
	v_mov_b32_e32 v4, v1
	s_and_saveexec_b32 s3, s2
	s_cbranch_execz .LBB31_11
; %bb.8:
	v_dual_mov_b32 v7, 0 :: v_dual_lshlrev_b32 v6, 5, v9
	v_mov_b32_e32 v10, v9
	s_mov_b32 s4, 0
	s_delay_alu instid0(VALU_DEP_2)
	v_dual_mov_b32 v0, v7 :: v_dual_mov_b32 v1, v7
	v_dual_mov_b32 v4, v7 :: v_dual_mov_b32 v5, v7
.LBB31_9:                               ; =>This Inner Loop Header: Depth=1
	global_load_b32 v11, v10, s[6:7] scale_offset
	v_lshl_add_u64 v[52:53], v[6:7], 2, s[8:9]
	v_add_nc_u32_e32 v6, 0x100, v6
	s_wait_xcnt 0x0
	v_add_nc_u32_e32 v10, 8, v10
	s_delay_alu instid0(VALU_DEP_1) | instskip(SKIP_3) | instid1(VALU_DEP_1)
	v_cmp_ge_i32_e32 vcc_lo, v10, v8
	s_or_b32 s4, vcc_lo, s4
	s_wait_loadcnt 0x0
	v_subrev_nc_u32_e32 v11, s16, v11
	v_dual_mov_b32 v13, v7 :: v_dual_lshlrev_b32 v12, 3, v11
	s_delay_alu instid0(VALU_DEP_1)
	v_lshl_add_u64 v[54:55], v[12:13], 2, s[10:11]
	s_clause 0x1
	global_load_b128 v[12:15], v[52:53], off offset:16
	global_load_b128 v[16:19], v[52:53], off
	s_clause 0x1
	global_load_b128 v[20:23], v[54:55], off
	global_load_b128 v[24:27], v[54:55], off offset:16
	s_clause 0x5
	global_load_b128 v[28:31], v[52:53], off offset:32
	global_load_b128 v[32:35], v[52:53], off offset:48
	global_load_b128 v[36:39], v[52:53], off offset:64
	global_load_b128 v[40:43], v[52:53], off offset:80
	global_load_b128 v[44:47], v[52:53], off offset:96
	global_load_b128 v[48:51], v[52:53], off offset:112
	s_wait_loadcnt 0x7
	v_pk_fma_f32 v[4:5], v[16:17], v[20:21], v[4:5] op_sel_hi:[1,0,1]
	v_pk_fma_f32 v[0:1], v[18:19], v[20:21], v[0:1] op_sel_hi:[1,0,1]
	s_delay_alu instid0(VALU_DEP_2) | instskip(NEXT) | instid1(VALU_DEP_2)
	v_pk_fma_f32 v[4:5], v[12:13], v[20:21], v[4:5] op_sel:[0,1,0]
	v_pk_fma_f32 v[0:1], v[14:15], v[20:21], v[0:1] op_sel:[0,1,0]
	v_mov_b32_e32 v12, v23
	s_wait_loadcnt 0x5
	s_delay_alu instid0(VALU_DEP_3) | instskip(NEXT) | instid1(VALU_DEP_3)
	v_pk_fma_f32 v[4:5], v[28:29], v[22:23], v[4:5] op_sel_hi:[1,0,1]
	v_pk_fma_f32 v[0:1], v[30:31], v[22:23], v[0:1] op_sel_hi:[1,0,1]
	s_wait_loadcnt 0x4
	s_delay_alu instid0(VALU_DEP_2) | instskip(NEXT) | instid1(VALU_DEP_2)
	v_pk_fma_f32 v[4:5], v[32:33], v[12:13], v[4:5] op_sel_hi:[1,0,1]
	v_pk_fma_f32 v[0:1], v[34:35], v[12:13], v[0:1] op_sel_hi:[1,0,1]
	v_mov_b32_e32 v12, v27
	s_wait_loadcnt 0x3
	s_delay_alu instid0(VALU_DEP_3) | instskip(NEXT) | instid1(VALU_DEP_3)
	v_pk_fma_f32 v[4:5], v[36:37], v[24:25], v[4:5] op_sel_hi:[1,0,1]
	v_pk_fma_f32 v[0:1], v[38:39], v[24:25], v[0:1] op_sel_hi:[1,0,1]
	s_wait_loadcnt 0x2
	s_delay_alu instid0(VALU_DEP_2) | instskip(NEXT) | instid1(VALU_DEP_2)
	v_pk_fma_f32 v[4:5], v[40:41], v[24:25], v[4:5] op_sel:[0,1,0]
	v_pk_fma_f32 v[0:1], v[42:43], v[24:25], v[0:1] op_sel:[0,1,0]
	s_wait_loadcnt 0x1
	s_delay_alu instid0(VALU_DEP_2) | instskip(NEXT) | instid1(VALU_DEP_2)
	v_pk_fma_f32 v[4:5], v[44:45], v[26:27], v[4:5] op_sel_hi:[1,0,1]
	v_pk_fma_f32 v[0:1], v[46:47], v[26:27], v[0:1] op_sel_hi:[1,0,1]
	s_wait_loadcnt 0x0
	s_delay_alu instid0(VALU_DEP_2) | instskip(NEXT) | instid1(VALU_DEP_2)
	v_pk_fma_f32 v[4:5], v[48:49], v[12:13], v[4:5] op_sel_hi:[1,0,1]
	v_pk_fma_f32 v[0:1], v[50:51], v[12:13], v[0:1] op_sel_hi:[1,0,1]
	s_and_not1_b32 exec_lo, exec_lo, s4
	s_cbranch_execnz .LBB31_9
; %bb.10:
	s_or_b32 exec_lo, exec_lo, s4
.LBB31_11:
	s_delay_alu instid0(SALU_CYCLE_1)
	s_or_b32 exec_lo, exec_lo, s3
	s_cbranch_execz .LBB31_13
	s_branch .LBB31_18
.LBB31_12:
                                        ; implicit-def: $vgpr1
                                        ; implicit-def: $vgpr5
.LBB31_13:
	v_mov_b32_e32 v1, 0
	s_delay_alu instid0(VALU_DEP_1)
	v_dual_mov_b32 v0, v1 :: v_dual_mov_b32 v5, v1
	v_mov_b32_e32 v4, v1
	s_and_saveexec_b32 s3, s2
	s_cbranch_execz .LBB31_17
; %bb.14:
	v_dual_mov_b32 v7, 0 :: v_dual_lshlrev_b32 v6, 5, v9
	s_mov_b32 s2, 0
	s_delay_alu instid0(VALU_DEP_1)
	v_dual_mov_b32 v0, v7 :: v_dual_mov_b32 v1, v7
	v_dual_mov_b32 v4, v7 :: v_dual_mov_b32 v5, v7
.LBB31_15:                              ; =>This Inner Loop Header: Depth=1
	global_load_b32 v18, v9, s[6:7] scale_offset
	v_lshl_add_u64 v[42:43], v[6:7], 2, s[8:9]
	v_add_nc_u32_e32 v6, 0x100, v6
	s_clause 0x1
	global_load_b128 v[10:13], v[42:43], off offset:48
	global_load_b128 v[14:17], v[42:43], off offset:32
	s_wait_loadcnt 0x2
	v_subrev_nc_u32_e32 v30, s16, v18
	v_mov_b32_e32 v45, v7
	s_clause 0x2
	global_load_b128 v[18:21], v[42:43], off offset:16
	global_load_b128 v[22:25], v[42:43], off
	global_load_b128 v[26:29], v[42:43], off offset:112
	v_dual_add_nc_u32 v9, 8, v9 :: v_dual_lshlrev_b32 v44, 3, v30
	s_clause 0x2
	global_load_b128 v[30:33], v[42:43], off offset:96
	global_load_b128 v[34:37], v[42:43], off offset:80
	;; [unrolled: 1-line block ×3, first 2 shown]
	s_wait_loadcnt 0x6
	v_mov_b32_e32 v53, v16
	v_lshl_add_u64 v[50:51], v[44:45], 2, s[10:11]
	s_clause 0x1
	global_load_b128 v[42:45], v[50:51], off
	global_load_b128 v[46:49], v[50:51], off offset:16
	s_wait_loadcnt 0x6
	s_wait_xcnt 0x0
	v_dual_mov_b32 v51, v14 :: v_dual_mov_b32 v14, v23
	v_dual_mov_b32 v50, v22 :: v_dual_mov_b32 v52, v24
	v_cmp_ge_i32_e32 vcc_lo, v9, v8
	s_wait_loadcnt 0x2
	v_dual_mov_b32 v23, v30 :: v_dual_mov_b32 v22, v38
	v_dual_mov_b32 v30, v39 :: v_dual_mov_b32 v16, v25
	s_or_b32 s2, vcc_lo, s2
	s_wait_loadcnt 0x1
	v_pk_fma_f32 v[4:5], v[50:51], v[42:43], v[4:5] op_sel_hi:[1,0,1]
	v_pk_fma_f32 v[0:1], v[22:23], v[42:43], v[0:1] op_sel_hi:[1,0,1]
	v_dual_mov_b32 v22, v40 :: v_dual_mov_b32 v23, v32
	v_mov_b32_e32 v32, v41
	s_delay_alu instid0(VALU_DEP_4) | instskip(NEXT) | instid1(VALU_DEP_4)
	v_pk_fma_f32 v[4:5], v[14:15], v[42:43], v[4:5] op_sel:[0,1,0]
	v_pk_fma_f32 v[0:1], v[30:31], v[42:43], v[0:1] op_sel:[0,1,0]
	v_dual_mov_b32 v14, v18 :: v_dual_mov_b32 v18, v45
	v_mov_b32_e32 v15, v10
	s_delay_alu instid0(VALU_DEP_4) | instskip(NEXT) | instid1(VALU_DEP_4)
	v_pk_fma_f32 v[4:5], v[52:53], v[44:45], v[4:5] op_sel_hi:[1,0,1]
	v_pk_fma_f32 v[0:1], v[22:23], v[44:45], v[0:1] op_sel_hi:[1,0,1]
	v_dual_mov_b32 v22, v34 :: v_dual_mov_b32 v23, v26
	v_mov_b32_e32 v10, v19
	s_delay_alu instid0(VALU_DEP_4) | instskip(NEXT) | instid1(VALU_DEP_4)
	v_pk_fma_f32 v[4:5], v[16:17], v[18:19], v[4:5] op_sel_hi:[1,0,1]
	v_pk_fma_f32 v[0:1], v[32:33], v[18:19], v[0:1] op_sel_hi:[1,0,1]
	v_dual_mov_b32 v26, v35 :: v_dual_mov_b32 v17, v12
	v_mov_b32_e32 v16, v20
	s_wait_loadcnt 0x0
	v_pk_fma_f32 v[4:5], v[14:15], v[46:47], v[4:5] op_sel_hi:[1,0,1]
	v_pk_fma_f32 v[0:1], v[22:23], v[46:47], v[0:1] op_sel_hi:[1,0,1]
	v_dual_mov_b32 v14, v36 :: v_dual_mov_b32 v15, v28
	v_dual_mov_b32 v12, v21 :: v_dual_mov_b32 v28, v37
	s_delay_alu instid0(VALU_DEP_4) | instskip(NEXT) | instid1(VALU_DEP_4)
	v_pk_fma_f32 v[4:5], v[10:11], v[46:47], v[4:5] op_sel:[0,1,0]
	v_pk_fma_f32 v[0:1], v[26:27], v[46:47], v[0:1] op_sel:[0,1,0]
	v_mov_b32_e32 v10, v49
	s_delay_alu instid0(VALU_DEP_3) | instskip(NEXT) | instid1(VALU_DEP_3)
	v_pk_fma_f32 v[4:5], v[16:17], v[48:49], v[4:5] op_sel_hi:[1,0,1]
	v_pk_fma_f32 v[0:1], v[14:15], v[48:49], v[0:1] op_sel_hi:[1,0,1]
	s_delay_alu instid0(VALU_DEP_2) | instskip(NEXT) | instid1(VALU_DEP_2)
	v_pk_fma_f32 v[4:5], v[12:13], v[10:11], v[4:5] op_sel_hi:[1,0,1]
	v_pk_fma_f32 v[0:1], v[28:29], v[10:11], v[0:1] op_sel_hi:[1,0,1]
	s_and_not1_b32 exec_lo, exec_lo, s2
	s_cbranch_execnz .LBB31_15
; %bb.16:
	s_or_b32 exec_lo, exec_lo, s2
.LBB31_17:
	s_delay_alu instid0(SALU_CYCLE_1)
	s_or_b32 exec_lo, exec_lo, s3
.LBB31_18:
	v_mbcnt_lo_u32_b32 v10, -1, 0
	s_mov_b32 s2, -1
	s_delay_alu instid0(VALU_DEP_1) | instskip(SKIP_1) | instid1(VALU_DEP_1)
	v_xor_b32_e32 v11, 2, v10
	v_xor_b32_e32 v6, 4, v10
	v_cmp_gt_i32_e32 vcc_lo, 32, v6
	v_cndmask_b32_e32 v6, v10, v6, vcc_lo
	s_delay_alu instid0(VALU_DEP_4) | instskip(SKIP_1) | instid1(VALU_DEP_1)
	v_cmp_gt_i32_e32 vcc_lo, 32, v11
	v_cndmask_b32_e32 v11, v10, v11, vcc_lo
	v_dual_lshlrev_b32 v11, 2, v11 :: v_dual_lshlrev_b32 v9, 2, v6
	ds_bpermute_b32 v6, v9, v4
	ds_bpermute_b32 v7, v9, v5
	;; [unrolled: 1-line block ×4, first 2 shown]
	s_wait_dscnt 0x2
	v_pk_add_f32 v[4:5], v[4:5], v[6:7]
	s_wait_dscnt 0x0
	v_pk_add_f32 v[6:7], v[0:1], v[8:9]
	ds_bpermute_b32 v0, v11, v4
	ds_bpermute_b32 v1, v11, v5
	;; [unrolled: 1-line block ×4, first 2 shown]
	v_xor_b32_e32 v11, 1, v10
	s_delay_alu instid0(VALU_DEP_1) | instskip(SKIP_2) | instid1(VALU_DEP_2)
	v_cmp_gt_i32_e32 vcc_lo, 32, v11
	v_cndmask_b32_e32 v10, v10, v11, vcc_lo
	v_cmp_eq_u32_e32 vcc_lo, 7, v3
	v_lshlrev_b32_e32 v10, 2, v10
	s_wait_dscnt 0x2
	v_pk_add_f32 v[0:1], v[4:5], v[0:1]
	s_wait_dscnt 0x0
	v_pk_add_f32 v[6:7], v[6:7], v[8:9]
	ds_bpermute_b32 v4, v10, v0
	ds_bpermute_b32 v5, v10, v1
	ds_bpermute_b32 v8, v10, v6
	ds_bpermute_b32 v9, v10, v7
	s_and_b32 exec_lo, exec_lo, vcc_lo
	s_cbranch_execz .LBB31_23
; %bb.19:
	s_load_b64 s[0:1], s[0:1], 0x38
	s_wait_dscnt 0x2
	v_pk_add_f32 v[4:5], v[0:1], v[4:5]
	s_wait_dscnt 0x0
	v_pk_add_f32 v[0:1], v[6:7], v[8:9]
	v_lshlrev_b32_e32 v2, 2, v2
	s_cmp_eq_f32 s12, 0
	s_cbranch_scc0 .LBB31_21
; %bb.20:
	s_delay_alu instid0(VALU_DEP_1)
	v_ashrrev_i32_e32 v3, 31, v2
	v_pk_mul_f32 v[6:7], s[14:15], v[4:5] op_sel_hi:[0,1]
	v_pk_mul_f32 v[8:9], s[14:15], v[0:1] op_sel_hi:[0,1]
	s_mov_b32 s2, 0
	s_wait_kmcnt 0x0
	v_lshl_add_u64 v[10:11], v[2:3], 2, s[0:1]
	global_store_b128 v[10:11], v[6:9], off
.LBB31_21:
	s_and_not1_b32 vcc_lo, exec_lo, s2
	s_cbranch_vccnz .LBB31_23
; %bb.22:
	v_ashrrev_i32_e32 v3, 31, v2
	s_wait_kmcnt 0x0
	s_delay_alu instid0(VALU_DEP_1)
	v_lshl_add_u64 v[10:11], v[2:3], 2, s[0:1]
	v_pk_mul_f32 v[2:3], s[14:15], v[4:5] op_sel_hi:[0,1]
	v_pk_mul_f32 v[4:5], s[14:15], v[0:1] op_sel_hi:[0,1]
	global_load_b128 v[6:9], v[10:11], off
	s_wait_loadcnt 0x0
	v_pk_fma_f32 v[0:1], s[12:13], v[6:7], v[2:3] op_sel_hi:[0,1,1]
	v_pk_fma_f32 v[2:3], s[12:13], v[8:9], v[4:5] op_sel_hi:[0,1,1]
	global_store_b128 v[10:11], v[0:3], off
.LBB31_23:
	s_endpgm
	.section	.rodata,"a",@progbits
	.p2align	6, 0x0
	.amdhsa_kernel _ZN9rocsparseL19gebsrmvn_4xn_kernelILj128ELj8ELj8EfEEvi20rocsparse_direction_NS_24const_host_device_scalarIT2_EEPKiS6_PKS3_S8_S4_PS3_21rocsparse_index_base_b
		.amdhsa_group_segment_fixed_size 0
		.amdhsa_private_segment_fixed_size 0
		.amdhsa_kernarg_size 72
		.amdhsa_user_sgpr_count 2
		.amdhsa_user_sgpr_dispatch_ptr 0
		.amdhsa_user_sgpr_queue_ptr 0
		.amdhsa_user_sgpr_kernarg_segment_ptr 1
		.amdhsa_user_sgpr_dispatch_id 0
		.amdhsa_user_sgpr_kernarg_preload_length 0
		.amdhsa_user_sgpr_kernarg_preload_offset 0
		.amdhsa_user_sgpr_private_segment_size 0
		.amdhsa_wavefront_size32 1
		.amdhsa_uses_dynamic_stack 0
		.amdhsa_enable_private_segment 0
		.amdhsa_system_sgpr_workgroup_id_x 1
		.amdhsa_system_sgpr_workgroup_id_y 0
		.amdhsa_system_sgpr_workgroup_id_z 0
		.amdhsa_system_sgpr_workgroup_info 0
		.amdhsa_system_vgpr_workitem_id 0
		.amdhsa_next_free_vgpr 56
		.amdhsa_next_free_sgpr 18
		.amdhsa_named_barrier_count 0
		.amdhsa_reserve_vcc 1
		.amdhsa_float_round_mode_32 0
		.amdhsa_float_round_mode_16_64 0
		.amdhsa_float_denorm_mode_32 3
		.amdhsa_float_denorm_mode_16_64 3
		.amdhsa_fp16_overflow 0
		.amdhsa_memory_ordered 1
		.amdhsa_forward_progress 1
		.amdhsa_inst_pref_size 14
		.amdhsa_round_robin_scheduling 0
		.amdhsa_exception_fp_ieee_invalid_op 0
		.amdhsa_exception_fp_denorm_src 0
		.amdhsa_exception_fp_ieee_div_zero 0
		.amdhsa_exception_fp_ieee_overflow 0
		.amdhsa_exception_fp_ieee_underflow 0
		.amdhsa_exception_fp_ieee_inexact 0
		.amdhsa_exception_int_div_zero 0
	.end_amdhsa_kernel
	.section	.text._ZN9rocsparseL19gebsrmvn_4xn_kernelILj128ELj8ELj8EfEEvi20rocsparse_direction_NS_24const_host_device_scalarIT2_EEPKiS6_PKS3_S8_S4_PS3_21rocsparse_index_base_b,"axG",@progbits,_ZN9rocsparseL19gebsrmvn_4xn_kernelILj128ELj8ELj8EfEEvi20rocsparse_direction_NS_24const_host_device_scalarIT2_EEPKiS6_PKS3_S8_S4_PS3_21rocsparse_index_base_b,comdat
.Lfunc_end31:
	.size	_ZN9rocsparseL19gebsrmvn_4xn_kernelILj128ELj8ELj8EfEEvi20rocsparse_direction_NS_24const_host_device_scalarIT2_EEPKiS6_PKS3_S8_S4_PS3_21rocsparse_index_base_b, .Lfunc_end31-_ZN9rocsparseL19gebsrmvn_4xn_kernelILj128ELj8ELj8EfEEvi20rocsparse_direction_NS_24const_host_device_scalarIT2_EEPKiS6_PKS3_S8_S4_PS3_21rocsparse_index_base_b
                                        ; -- End function
	.set _ZN9rocsparseL19gebsrmvn_4xn_kernelILj128ELj8ELj8EfEEvi20rocsparse_direction_NS_24const_host_device_scalarIT2_EEPKiS6_PKS3_S8_S4_PS3_21rocsparse_index_base_b.num_vgpr, 56
	.set _ZN9rocsparseL19gebsrmvn_4xn_kernelILj128ELj8ELj8EfEEvi20rocsparse_direction_NS_24const_host_device_scalarIT2_EEPKiS6_PKS3_S8_S4_PS3_21rocsparse_index_base_b.num_agpr, 0
	.set _ZN9rocsparseL19gebsrmvn_4xn_kernelILj128ELj8ELj8EfEEvi20rocsparse_direction_NS_24const_host_device_scalarIT2_EEPKiS6_PKS3_S8_S4_PS3_21rocsparse_index_base_b.numbered_sgpr, 18
	.set _ZN9rocsparseL19gebsrmvn_4xn_kernelILj128ELj8ELj8EfEEvi20rocsparse_direction_NS_24const_host_device_scalarIT2_EEPKiS6_PKS3_S8_S4_PS3_21rocsparse_index_base_b.num_named_barrier, 0
	.set _ZN9rocsparseL19gebsrmvn_4xn_kernelILj128ELj8ELj8EfEEvi20rocsparse_direction_NS_24const_host_device_scalarIT2_EEPKiS6_PKS3_S8_S4_PS3_21rocsparse_index_base_b.private_seg_size, 0
	.set _ZN9rocsparseL19gebsrmvn_4xn_kernelILj128ELj8ELj8EfEEvi20rocsparse_direction_NS_24const_host_device_scalarIT2_EEPKiS6_PKS3_S8_S4_PS3_21rocsparse_index_base_b.uses_vcc, 1
	.set _ZN9rocsparseL19gebsrmvn_4xn_kernelILj128ELj8ELj8EfEEvi20rocsparse_direction_NS_24const_host_device_scalarIT2_EEPKiS6_PKS3_S8_S4_PS3_21rocsparse_index_base_b.uses_flat_scratch, 0
	.set _ZN9rocsparseL19gebsrmvn_4xn_kernelILj128ELj8ELj8EfEEvi20rocsparse_direction_NS_24const_host_device_scalarIT2_EEPKiS6_PKS3_S8_S4_PS3_21rocsparse_index_base_b.has_dyn_sized_stack, 0
	.set _ZN9rocsparseL19gebsrmvn_4xn_kernelILj128ELj8ELj8EfEEvi20rocsparse_direction_NS_24const_host_device_scalarIT2_EEPKiS6_PKS3_S8_S4_PS3_21rocsparse_index_base_b.has_recursion, 0
	.set _ZN9rocsparseL19gebsrmvn_4xn_kernelILj128ELj8ELj8EfEEvi20rocsparse_direction_NS_24const_host_device_scalarIT2_EEPKiS6_PKS3_S8_S4_PS3_21rocsparse_index_base_b.has_indirect_call, 0
	.section	.AMDGPU.csdata,"",@progbits
; Kernel info:
; codeLenInByte = 1768
; TotalNumSgprs: 20
; NumVgprs: 56
; ScratchSize: 0
; MemoryBound: 0
; FloatMode: 240
; IeeeMode: 1
; LDSByteSize: 0 bytes/workgroup (compile time only)
; SGPRBlocks: 0
; VGPRBlocks: 3
; NumSGPRsForWavesPerEU: 20
; NumVGPRsForWavesPerEU: 56
; NamedBarCnt: 0
; Occupancy: 16
; WaveLimiterHint : 1
; COMPUTE_PGM_RSRC2:SCRATCH_EN: 0
; COMPUTE_PGM_RSRC2:USER_SGPR: 2
; COMPUTE_PGM_RSRC2:TRAP_HANDLER: 0
; COMPUTE_PGM_RSRC2:TGID_X_EN: 1
; COMPUTE_PGM_RSRC2:TGID_Y_EN: 0
; COMPUTE_PGM_RSRC2:TGID_Z_EN: 0
; COMPUTE_PGM_RSRC2:TIDIG_COMP_CNT: 0
	.section	.text._ZN9rocsparseL19gebsrmvn_4xn_kernelILj128ELj8ELj16EfEEvi20rocsparse_direction_NS_24const_host_device_scalarIT2_EEPKiS6_PKS3_S8_S4_PS3_21rocsparse_index_base_b,"axG",@progbits,_ZN9rocsparseL19gebsrmvn_4xn_kernelILj128ELj8ELj16EfEEvi20rocsparse_direction_NS_24const_host_device_scalarIT2_EEPKiS6_PKS3_S8_S4_PS3_21rocsparse_index_base_b,comdat
	.globl	_ZN9rocsparseL19gebsrmvn_4xn_kernelILj128ELj8ELj16EfEEvi20rocsparse_direction_NS_24const_host_device_scalarIT2_EEPKiS6_PKS3_S8_S4_PS3_21rocsparse_index_base_b ; -- Begin function _ZN9rocsparseL19gebsrmvn_4xn_kernelILj128ELj8ELj16EfEEvi20rocsparse_direction_NS_24const_host_device_scalarIT2_EEPKiS6_PKS3_S8_S4_PS3_21rocsparse_index_base_b
	.p2align	8
	.type	_ZN9rocsparseL19gebsrmvn_4xn_kernelILj128ELj8ELj16EfEEvi20rocsparse_direction_NS_24const_host_device_scalarIT2_EEPKiS6_PKS3_S8_S4_PS3_21rocsparse_index_base_b,@function
_ZN9rocsparseL19gebsrmvn_4xn_kernelILj128ELj8ELj16EfEEvi20rocsparse_direction_NS_24const_host_device_scalarIT2_EEPKiS6_PKS3_S8_S4_PS3_21rocsparse_index_base_b: ; @_ZN9rocsparseL19gebsrmvn_4xn_kernelILj128ELj8ELj16EfEEvi20rocsparse_direction_NS_24const_host_device_scalarIT2_EEPKiS6_PKS3_S8_S4_PS3_21rocsparse_index_base_b
; %bb.0:
	s_clause 0x2
	s_load_b64 s[16:17], s[0:1], 0x40
	s_load_b64 s[14:15], s[0:1], 0x8
	;; [unrolled: 1-line block ×3, first 2 shown]
	s_wait_kmcnt 0x0
	s_bitcmp1_b32 s17, 0
	s_cselect_b32 s2, -1, 0
	s_delay_alu instid0(SALU_CYCLE_1)
	s_and_b32 vcc_lo, exec_lo, s2
	s_xor_b32 s2, s2, -1
	s_cbranch_vccnz .LBB32_2
; %bb.1:
	s_load_b32 s14, s[14:15], 0x0
.LBB32_2:
	s_and_not1_b32 vcc_lo, exec_lo, s2
	s_cbranch_vccnz .LBB32_4
; %bb.3:
	s_load_b32 s12, s[12:13], 0x0
.LBB32_4:
	s_wait_kmcnt 0x0
	s_cmp_eq_f32 s14, 0
	s_cselect_b32 s2, -1, 0
	s_cmp_eq_f32 s12, 1.0
	s_cselect_b32 s3, -1, 0
	s_delay_alu instid0(SALU_CYCLE_1) | instskip(NEXT) | instid1(SALU_CYCLE_1)
	s_and_b32 s2, s2, s3
	s_and_b32 vcc_lo, exec_lo, s2
	s_cbranch_vccnz .LBB32_23
; %bb.5:
	s_load_b64 s[2:3], s[0:1], 0x0
	s_bfe_u32 s4, ttmp6, 0x4000c
	s_and_b32 s5, ttmp6, 15
	s_add_co_i32 s4, s4, 1
	s_getreg_b32 s6, hwreg(HW_REG_IB_STS2, 6, 4)
	s_mul_i32 s4, ttmp9, s4
	v_lshrrev_b32_e32 v1, 4, v0
	s_add_co_i32 s5, s5, s4
	s_cmp_eq_u32 s6, 0
	s_cselect_b32 s4, ttmp9, s5
	s_delay_alu instid0(VALU_DEP_1) | instid1(SALU_CYCLE_1)
	v_lshl_or_b32 v2, s4, 3, v1
	s_wait_kmcnt 0x0
	s_delay_alu instid0(VALU_DEP_1)
	v_cmp_gt_i32_e32 vcc_lo, s2, v2
	s_and_saveexec_b32 s2, vcc_lo
	s_cbranch_execz .LBB32_23
; %bb.6:
	s_load_b256 s[4:11], s[0:1], 0x10
	v_ashrrev_i32_e32 v3, 31, v2
	s_cmp_lg_u32 s3, 0
	s_wait_kmcnt 0x0
	s_delay_alu instid0(VALU_DEP_1)
	v_lshl_add_u64 v[4:5], v[2:3], 2, s[4:5]
	v_and_b32_e32 v3, 15, v0
	global_load_b64 v[4:5], v[4:5], off
	s_wait_loadcnt 0x0
	v_subrev_nc_u32_e32 v0, s16, v4
	v_subrev_nc_u32_e32 v8, s16, v5
	s_delay_alu instid0(VALU_DEP_2) | instskip(NEXT) | instid1(VALU_DEP_1)
	v_add_nc_u32_e32 v9, v0, v3
	v_cmp_lt_i32_e64 s2, v9, v8
	s_cbranch_scc0 .LBB32_12
; %bb.7:
	v_mov_b32_e32 v1, 0
	s_delay_alu instid0(VALU_DEP_1)
	v_dual_mov_b32 v0, v1 :: v_dual_mov_b32 v5, v1
	v_mov_b32_e32 v4, v1
	s_and_saveexec_b32 s3, s2
	s_cbranch_execz .LBB32_11
; %bb.8:
	v_dual_mov_b32 v7, 0 :: v_dual_lshlrev_b32 v6, 5, v9
	v_mov_b32_e32 v10, v9
	s_mov_b32 s4, 0
	s_delay_alu instid0(VALU_DEP_2)
	v_dual_mov_b32 v0, v7 :: v_dual_mov_b32 v1, v7
	v_dual_mov_b32 v4, v7 :: v_dual_mov_b32 v5, v7
.LBB32_9:                               ; =>This Inner Loop Header: Depth=1
	global_load_b32 v11, v10, s[6:7] scale_offset
	v_lshl_add_u64 v[52:53], v[6:7], 2, s[8:9]
	v_add_nc_u32_e32 v6, 0x200, v6
	s_wait_xcnt 0x0
	v_add_nc_u32_e32 v10, 16, v10
	s_delay_alu instid0(VALU_DEP_1) | instskip(SKIP_3) | instid1(VALU_DEP_1)
	v_cmp_ge_i32_e32 vcc_lo, v10, v8
	s_or_b32 s4, vcc_lo, s4
	s_wait_loadcnt 0x0
	v_subrev_nc_u32_e32 v11, s16, v11
	v_dual_mov_b32 v13, v7 :: v_dual_lshlrev_b32 v12, 3, v11
	s_delay_alu instid0(VALU_DEP_1)
	v_lshl_add_u64 v[54:55], v[12:13], 2, s[10:11]
	s_clause 0x1
	global_load_b128 v[12:15], v[52:53], off offset:16
	global_load_b128 v[16:19], v[52:53], off
	s_clause 0x1
	global_load_b128 v[20:23], v[54:55], off
	global_load_b128 v[24:27], v[54:55], off offset:16
	s_clause 0x5
	global_load_b128 v[28:31], v[52:53], off offset:32
	global_load_b128 v[32:35], v[52:53], off offset:48
	global_load_b128 v[36:39], v[52:53], off offset:64
	global_load_b128 v[40:43], v[52:53], off offset:80
	global_load_b128 v[44:47], v[52:53], off offset:96
	global_load_b128 v[48:51], v[52:53], off offset:112
	s_wait_loadcnt 0x7
	v_pk_fma_f32 v[4:5], v[16:17], v[20:21], v[4:5] op_sel_hi:[1,0,1]
	v_pk_fma_f32 v[0:1], v[18:19], v[20:21], v[0:1] op_sel_hi:[1,0,1]
	s_delay_alu instid0(VALU_DEP_2) | instskip(NEXT) | instid1(VALU_DEP_2)
	v_pk_fma_f32 v[4:5], v[12:13], v[20:21], v[4:5] op_sel:[0,1,0]
	v_pk_fma_f32 v[0:1], v[14:15], v[20:21], v[0:1] op_sel:[0,1,0]
	v_mov_b32_e32 v12, v23
	s_wait_loadcnt 0x5
	s_delay_alu instid0(VALU_DEP_3) | instskip(NEXT) | instid1(VALU_DEP_3)
	v_pk_fma_f32 v[4:5], v[28:29], v[22:23], v[4:5] op_sel_hi:[1,0,1]
	v_pk_fma_f32 v[0:1], v[30:31], v[22:23], v[0:1] op_sel_hi:[1,0,1]
	s_wait_loadcnt 0x4
	s_delay_alu instid0(VALU_DEP_2) | instskip(NEXT) | instid1(VALU_DEP_2)
	v_pk_fma_f32 v[4:5], v[32:33], v[12:13], v[4:5] op_sel_hi:[1,0,1]
	v_pk_fma_f32 v[0:1], v[34:35], v[12:13], v[0:1] op_sel_hi:[1,0,1]
	v_mov_b32_e32 v12, v27
	s_wait_loadcnt 0x3
	s_delay_alu instid0(VALU_DEP_3) | instskip(NEXT) | instid1(VALU_DEP_3)
	v_pk_fma_f32 v[4:5], v[36:37], v[24:25], v[4:5] op_sel_hi:[1,0,1]
	v_pk_fma_f32 v[0:1], v[38:39], v[24:25], v[0:1] op_sel_hi:[1,0,1]
	s_wait_loadcnt 0x2
	s_delay_alu instid0(VALU_DEP_2) | instskip(NEXT) | instid1(VALU_DEP_2)
	v_pk_fma_f32 v[4:5], v[40:41], v[24:25], v[4:5] op_sel:[0,1,0]
	v_pk_fma_f32 v[0:1], v[42:43], v[24:25], v[0:1] op_sel:[0,1,0]
	s_wait_loadcnt 0x1
	s_delay_alu instid0(VALU_DEP_2) | instskip(NEXT) | instid1(VALU_DEP_2)
	v_pk_fma_f32 v[4:5], v[44:45], v[26:27], v[4:5] op_sel_hi:[1,0,1]
	v_pk_fma_f32 v[0:1], v[46:47], v[26:27], v[0:1] op_sel_hi:[1,0,1]
	s_wait_loadcnt 0x0
	s_delay_alu instid0(VALU_DEP_2) | instskip(NEXT) | instid1(VALU_DEP_2)
	v_pk_fma_f32 v[4:5], v[48:49], v[12:13], v[4:5] op_sel_hi:[1,0,1]
	v_pk_fma_f32 v[0:1], v[50:51], v[12:13], v[0:1] op_sel_hi:[1,0,1]
	s_and_not1_b32 exec_lo, exec_lo, s4
	s_cbranch_execnz .LBB32_9
; %bb.10:
	s_or_b32 exec_lo, exec_lo, s4
.LBB32_11:
	s_delay_alu instid0(SALU_CYCLE_1)
	s_or_b32 exec_lo, exec_lo, s3
	s_cbranch_execz .LBB32_13
	s_branch .LBB32_18
.LBB32_12:
                                        ; implicit-def: $vgpr1
                                        ; implicit-def: $vgpr5
.LBB32_13:
	v_mov_b32_e32 v1, 0
	s_delay_alu instid0(VALU_DEP_1)
	v_dual_mov_b32 v0, v1 :: v_dual_mov_b32 v5, v1
	v_mov_b32_e32 v4, v1
	s_and_saveexec_b32 s3, s2
	s_cbranch_execz .LBB32_17
; %bb.14:
	v_dual_mov_b32 v7, 0 :: v_dual_lshlrev_b32 v6, 5, v9
	s_mov_b32 s2, 0
	s_delay_alu instid0(VALU_DEP_1)
	v_dual_mov_b32 v0, v7 :: v_dual_mov_b32 v1, v7
	v_dual_mov_b32 v4, v7 :: v_dual_mov_b32 v5, v7
.LBB32_15:                              ; =>This Inner Loop Header: Depth=1
	global_load_b32 v18, v9, s[6:7] scale_offset
	v_lshl_add_u64 v[42:43], v[6:7], 2, s[8:9]
	v_add_nc_u32_e32 v6, 0x200, v6
	s_clause 0x1
	global_load_b128 v[10:13], v[42:43], off offset:48
	global_load_b128 v[14:17], v[42:43], off offset:32
	s_wait_loadcnt 0x2
	v_subrev_nc_u32_e32 v30, s16, v18
	v_mov_b32_e32 v45, v7
	s_clause 0x2
	global_load_b128 v[18:21], v[42:43], off offset:16
	global_load_b128 v[22:25], v[42:43], off
	global_load_b128 v[26:29], v[42:43], off offset:112
	v_dual_add_nc_u32 v9, 16, v9 :: v_dual_lshlrev_b32 v44, 3, v30
	s_clause 0x2
	global_load_b128 v[30:33], v[42:43], off offset:96
	global_load_b128 v[34:37], v[42:43], off offset:80
	;; [unrolled: 1-line block ×3, first 2 shown]
	s_wait_loadcnt 0x6
	v_mov_b32_e32 v53, v16
	v_lshl_add_u64 v[50:51], v[44:45], 2, s[10:11]
	s_clause 0x1
	global_load_b128 v[42:45], v[50:51], off
	global_load_b128 v[46:49], v[50:51], off offset:16
	s_wait_loadcnt 0x6
	s_wait_xcnt 0x0
	v_dual_mov_b32 v51, v14 :: v_dual_mov_b32 v14, v23
	v_dual_mov_b32 v50, v22 :: v_dual_mov_b32 v52, v24
	v_cmp_ge_i32_e32 vcc_lo, v9, v8
	s_wait_loadcnt 0x2
	v_dual_mov_b32 v23, v30 :: v_dual_mov_b32 v22, v38
	v_dual_mov_b32 v30, v39 :: v_dual_mov_b32 v16, v25
	s_or_b32 s2, vcc_lo, s2
	s_wait_loadcnt 0x1
	v_pk_fma_f32 v[4:5], v[50:51], v[42:43], v[4:5] op_sel_hi:[1,0,1]
	v_pk_fma_f32 v[0:1], v[22:23], v[42:43], v[0:1] op_sel_hi:[1,0,1]
	v_dual_mov_b32 v22, v40 :: v_dual_mov_b32 v23, v32
	v_mov_b32_e32 v32, v41
	s_delay_alu instid0(VALU_DEP_4) | instskip(NEXT) | instid1(VALU_DEP_4)
	v_pk_fma_f32 v[4:5], v[14:15], v[42:43], v[4:5] op_sel:[0,1,0]
	v_pk_fma_f32 v[0:1], v[30:31], v[42:43], v[0:1] op_sel:[0,1,0]
	v_dual_mov_b32 v14, v18 :: v_dual_mov_b32 v18, v45
	v_mov_b32_e32 v15, v10
	s_delay_alu instid0(VALU_DEP_4) | instskip(NEXT) | instid1(VALU_DEP_4)
	v_pk_fma_f32 v[4:5], v[52:53], v[44:45], v[4:5] op_sel_hi:[1,0,1]
	v_pk_fma_f32 v[0:1], v[22:23], v[44:45], v[0:1] op_sel_hi:[1,0,1]
	v_dual_mov_b32 v22, v34 :: v_dual_mov_b32 v23, v26
	v_mov_b32_e32 v10, v19
	s_delay_alu instid0(VALU_DEP_4) | instskip(NEXT) | instid1(VALU_DEP_4)
	v_pk_fma_f32 v[4:5], v[16:17], v[18:19], v[4:5] op_sel_hi:[1,0,1]
	v_pk_fma_f32 v[0:1], v[32:33], v[18:19], v[0:1] op_sel_hi:[1,0,1]
	v_dual_mov_b32 v26, v35 :: v_dual_mov_b32 v17, v12
	v_mov_b32_e32 v16, v20
	s_wait_loadcnt 0x0
	v_pk_fma_f32 v[4:5], v[14:15], v[46:47], v[4:5] op_sel_hi:[1,0,1]
	v_pk_fma_f32 v[0:1], v[22:23], v[46:47], v[0:1] op_sel_hi:[1,0,1]
	v_dual_mov_b32 v14, v36 :: v_dual_mov_b32 v15, v28
	v_dual_mov_b32 v12, v21 :: v_dual_mov_b32 v28, v37
	s_delay_alu instid0(VALU_DEP_4) | instskip(NEXT) | instid1(VALU_DEP_4)
	v_pk_fma_f32 v[4:5], v[10:11], v[46:47], v[4:5] op_sel:[0,1,0]
	v_pk_fma_f32 v[0:1], v[26:27], v[46:47], v[0:1] op_sel:[0,1,0]
	v_mov_b32_e32 v10, v49
	s_delay_alu instid0(VALU_DEP_3) | instskip(NEXT) | instid1(VALU_DEP_3)
	v_pk_fma_f32 v[4:5], v[16:17], v[48:49], v[4:5] op_sel_hi:[1,0,1]
	v_pk_fma_f32 v[0:1], v[14:15], v[48:49], v[0:1] op_sel_hi:[1,0,1]
	s_delay_alu instid0(VALU_DEP_2) | instskip(NEXT) | instid1(VALU_DEP_2)
	v_pk_fma_f32 v[4:5], v[12:13], v[10:11], v[4:5] op_sel_hi:[1,0,1]
	v_pk_fma_f32 v[0:1], v[28:29], v[10:11], v[0:1] op_sel_hi:[1,0,1]
	s_and_not1_b32 exec_lo, exec_lo, s2
	s_cbranch_execnz .LBB32_15
; %bb.16:
	s_or_b32 exec_lo, exec_lo, s2
.LBB32_17:
	s_delay_alu instid0(SALU_CYCLE_1)
	s_or_b32 exec_lo, exec_lo, s3
.LBB32_18:
	v_mbcnt_lo_u32_b32 v10, -1, 0
	s_mov_b32 s2, -1
	s_delay_alu instid0(VALU_DEP_1) | instskip(SKIP_1) | instid1(VALU_DEP_1)
	v_xor_b32_e32 v11, 4, v10
	v_xor_b32_e32 v6, 8, v10
	v_cmp_gt_i32_e32 vcc_lo, 32, v6
	v_cndmask_b32_e32 v6, v10, v6, vcc_lo
	s_delay_alu instid0(VALU_DEP_4) | instskip(SKIP_1) | instid1(VALU_DEP_1)
	v_cmp_gt_i32_e32 vcc_lo, 32, v11
	v_cndmask_b32_e32 v11, v10, v11, vcc_lo
	v_dual_lshlrev_b32 v11, 2, v11 :: v_dual_lshlrev_b32 v9, 2, v6
	ds_bpermute_b32 v6, v9, v4
	ds_bpermute_b32 v7, v9, v5
	;; [unrolled: 1-line block ×4, first 2 shown]
	s_wait_dscnt 0x2
	v_pk_add_f32 v[4:5], v[4:5], v[6:7]
	s_wait_dscnt 0x0
	v_pk_add_f32 v[0:1], v[0:1], v[8:9]
	ds_bpermute_b32 v6, v11, v4
	ds_bpermute_b32 v7, v11, v5
	ds_bpermute_b32 v8, v11, v0
	ds_bpermute_b32 v9, v11, v1
	v_xor_b32_e32 v11, 2, v10
	s_delay_alu instid0(VALU_DEP_1) | instskip(SKIP_1) | instid1(VALU_DEP_1)
	v_cmp_gt_i32_e32 vcc_lo, 32, v11
	v_cndmask_b32_e32 v11, v10, v11, vcc_lo
	v_lshlrev_b32_e32 v11, 2, v11
	s_wait_dscnt 0x2
	v_pk_add_f32 v[4:5], v[4:5], v[6:7]
	s_wait_dscnt 0x0
	v_pk_add_f32 v[6:7], v[0:1], v[8:9]
	ds_bpermute_b32 v0, v11, v4
	ds_bpermute_b32 v1, v11, v5
	;; [unrolled: 1-line block ×4, first 2 shown]
	v_xor_b32_e32 v11, 1, v10
	s_delay_alu instid0(VALU_DEP_1) | instskip(SKIP_2) | instid1(VALU_DEP_2)
	v_cmp_gt_i32_e32 vcc_lo, 32, v11
	v_cndmask_b32_e32 v10, v10, v11, vcc_lo
	v_cmp_eq_u32_e32 vcc_lo, 15, v3
	v_lshlrev_b32_e32 v10, 2, v10
	s_wait_dscnt 0x2
	v_pk_add_f32 v[0:1], v[4:5], v[0:1]
	s_wait_dscnt 0x0
	v_pk_add_f32 v[6:7], v[6:7], v[8:9]
	ds_bpermute_b32 v4, v10, v0
	ds_bpermute_b32 v5, v10, v1
	;; [unrolled: 1-line block ×4, first 2 shown]
	s_and_b32 exec_lo, exec_lo, vcc_lo
	s_cbranch_execz .LBB32_23
; %bb.19:
	s_load_b64 s[0:1], s[0:1], 0x38
	s_wait_dscnt 0x2
	v_pk_add_f32 v[4:5], v[0:1], v[4:5]
	s_wait_dscnt 0x0
	v_pk_add_f32 v[0:1], v[6:7], v[8:9]
	v_lshlrev_b32_e32 v2, 2, v2
	s_cmp_eq_f32 s12, 0
	s_cbranch_scc0 .LBB32_21
; %bb.20:
	s_delay_alu instid0(VALU_DEP_1)
	v_ashrrev_i32_e32 v3, 31, v2
	v_pk_mul_f32 v[6:7], s[14:15], v[4:5] op_sel_hi:[0,1]
	v_pk_mul_f32 v[8:9], s[14:15], v[0:1] op_sel_hi:[0,1]
	s_mov_b32 s2, 0
	s_wait_kmcnt 0x0
	v_lshl_add_u64 v[10:11], v[2:3], 2, s[0:1]
	global_store_b128 v[10:11], v[6:9], off
.LBB32_21:
	s_and_not1_b32 vcc_lo, exec_lo, s2
	s_cbranch_vccnz .LBB32_23
; %bb.22:
	v_ashrrev_i32_e32 v3, 31, v2
	s_wait_kmcnt 0x0
	s_delay_alu instid0(VALU_DEP_1)
	v_lshl_add_u64 v[10:11], v[2:3], 2, s[0:1]
	v_pk_mul_f32 v[2:3], s[14:15], v[4:5] op_sel_hi:[0,1]
	v_pk_mul_f32 v[4:5], s[14:15], v[0:1] op_sel_hi:[0,1]
	global_load_b128 v[6:9], v[10:11], off
	s_wait_loadcnt 0x0
	v_pk_fma_f32 v[0:1], s[12:13], v[6:7], v[2:3] op_sel_hi:[0,1,1]
	v_pk_fma_f32 v[2:3], s[12:13], v[8:9], v[4:5] op_sel_hi:[0,1,1]
	global_store_b128 v[10:11], v[0:3], off
.LBB32_23:
	s_endpgm
	.section	.rodata,"a",@progbits
	.p2align	6, 0x0
	.amdhsa_kernel _ZN9rocsparseL19gebsrmvn_4xn_kernelILj128ELj8ELj16EfEEvi20rocsparse_direction_NS_24const_host_device_scalarIT2_EEPKiS6_PKS3_S8_S4_PS3_21rocsparse_index_base_b
		.amdhsa_group_segment_fixed_size 0
		.amdhsa_private_segment_fixed_size 0
		.amdhsa_kernarg_size 72
		.amdhsa_user_sgpr_count 2
		.amdhsa_user_sgpr_dispatch_ptr 0
		.amdhsa_user_sgpr_queue_ptr 0
		.amdhsa_user_sgpr_kernarg_segment_ptr 1
		.amdhsa_user_sgpr_dispatch_id 0
		.amdhsa_user_sgpr_kernarg_preload_length 0
		.amdhsa_user_sgpr_kernarg_preload_offset 0
		.amdhsa_user_sgpr_private_segment_size 0
		.amdhsa_wavefront_size32 1
		.amdhsa_uses_dynamic_stack 0
		.amdhsa_enable_private_segment 0
		.amdhsa_system_sgpr_workgroup_id_x 1
		.amdhsa_system_sgpr_workgroup_id_y 0
		.amdhsa_system_sgpr_workgroup_id_z 0
		.amdhsa_system_sgpr_workgroup_info 0
		.amdhsa_system_vgpr_workitem_id 0
		.amdhsa_next_free_vgpr 56
		.amdhsa_next_free_sgpr 18
		.amdhsa_named_barrier_count 0
		.amdhsa_reserve_vcc 1
		.amdhsa_float_round_mode_32 0
		.amdhsa_float_round_mode_16_64 0
		.amdhsa_float_denorm_mode_32 3
		.amdhsa_float_denorm_mode_16_64 3
		.amdhsa_fp16_overflow 0
		.amdhsa_memory_ordered 1
		.amdhsa_forward_progress 1
		.amdhsa_inst_pref_size 15
		.amdhsa_round_robin_scheduling 0
		.amdhsa_exception_fp_ieee_invalid_op 0
		.amdhsa_exception_fp_denorm_src 0
		.amdhsa_exception_fp_ieee_div_zero 0
		.amdhsa_exception_fp_ieee_overflow 0
		.amdhsa_exception_fp_ieee_underflow 0
		.amdhsa_exception_fp_ieee_inexact 0
		.amdhsa_exception_int_div_zero 0
	.end_amdhsa_kernel
	.section	.text._ZN9rocsparseL19gebsrmvn_4xn_kernelILj128ELj8ELj16EfEEvi20rocsparse_direction_NS_24const_host_device_scalarIT2_EEPKiS6_PKS3_S8_S4_PS3_21rocsparse_index_base_b,"axG",@progbits,_ZN9rocsparseL19gebsrmvn_4xn_kernelILj128ELj8ELj16EfEEvi20rocsparse_direction_NS_24const_host_device_scalarIT2_EEPKiS6_PKS3_S8_S4_PS3_21rocsparse_index_base_b,comdat
.Lfunc_end32:
	.size	_ZN9rocsparseL19gebsrmvn_4xn_kernelILj128ELj8ELj16EfEEvi20rocsparse_direction_NS_24const_host_device_scalarIT2_EEPKiS6_PKS3_S8_S4_PS3_21rocsparse_index_base_b, .Lfunc_end32-_ZN9rocsparseL19gebsrmvn_4xn_kernelILj128ELj8ELj16EfEEvi20rocsparse_direction_NS_24const_host_device_scalarIT2_EEPKiS6_PKS3_S8_S4_PS3_21rocsparse_index_base_b
                                        ; -- End function
	.set _ZN9rocsparseL19gebsrmvn_4xn_kernelILj128ELj8ELj16EfEEvi20rocsparse_direction_NS_24const_host_device_scalarIT2_EEPKiS6_PKS3_S8_S4_PS3_21rocsparse_index_base_b.num_vgpr, 56
	.set _ZN9rocsparseL19gebsrmvn_4xn_kernelILj128ELj8ELj16EfEEvi20rocsparse_direction_NS_24const_host_device_scalarIT2_EEPKiS6_PKS3_S8_S4_PS3_21rocsparse_index_base_b.num_agpr, 0
	.set _ZN9rocsparseL19gebsrmvn_4xn_kernelILj128ELj8ELj16EfEEvi20rocsparse_direction_NS_24const_host_device_scalarIT2_EEPKiS6_PKS3_S8_S4_PS3_21rocsparse_index_base_b.numbered_sgpr, 18
	.set _ZN9rocsparseL19gebsrmvn_4xn_kernelILj128ELj8ELj16EfEEvi20rocsparse_direction_NS_24const_host_device_scalarIT2_EEPKiS6_PKS3_S8_S4_PS3_21rocsparse_index_base_b.num_named_barrier, 0
	.set _ZN9rocsparseL19gebsrmvn_4xn_kernelILj128ELj8ELj16EfEEvi20rocsparse_direction_NS_24const_host_device_scalarIT2_EEPKiS6_PKS3_S8_S4_PS3_21rocsparse_index_base_b.private_seg_size, 0
	.set _ZN9rocsparseL19gebsrmvn_4xn_kernelILj128ELj8ELj16EfEEvi20rocsparse_direction_NS_24const_host_device_scalarIT2_EEPKiS6_PKS3_S8_S4_PS3_21rocsparse_index_base_b.uses_vcc, 1
	.set _ZN9rocsparseL19gebsrmvn_4xn_kernelILj128ELj8ELj16EfEEvi20rocsparse_direction_NS_24const_host_device_scalarIT2_EEPKiS6_PKS3_S8_S4_PS3_21rocsparse_index_base_b.uses_flat_scratch, 0
	.set _ZN9rocsparseL19gebsrmvn_4xn_kernelILj128ELj8ELj16EfEEvi20rocsparse_direction_NS_24const_host_device_scalarIT2_EEPKiS6_PKS3_S8_S4_PS3_21rocsparse_index_base_b.has_dyn_sized_stack, 0
	.set _ZN9rocsparseL19gebsrmvn_4xn_kernelILj128ELj8ELj16EfEEvi20rocsparse_direction_NS_24const_host_device_scalarIT2_EEPKiS6_PKS3_S8_S4_PS3_21rocsparse_index_base_b.has_recursion, 0
	.set _ZN9rocsparseL19gebsrmvn_4xn_kernelILj128ELj8ELj16EfEEvi20rocsparse_direction_NS_24const_host_device_scalarIT2_EEPKiS6_PKS3_S8_S4_PS3_21rocsparse_index_base_b.has_indirect_call, 0
	.section	.AMDGPU.csdata,"",@progbits
; Kernel info:
; codeLenInByte = 1844
; TotalNumSgprs: 20
; NumVgprs: 56
; ScratchSize: 0
; MemoryBound: 0
; FloatMode: 240
; IeeeMode: 1
; LDSByteSize: 0 bytes/workgroup (compile time only)
; SGPRBlocks: 0
; VGPRBlocks: 3
; NumSGPRsForWavesPerEU: 20
; NumVGPRsForWavesPerEU: 56
; NamedBarCnt: 0
; Occupancy: 16
; WaveLimiterHint : 1
; COMPUTE_PGM_RSRC2:SCRATCH_EN: 0
; COMPUTE_PGM_RSRC2:USER_SGPR: 2
; COMPUTE_PGM_RSRC2:TRAP_HANDLER: 0
; COMPUTE_PGM_RSRC2:TGID_X_EN: 1
; COMPUTE_PGM_RSRC2:TGID_Y_EN: 0
; COMPUTE_PGM_RSRC2:TGID_Z_EN: 0
; COMPUTE_PGM_RSRC2:TIDIG_COMP_CNT: 0
	.section	.text._ZN9rocsparseL19gebsrmvn_4xn_kernelILj128ELj8ELj32EfEEvi20rocsparse_direction_NS_24const_host_device_scalarIT2_EEPKiS6_PKS3_S8_S4_PS3_21rocsparse_index_base_b,"axG",@progbits,_ZN9rocsparseL19gebsrmvn_4xn_kernelILj128ELj8ELj32EfEEvi20rocsparse_direction_NS_24const_host_device_scalarIT2_EEPKiS6_PKS3_S8_S4_PS3_21rocsparse_index_base_b,comdat
	.globl	_ZN9rocsparseL19gebsrmvn_4xn_kernelILj128ELj8ELj32EfEEvi20rocsparse_direction_NS_24const_host_device_scalarIT2_EEPKiS6_PKS3_S8_S4_PS3_21rocsparse_index_base_b ; -- Begin function _ZN9rocsparseL19gebsrmvn_4xn_kernelILj128ELj8ELj32EfEEvi20rocsparse_direction_NS_24const_host_device_scalarIT2_EEPKiS6_PKS3_S8_S4_PS3_21rocsparse_index_base_b
	.p2align	8
	.type	_ZN9rocsparseL19gebsrmvn_4xn_kernelILj128ELj8ELj32EfEEvi20rocsparse_direction_NS_24const_host_device_scalarIT2_EEPKiS6_PKS3_S8_S4_PS3_21rocsparse_index_base_b,@function
_ZN9rocsparseL19gebsrmvn_4xn_kernelILj128ELj8ELj32EfEEvi20rocsparse_direction_NS_24const_host_device_scalarIT2_EEPKiS6_PKS3_S8_S4_PS3_21rocsparse_index_base_b: ; @_ZN9rocsparseL19gebsrmvn_4xn_kernelILj128ELj8ELj32EfEEvi20rocsparse_direction_NS_24const_host_device_scalarIT2_EEPKiS6_PKS3_S8_S4_PS3_21rocsparse_index_base_b
; %bb.0:
	s_clause 0x2
	s_load_b64 s[16:17], s[0:1], 0x40
	s_load_b64 s[14:15], s[0:1], 0x8
	;; [unrolled: 1-line block ×3, first 2 shown]
	s_wait_kmcnt 0x0
	s_bitcmp1_b32 s17, 0
	s_cselect_b32 s2, -1, 0
	s_delay_alu instid0(SALU_CYCLE_1)
	s_and_b32 vcc_lo, exec_lo, s2
	s_xor_b32 s2, s2, -1
	s_cbranch_vccnz .LBB33_2
; %bb.1:
	s_load_b32 s14, s[14:15], 0x0
.LBB33_2:
	s_and_not1_b32 vcc_lo, exec_lo, s2
	s_cbranch_vccnz .LBB33_4
; %bb.3:
	s_load_b32 s12, s[12:13], 0x0
.LBB33_4:
	s_wait_kmcnt 0x0
	s_cmp_eq_f32 s14, 0
	s_cselect_b32 s2, -1, 0
	s_cmp_eq_f32 s12, 1.0
	s_cselect_b32 s3, -1, 0
	s_delay_alu instid0(SALU_CYCLE_1) | instskip(NEXT) | instid1(SALU_CYCLE_1)
	s_and_b32 s2, s2, s3
	s_and_b32 vcc_lo, exec_lo, s2
	s_cbranch_vccnz .LBB33_23
; %bb.5:
	s_load_b64 s[2:3], s[0:1], 0x0
	s_bfe_u32 s4, ttmp6, 0x4000c
	s_and_b32 s5, ttmp6, 15
	s_add_co_i32 s4, s4, 1
	s_getreg_b32 s6, hwreg(HW_REG_IB_STS2, 6, 4)
	s_mul_i32 s4, ttmp9, s4
	v_lshrrev_b32_e32 v1, 5, v0
	s_add_co_i32 s5, s5, s4
	s_cmp_eq_u32 s6, 0
	s_cselect_b32 s4, ttmp9, s5
	s_delay_alu instid0(VALU_DEP_1) | instid1(SALU_CYCLE_1)
	v_lshl_or_b32 v2, s4, 2, v1
	s_wait_kmcnt 0x0
	s_delay_alu instid0(VALU_DEP_1)
	v_cmp_gt_i32_e32 vcc_lo, s2, v2
	s_and_saveexec_b32 s2, vcc_lo
	s_cbranch_execz .LBB33_23
; %bb.6:
	s_load_b256 s[4:11], s[0:1], 0x10
	v_ashrrev_i32_e32 v3, 31, v2
	s_cmp_lg_u32 s3, 0
	s_wait_kmcnt 0x0
	s_delay_alu instid0(VALU_DEP_1)
	v_lshl_add_u64 v[4:5], v[2:3], 2, s[4:5]
	v_and_b32_e32 v3, 31, v0
	global_load_b64 v[4:5], v[4:5], off
	s_wait_loadcnt 0x0
	v_subrev_nc_u32_e32 v0, s16, v4
	v_subrev_nc_u32_e32 v8, s16, v5
	s_delay_alu instid0(VALU_DEP_2) | instskip(NEXT) | instid1(VALU_DEP_1)
	v_add_nc_u32_e32 v9, v0, v3
	v_cmp_lt_i32_e64 s2, v9, v8
	s_cbranch_scc0 .LBB33_12
; %bb.7:
	v_mov_b32_e32 v1, 0
	s_delay_alu instid0(VALU_DEP_1)
	v_dual_mov_b32 v0, v1 :: v_dual_mov_b32 v5, v1
	v_mov_b32_e32 v4, v1
	s_and_saveexec_b32 s3, s2
	s_cbranch_execz .LBB33_11
; %bb.8:
	v_dual_mov_b32 v7, 0 :: v_dual_lshlrev_b32 v6, 5, v9
	v_mov_b32_e32 v10, v9
	s_mov_b32 s4, 0
	s_delay_alu instid0(VALU_DEP_2)
	v_dual_mov_b32 v0, v7 :: v_dual_mov_b32 v1, v7
	v_dual_mov_b32 v4, v7 :: v_dual_mov_b32 v5, v7
.LBB33_9:                               ; =>This Inner Loop Header: Depth=1
	global_load_b32 v11, v10, s[6:7] scale_offset
	v_lshl_add_u64 v[52:53], v[6:7], 2, s[8:9]
	v_add_nc_u32_e32 v6, 0x400, v6
	s_wait_xcnt 0x0
	v_add_nc_u32_e32 v10, 32, v10
	s_delay_alu instid0(VALU_DEP_1) | instskip(SKIP_3) | instid1(VALU_DEP_1)
	v_cmp_ge_i32_e32 vcc_lo, v10, v8
	s_or_b32 s4, vcc_lo, s4
	s_wait_loadcnt 0x0
	v_subrev_nc_u32_e32 v11, s16, v11
	v_dual_mov_b32 v13, v7 :: v_dual_lshlrev_b32 v12, 3, v11
	s_delay_alu instid0(VALU_DEP_1)
	v_lshl_add_u64 v[54:55], v[12:13], 2, s[10:11]
	s_clause 0x1
	global_load_b128 v[12:15], v[52:53], off offset:16
	global_load_b128 v[16:19], v[52:53], off
	s_clause 0x1
	global_load_b128 v[20:23], v[54:55], off
	global_load_b128 v[24:27], v[54:55], off offset:16
	s_clause 0x5
	global_load_b128 v[28:31], v[52:53], off offset:32
	global_load_b128 v[32:35], v[52:53], off offset:48
	;; [unrolled: 1-line block ×6, first 2 shown]
	s_wait_loadcnt 0x7
	v_pk_fma_f32 v[4:5], v[16:17], v[20:21], v[4:5] op_sel_hi:[1,0,1]
	v_pk_fma_f32 v[0:1], v[18:19], v[20:21], v[0:1] op_sel_hi:[1,0,1]
	s_delay_alu instid0(VALU_DEP_2) | instskip(NEXT) | instid1(VALU_DEP_2)
	v_pk_fma_f32 v[4:5], v[12:13], v[20:21], v[4:5] op_sel:[0,1,0]
	v_pk_fma_f32 v[0:1], v[14:15], v[20:21], v[0:1] op_sel:[0,1,0]
	v_mov_b32_e32 v12, v23
	s_wait_loadcnt 0x5
	s_delay_alu instid0(VALU_DEP_3) | instskip(NEXT) | instid1(VALU_DEP_3)
	v_pk_fma_f32 v[4:5], v[28:29], v[22:23], v[4:5] op_sel_hi:[1,0,1]
	v_pk_fma_f32 v[0:1], v[30:31], v[22:23], v[0:1] op_sel_hi:[1,0,1]
	s_wait_loadcnt 0x4
	s_delay_alu instid0(VALU_DEP_2) | instskip(NEXT) | instid1(VALU_DEP_2)
	v_pk_fma_f32 v[4:5], v[32:33], v[12:13], v[4:5] op_sel_hi:[1,0,1]
	v_pk_fma_f32 v[0:1], v[34:35], v[12:13], v[0:1] op_sel_hi:[1,0,1]
	v_mov_b32_e32 v12, v27
	s_wait_loadcnt 0x3
	s_delay_alu instid0(VALU_DEP_3) | instskip(NEXT) | instid1(VALU_DEP_3)
	v_pk_fma_f32 v[4:5], v[36:37], v[24:25], v[4:5] op_sel_hi:[1,0,1]
	v_pk_fma_f32 v[0:1], v[38:39], v[24:25], v[0:1] op_sel_hi:[1,0,1]
	s_wait_loadcnt 0x2
	s_delay_alu instid0(VALU_DEP_2) | instskip(NEXT) | instid1(VALU_DEP_2)
	v_pk_fma_f32 v[4:5], v[40:41], v[24:25], v[4:5] op_sel:[0,1,0]
	v_pk_fma_f32 v[0:1], v[42:43], v[24:25], v[0:1] op_sel:[0,1,0]
	s_wait_loadcnt 0x1
	s_delay_alu instid0(VALU_DEP_2) | instskip(NEXT) | instid1(VALU_DEP_2)
	v_pk_fma_f32 v[4:5], v[44:45], v[26:27], v[4:5] op_sel_hi:[1,0,1]
	v_pk_fma_f32 v[0:1], v[46:47], v[26:27], v[0:1] op_sel_hi:[1,0,1]
	s_wait_loadcnt 0x0
	s_delay_alu instid0(VALU_DEP_2) | instskip(NEXT) | instid1(VALU_DEP_2)
	v_pk_fma_f32 v[4:5], v[48:49], v[12:13], v[4:5] op_sel_hi:[1,0,1]
	v_pk_fma_f32 v[0:1], v[50:51], v[12:13], v[0:1] op_sel_hi:[1,0,1]
	s_and_not1_b32 exec_lo, exec_lo, s4
	s_cbranch_execnz .LBB33_9
; %bb.10:
	s_or_b32 exec_lo, exec_lo, s4
.LBB33_11:
	s_delay_alu instid0(SALU_CYCLE_1)
	s_or_b32 exec_lo, exec_lo, s3
	s_cbranch_execz .LBB33_13
	s_branch .LBB33_18
.LBB33_12:
                                        ; implicit-def: $vgpr1
                                        ; implicit-def: $vgpr5
.LBB33_13:
	v_mov_b32_e32 v1, 0
	s_delay_alu instid0(VALU_DEP_1)
	v_dual_mov_b32 v0, v1 :: v_dual_mov_b32 v5, v1
	v_mov_b32_e32 v4, v1
	s_and_saveexec_b32 s3, s2
	s_cbranch_execz .LBB33_17
; %bb.14:
	v_dual_mov_b32 v7, 0 :: v_dual_lshlrev_b32 v6, 5, v9
	s_mov_b32 s2, 0
	s_delay_alu instid0(VALU_DEP_1)
	v_dual_mov_b32 v0, v7 :: v_dual_mov_b32 v1, v7
	v_dual_mov_b32 v4, v7 :: v_dual_mov_b32 v5, v7
.LBB33_15:                              ; =>This Inner Loop Header: Depth=1
	global_load_b32 v18, v9, s[6:7] scale_offset
	v_lshl_add_u64 v[42:43], v[6:7], 2, s[8:9]
	v_add_nc_u32_e32 v6, 0x400, v6
	s_clause 0x1
	global_load_b128 v[10:13], v[42:43], off offset:48
	global_load_b128 v[14:17], v[42:43], off offset:32
	s_wait_loadcnt 0x2
	v_subrev_nc_u32_e32 v30, s16, v18
	v_mov_b32_e32 v45, v7
	s_clause 0x2
	global_load_b128 v[18:21], v[42:43], off offset:16
	global_load_b128 v[22:25], v[42:43], off
	global_load_b128 v[26:29], v[42:43], off offset:112
	v_dual_add_nc_u32 v9, 32, v9 :: v_dual_lshlrev_b32 v44, 3, v30
	s_clause 0x2
	global_load_b128 v[30:33], v[42:43], off offset:96
	global_load_b128 v[34:37], v[42:43], off offset:80
	;; [unrolled: 1-line block ×3, first 2 shown]
	s_wait_loadcnt 0x6
	v_mov_b32_e32 v53, v16
	v_lshl_add_u64 v[50:51], v[44:45], 2, s[10:11]
	s_clause 0x1
	global_load_b128 v[42:45], v[50:51], off
	global_load_b128 v[46:49], v[50:51], off offset:16
	s_wait_loadcnt 0x6
	s_wait_xcnt 0x0
	v_dual_mov_b32 v51, v14 :: v_dual_mov_b32 v14, v23
	v_dual_mov_b32 v50, v22 :: v_dual_mov_b32 v52, v24
	v_cmp_ge_i32_e32 vcc_lo, v9, v8
	s_wait_loadcnt 0x2
	v_dual_mov_b32 v23, v30 :: v_dual_mov_b32 v22, v38
	v_dual_mov_b32 v30, v39 :: v_dual_mov_b32 v16, v25
	s_or_b32 s2, vcc_lo, s2
	s_wait_loadcnt 0x1
	v_pk_fma_f32 v[4:5], v[50:51], v[42:43], v[4:5] op_sel_hi:[1,0,1]
	v_pk_fma_f32 v[0:1], v[22:23], v[42:43], v[0:1] op_sel_hi:[1,0,1]
	v_dual_mov_b32 v22, v40 :: v_dual_mov_b32 v23, v32
	v_mov_b32_e32 v32, v41
	s_delay_alu instid0(VALU_DEP_4) | instskip(NEXT) | instid1(VALU_DEP_4)
	v_pk_fma_f32 v[4:5], v[14:15], v[42:43], v[4:5] op_sel:[0,1,0]
	v_pk_fma_f32 v[0:1], v[30:31], v[42:43], v[0:1] op_sel:[0,1,0]
	v_dual_mov_b32 v14, v18 :: v_dual_mov_b32 v18, v45
	v_mov_b32_e32 v15, v10
	s_delay_alu instid0(VALU_DEP_4) | instskip(NEXT) | instid1(VALU_DEP_4)
	v_pk_fma_f32 v[4:5], v[52:53], v[44:45], v[4:5] op_sel_hi:[1,0,1]
	v_pk_fma_f32 v[0:1], v[22:23], v[44:45], v[0:1] op_sel_hi:[1,0,1]
	v_dual_mov_b32 v22, v34 :: v_dual_mov_b32 v23, v26
	v_mov_b32_e32 v10, v19
	s_delay_alu instid0(VALU_DEP_4) | instskip(NEXT) | instid1(VALU_DEP_4)
	v_pk_fma_f32 v[4:5], v[16:17], v[18:19], v[4:5] op_sel_hi:[1,0,1]
	v_pk_fma_f32 v[0:1], v[32:33], v[18:19], v[0:1] op_sel_hi:[1,0,1]
	v_dual_mov_b32 v26, v35 :: v_dual_mov_b32 v17, v12
	v_mov_b32_e32 v16, v20
	s_wait_loadcnt 0x0
	v_pk_fma_f32 v[4:5], v[14:15], v[46:47], v[4:5] op_sel_hi:[1,0,1]
	v_pk_fma_f32 v[0:1], v[22:23], v[46:47], v[0:1] op_sel_hi:[1,0,1]
	v_dual_mov_b32 v14, v36 :: v_dual_mov_b32 v15, v28
	v_dual_mov_b32 v12, v21 :: v_dual_mov_b32 v28, v37
	s_delay_alu instid0(VALU_DEP_4) | instskip(NEXT) | instid1(VALU_DEP_4)
	v_pk_fma_f32 v[4:5], v[10:11], v[46:47], v[4:5] op_sel:[0,1,0]
	v_pk_fma_f32 v[0:1], v[26:27], v[46:47], v[0:1] op_sel:[0,1,0]
	v_mov_b32_e32 v10, v49
	s_delay_alu instid0(VALU_DEP_3) | instskip(NEXT) | instid1(VALU_DEP_3)
	v_pk_fma_f32 v[4:5], v[16:17], v[48:49], v[4:5] op_sel_hi:[1,0,1]
	v_pk_fma_f32 v[0:1], v[14:15], v[48:49], v[0:1] op_sel_hi:[1,0,1]
	s_delay_alu instid0(VALU_DEP_2) | instskip(NEXT) | instid1(VALU_DEP_2)
	v_pk_fma_f32 v[4:5], v[12:13], v[10:11], v[4:5] op_sel_hi:[1,0,1]
	v_pk_fma_f32 v[0:1], v[28:29], v[10:11], v[0:1] op_sel_hi:[1,0,1]
	s_and_not1_b32 exec_lo, exec_lo, s2
	s_cbranch_execnz .LBB33_15
; %bb.16:
	s_or_b32 exec_lo, exec_lo, s2
.LBB33_17:
	s_delay_alu instid0(SALU_CYCLE_1)
	s_or_b32 exec_lo, exec_lo, s3
.LBB33_18:
	v_mbcnt_lo_u32_b32 v10, -1, 0
	s_mov_b32 s2, -1
	s_delay_alu instid0(VALU_DEP_1) | instskip(SKIP_1) | instid1(VALU_DEP_1)
	v_xor_b32_e32 v11, 8, v10
	v_xor_b32_e32 v6, 16, v10
	v_cmp_gt_i32_e32 vcc_lo, 32, v6
	v_cndmask_b32_e32 v6, v10, v6, vcc_lo
	s_delay_alu instid0(VALU_DEP_4) | instskip(SKIP_1) | instid1(VALU_DEP_1)
	v_cmp_gt_i32_e32 vcc_lo, 32, v11
	v_cndmask_b32_e32 v11, v10, v11, vcc_lo
	v_dual_lshlrev_b32 v11, 2, v11 :: v_dual_lshlrev_b32 v9, 2, v6
	ds_bpermute_b32 v6, v9, v4
	ds_bpermute_b32 v7, v9, v5
	;; [unrolled: 1-line block ×4, first 2 shown]
	s_wait_dscnt 0x2
	v_pk_add_f32 v[4:5], v[4:5], v[6:7]
	s_wait_dscnt 0x0
	v_pk_add_f32 v[0:1], v[0:1], v[8:9]
	ds_bpermute_b32 v6, v11, v4
	ds_bpermute_b32 v7, v11, v5
	ds_bpermute_b32 v8, v11, v0
	ds_bpermute_b32 v9, v11, v1
	v_xor_b32_e32 v11, 4, v10
	s_delay_alu instid0(VALU_DEP_1) | instskip(SKIP_1) | instid1(VALU_DEP_1)
	v_cmp_gt_i32_e32 vcc_lo, 32, v11
	v_cndmask_b32_e32 v11, v10, v11, vcc_lo
	v_lshlrev_b32_e32 v11, 2, v11
	s_wait_dscnt 0x2
	v_pk_add_f32 v[4:5], v[4:5], v[6:7]
	s_wait_dscnt 0x0
	v_pk_add_f32 v[0:1], v[0:1], v[8:9]
	ds_bpermute_b32 v6, v11, v4
	ds_bpermute_b32 v7, v11, v5
	;; [unrolled: 1-line block ×4, first 2 shown]
	v_xor_b32_e32 v11, 2, v10
	s_delay_alu instid0(VALU_DEP_1) | instskip(SKIP_1) | instid1(VALU_DEP_1)
	v_cmp_gt_i32_e32 vcc_lo, 32, v11
	v_cndmask_b32_e32 v11, v10, v11, vcc_lo
	v_lshlrev_b32_e32 v11, 2, v11
	s_wait_dscnt 0x2
	v_pk_add_f32 v[4:5], v[4:5], v[6:7]
	s_wait_dscnt 0x0
	v_pk_add_f32 v[6:7], v[0:1], v[8:9]
	ds_bpermute_b32 v0, v11, v4
	ds_bpermute_b32 v1, v11, v5
	;; [unrolled: 1-line block ×4, first 2 shown]
	v_xor_b32_e32 v11, 1, v10
	s_delay_alu instid0(VALU_DEP_1) | instskip(SKIP_2) | instid1(VALU_DEP_2)
	v_cmp_gt_i32_e32 vcc_lo, 32, v11
	v_cndmask_b32_e32 v10, v10, v11, vcc_lo
	v_cmp_eq_u32_e32 vcc_lo, 31, v3
	v_lshlrev_b32_e32 v10, 2, v10
	s_wait_dscnt 0x2
	v_pk_add_f32 v[0:1], v[4:5], v[0:1]
	s_wait_dscnt 0x0
	v_pk_add_f32 v[6:7], v[6:7], v[8:9]
	ds_bpermute_b32 v4, v10, v0
	ds_bpermute_b32 v5, v10, v1
	;; [unrolled: 1-line block ×4, first 2 shown]
	s_and_b32 exec_lo, exec_lo, vcc_lo
	s_cbranch_execz .LBB33_23
; %bb.19:
	s_load_b64 s[0:1], s[0:1], 0x38
	s_wait_dscnt 0x2
	v_pk_add_f32 v[4:5], v[0:1], v[4:5]
	s_wait_dscnt 0x0
	v_pk_add_f32 v[0:1], v[6:7], v[8:9]
	v_lshlrev_b32_e32 v2, 2, v2
	s_cmp_eq_f32 s12, 0
	s_cbranch_scc0 .LBB33_21
; %bb.20:
	s_delay_alu instid0(VALU_DEP_1)
	v_ashrrev_i32_e32 v3, 31, v2
	v_pk_mul_f32 v[6:7], s[14:15], v[4:5] op_sel_hi:[0,1]
	v_pk_mul_f32 v[8:9], s[14:15], v[0:1] op_sel_hi:[0,1]
	s_mov_b32 s2, 0
	s_wait_kmcnt 0x0
	v_lshl_add_u64 v[10:11], v[2:3], 2, s[0:1]
	global_store_b128 v[10:11], v[6:9], off
.LBB33_21:
	s_and_not1_b32 vcc_lo, exec_lo, s2
	s_cbranch_vccnz .LBB33_23
; %bb.22:
	v_ashrrev_i32_e32 v3, 31, v2
	s_wait_kmcnt 0x0
	s_delay_alu instid0(VALU_DEP_1)
	v_lshl_add_u64 v[10:11], v[2:3], 2, s[0:1]
	v_pk_mul_f32 v[2:3], s[14:15], v[4:5] op_sel_hi:[0,1]
	v_pk_mul_f32 v[4:5], s[14:15], v[0:1] op_sel_hi:[0,1]
	global_load_b128 v[6:9], v[10:11], off
	s_wait_loadcnt 0x0
	v_pk_fma_f32 v[0:1], s[12:13], v[6:7], v[2:3] op_sel_hi:[0,1,1]
	v_pk_fma_f32 v[2:3], s[12:13], v[8:9], v[4:5] op_sel_hi:[0,1,1]
	global_store_b128 v[10:11], v[0:3], off
.LBB33_23:
	s_endpgm
	.section	.rodata,"a",@progbits
	.p2align	6, 0x0
	.amdhsa_kernel _ZN9rocsparseL19gebsrmvn_4xn_kernelILj128ELj8ELj32EfEEvi20rocsparse_direction_NS_24const_host_device_scalarIT2_EEPKiS6_PKS3_S8_S4_PS3_21rocsparse_index_base_b
		.amdhsa_group_segment_fixed_size 0
		.amdhsa_private_segment_fixed_size 0
		.amdhsa_kernarg_size 72
		.amdhsa_user_sgpr_count 2
		.amdhsa_user_sgpr_dispatch_ptr 0
		.amdhsa_user_sgpr_queue_ptr 0
		.amdhsa_user_sgpr_kernarg_segment_ptr 1
		.amdhsa_user_sgpr_dispatch_id 0
		.amdhsa_user_sgpr_kernarg_preload_length 0
		.amdhsa_user_sgpr_kernarg_preload_offset 0
		.amdhsa_user_sgpr_private_segment_size 0
		.amdhsa_wavefront_size32 1
		.amdhsa_uses_dynamic_stack 0
		.amdhsa_enable_private_segment 0
		.amdhsa_system_sgpr_workgroup_id_x 1
		.amdhsa_system_sgpr_workgroup_id_y 0
		.amdhsa_system_sgpr_workgroup_id_z 0
		.amdhsa_system_sgpr_workgroup_info 0
		.amdhsa_system_vgpr_workitem_id 0
		.amdhsa_next_free_vgpr 56
		.amdhsa_next_free_sgpr 18
		.amdhsa_named_barrier_count 0
		.amdhsa_reserve_vcc 1
		.amdhsa_float_round_mode_32 0
		.amdhsa_float_round_mode_16_64 0
		.amdhsa_float_denorm_mode_32 3
		.amdhsa_float_denorm_mode_16_64 3
		.amdhsa_fp16_overflow 0
		.amdhsa_memory_ordered 1
		.amdhsa_forward_progress 1
		.amdhsa_inst_pref_size 15
		.amdhsa_round_robin_scheduling 0
		.amdhsa_exception_fp_ieee_invalid_op 0
		.amdhsa_exception_fp_denorm_src 0
		.amdhsa_exception_fp_ieee_div_zero 0
		.amdhsa_exception_fp_ieee_overflow 0
		.amdhsa_exception_fp_ieee_underflow 0
		.amdhsa_exception_fp_ieee_inexact 0
		.amdhsa_exception_int_div_zero 0
	.end_amdhsa_kernel
	.section	.text._ZN9rocsparseL19gebsrmvn_4xn_kernelILj128ELj8ELj32EfEEvi20rocsparse_direction_NS_24const_host_device_scalarIT2_EEPKiS6_PKS3_S8_S4_PS3_21rocsparse_index_base_b,"axG",@progbits,_ZN9rocsparseL19gebsrmvn_4xn_kernelILj128ELj8ELj32EfEEvi20rocsparse_direction_NS_24const_host_device_scalarIT2_EEPKiS6_PKS3_S8_S4_PS3_21rocsparse_index_base_b,comdat
.Lfunc_end33:
	.size	_ZN9rocsparseL19gebsrmvn_4xn_kernelILj128ELj8ELj32EfEEvi20rocsparse_direction_NS_24const_host_device_scalarIT2_EEPKiS6_PKS3_S8_S4_PS3_21rocsparse_index_base_b, .Lfunc_end33-_ZN9rocsparseL19gebsrmvn_4xn_kernelILj128ELj8ELj32EfEEvi20rocsparse_direction_NS_24const_host_device_scalarIT2_EEPKiS6_PKS3_S8_S4_PS3_21rocsparse_index_base_b
                                        ; -- End function
	.set _ZN9rocsparseL19gebsrmvn_4xn_kernelILj128ELj8ELj32EfEEvi20rocsparse_direction_NS_24const_host_device_scalarIT2_EEPKiS6_PKS3_S8_S4_PS3_21rocsparse_index_base_b.num_vgpr, 56
	.set _ZN9rocsparseL19gebsrmvn_4xn_kernelILj128ELj8ELj32EfEEvi20rocsparse_direction_NS_24const_host_device_scalarIT2_EEPKiS6_PKS3_S8_S4_PS3_21rocsparse_index_base_b.num_agpr, 0
	.set _ZN9rocsparseL19gebsrmvn_4xn_kernelILj128ELj8ELj32EfEEvi20rocsparse_direction_NS_24const_host_device_scalarIT2_EEPKiS6_PKS3_S8_S4_PS3_21rocsparse_index_base_b.numbered_sgpr, 18
	.set _ZN9rocsparseL19gebsrmvn_4xn_kernelILj128ELj8ELj32EfEEvi20rocsparse_direction_NS_24const_host_device_scalarIT2_EEPKiS6_PKS3_S8_S4_PS3_21rocsparse_index_base_b.num_named_barrier, 0
	.set _ZN9rocsparseL19gebsrmvn_4xn_kernelILj128ELj8ELj32EfEEvi20rocsparse_direction_NS_24const_host_device_scalarIT2_EEPKiS6_PKS3_S8_S4_PS3_21rocsparse_index_base_b.private_seg_size, 0
	.set _ZN9rocsparseL19gebsrmvn_4xn_kernelILj128ELj8ELj32EfEEvi20rocsparse_direction_NS_24const_host_device_scalarIT2_EEPKiS6_PKS3_S8_S4_PS3_21rocsparse_index_base_b.uses_vcc, 1
	.set _ZN9rocsparseL19gebsrmvn_4xn_kernelILj128ELj8ELj32EfEEvi20rocsparse_direction_NS_24const_host_device_scalarIT2_EEPKiS6_PKS3_S8_S4_PS3_21rocsparse_index_base_b.uses_flat_scratch, 0
	.set _ZN9rocsparseL19gebsrmvn_4xn_kernelILj128ELj8ELj32EfEEvi20rocsparse_direction_NS_24const_host_device_scalarIT2_EEPKiS6_PKS3_S8_S4_PS3_21rocsparse_index_base_b.has_dyn_sized_stack, 0
	.set _ZN9rocsparseL19gebsrmvn_4xn_kernelILj128ELj8ELj32EfEEvi20rocsparse_direction_NS_24const_host_device_scalarIT2_EEPKiS6_PKS3_S8_S4_PS3_21rocsparse_index_base_b.has_recursion, 0
	.set _ZN9rocsparseL19gebsrmvn_4xn_kernelILj128ELj8ELj32EfEEvi20rocsparse_direction_NS_24const_host_device_scalarIT2_EEPKiS6_PKS3_S8_S4_PS3_21rocsparse_index_base_b.has_indirect_call, 0
	.section	.AMDGPU.csdata,"",@progbits
; Kernel info:
; codeLenInByte = 1920
; TotalNumSgprs: 20
; NumVgprs: 56
; ScratchSize: 0
; MemoryBound: 0
; FloatMode: 240
; IeeeMode: 1
; LDSByteSize: 0 bytes/workgroup (compile time only)
; SGPRBlocks: 0
; VGPRBlocks: 3
; NumSGPRsForWavesPerEU: 20
; NumVGPRsForWavesPerEU: 56
; NamedBarCnt: 0
; Occupancy: 16
; WaveLimiterHint : 1
; COMPUTE_PGM_RSRC2:SCRATCH_EN: 0
; COMPUTE_PGM_RSRC2:USER_SGPR: 2
; COMPUTE_PGM_RSRC2:TRAP_HANDLER: 0
; COMPUTE_PGM_RSRC2:TGID_X_EN: 1
; COMPUTE_PGM_RSRC2:TGID_Y_EN: 0
; COMPUTE_PGM_RSRC2:TGID_Z_EN: 0
; COMPUTE_PGM_RSRC2:TIDIG_COMP_CNT: 0
	.section	.text._ZN9rocsparseL19gebsrmvn_4xn_kernelILj128ELj8ELj64EfEEvi20rocsparse_direction_NS_24const_host_device_scalarIT2_EEPKiS6_PKS3_S8_S4_PS3_21rocsparse_index_base_b,"axG",@progbits,_ZN9rocsparseL19gebsrmvn_4xn_kernelILj128ELj8ELj64EfEEvi20rocsparse_direction_NS_24const_host_device_scalarIT2_EEPKiS6_PKS3_S8_S4_PS3_21rocsparse_index_base_b,comdat
	.globl	_ZN9rocsparseL19gebsrmvn_4xn_kernelILj128ELj8ELj64EfEEvi20rocsparse_direction_NS_24const_host_device_scalarIT2_EEPKiS6_PKS3_S8_S4_PS3_21rocsparse_index_base_b ; -- Begin function _ZN9rocsparseL19gebsrmvn_4xn_kernelILj128ELj8ELj64EfEEvi20rocsparse_direction_NS_24const_host_device_scalarIT2_EEPKiS6_PKS3_S8_S4_PS3_21rocsparse_index_base_b
	.p2align	8
	.type	_ZN9rocsparseL19gebsrmvn_4xn_kernelILj128ELj8ELj64EfEEvi20rocsparse_direction_NS_24const_host_device_scalarIT2_EEPKiS6_PKS3_S8_S4_PS3_21rocsparse_index_base_b,@function
_ZN9rocsparseL19gebsrmvn_4xn_kernelILj128ELj8ELj64EfEEvi20rocsparse_direction_NS_24const_host_device_scalarIT2_EEPKiS6_PKS3_S8_S4_PS3_21rocsparse_index_base_b: ; @_ZN9rocsparseL19gebsrmvn_4xn_kernelILj128ELj8ELj64EfEEvi20rocsparse_direction_NS_24const_host_device_scalarIT2_EEPKiS6_PKS3_S8_S4_PS3_21rocsparse_index_base_b
; %bb.0:
	s_clause 0x2
	s_load_b64 s[16:17], s[0:1], 0x40
	s_load_b64 s[14:15], s[0:1], 0x8
	;; [unrolled: 1-line block ×3, first 2 shown]
	s_wait_kmcnt 0x0
	s_bitcmp1_b32 s17, 0
	s_cselect_b32 s2, -1, 0
	s_delay_alu instid0(SALU_CYCLE_1)
	s_and_b32 vcc_lo, exec_lo, s2
	s_xor_b32 s2, s2, -1
	s_cbranch_vccnz .LBB34_2
; %bb.1:
	s_load_b32 s14, s[14:15], 0x0
.LBB34_2:
	s_and_not1_b32 vcc_lo, exec_lo, s2
	s_cbranch_vccnz .LBB34_4
; %bb.3:
	s_load_b32 s12, s[12:13], 0x0
.LBB34_4:
	s_wait_kmcnt 0x0
	s_cmp_eq_f32 s14, 0
	s_cselect_b32 s2, -1, 0
	s_cmp_eq_f32 s12, 1.0
	s_cselect_b32 s3, -1, 0
	s_delay_alu instid0(SALU_CYCLE_1) | instskip(NEXT) | instid1(SALU_CYCLE_1)
	s_and_b32 s2, s2, s3
	s_and_b32 vcc_lo, exec_lo, s2
	s_cbranch_vccnz .LBB34_23
; %bb.5:
	s_load_b64 s[2:3], s[0:1], 0x0
	s_bfe_u32 s4, ttmp6, 0x4000c
	s_and_b32 s5, ttmp6, 15
	s_add_co_i32 s4, s4, 1
	s_getreg_b32 s6, hwreg(HW_REG_IB_STS2, 6, 4)
	s_mul_i32 s4, ttmp9, s4
	v_lshrrev_b32_e32 v1, 6, v0
	s_add_co_i32 s5, s5, s4
	s_cmp_eq_u32 s6, 0
	s_cselect_b32 s4, ttmp9, s5
	s_delay_alu instid0(VALU_DEP_1) | instid1(SALU_CYCLE_1)
	v_lshl_or_b32 v2, s4, 1, v1
	s_wait_kmcnt 0x0
	s_delay_alu instid0(VALU_DEP_1)
	v_cmp_gt_i32_e32 vcc_lo, s2, v2
	s_and_saveexec_b32 s2, vcc_lo
	s_cbranch_execz .LBB34_23
; %bb.6:
	s_load_b256 s[4:11], s[0:1], 0x10
	v_ashrrev_i32_e32 v3, 31, v2
	s_cmp_lg_u32 s3, 0
	s_wait_kmcnt 0x0
	s_delay_alu instid0(VALU_DEP_1)
	v_lshl_add_u64 v[4:5], v[2:3], 2, s[4:5]
	v_and_b32_e32 v3, 63, v0
	global_load_b64 v[4:5], v[4:5], off
	s_wait_loadcnt 0x0
	v_subrev_nc_u32_e32 v0, s16, v4
	v_subrev_nc_u32_e32 v8, s16, v5
	s_delay_alu instid0(VALU_DEP_2) | instskip(NEXT) | instid1(VALU_DEP_1)
	v_add_nc_u32_e32 v9, v0, v3
	v_cmp_lt_i32_e64 s2, v9, v8
	s_cbranch_scc0 .LBB34_12
; %bb.7:
	v_mov_b32_e32 v1, 0
	s_delay_alu instid0(VALU_DEP_1)
	v_dual_mov_b32 v0, v1 :: v_dual_mov_b32 v5, v1
	v_mov_b32_e32 v4, v1
	s_and_saveexec_b32 s3, s2
	s_cbranch_execz .LBB34_11
; %bb.8:
	v_dual_mov_b32 v7, 0 :: v_dual_lshlrev_b32 v6, 5, v9
	v_mov_b32_e32 v10, v9
	s_mov_b32 s4, 0
	s_delay_alu instid0(VALU_DEP_2)
	v_dual_mov_b32 v0, v7 :: v_dual_mov_b32 v1, v7
	v_dual_mov_b32 v4, v7 :: v_dual_mov_b32 v5, v7
.LBB34_9:                               ; =>This Inner Loop Header: Depth=1
	global_load_b32 v11, v10, s[6:7] scale_offset
	v_lshl_add_u64 v[52:53], v[6:7], 2, s[8:9]
	v_add_nc_u32_e32 v6, 0x800, v6
	s_wait_xcnt 0x0
	v_add_nc_u32_e32 v10, 64, v10
	s_delay_alu instid0(VALU_DEP_1) | instskip(SKIP_3) | instid1(VALU_DEP_1)
	v_cmp_ge_i32_e32 vcc_lo, v10, v8
	s_or_b32 s4, vcc_lo, s4
	s_wait_loadcnt 0x0
	v_subrev_nc_u32_e32 v11, s16, v11
	v_dual_mov_b32 v13, v7 :: v_dual_lshlrev_b32 v12, 3, v11
	s_delay_alu instid0(VALU_DEP_1)
	v_lshl_add_u64 v[54:55], v[12:13], 2, s[10:11]
	s_clause 0x1
	global_load_b128 v[12:15], v[52:53], off offset:16
	global_load_b128 v[16:19], v[52:53], off
	s_clause 0x1
	global_load_b128 v[20:23], v[54:55], off
	global_load_b128 v[24:27], v[54:55], off offset:16
	s_clause 0x5
	global_load_b128 v[28:31], v[52:53], off offset:32
	global_load_b128 v[32:35], v[52:53], off offset:48
	;; [unrolled: 1-line block ×6, first 2 shown]
	s_wait_loadcnt 0x7
	v_pk_fma_f32 v[4:5], v[16:17], v[20:21], v[4:5] op_sel_hi:[1,0,1]
	v_pk_fma_f32 v[0:1], v[18:19], v[20:21], v[0:1] op_sel_hi:[1,0,1]
	s_delay_alu instid0(VALU_DEP_2) | instskip(NEXT) | instid1(VALU_DEP_2)
	v_pk_fma_f32 v[4:5], v[12:13], v[20:21], v[4:5] op_sel:[0,1,0]
	v_pk_fma_f32 v[0:1], v[14:15], v[20:21], v[0:1] op_sel:[0,1,0]
	v_mov_b32_e32 v12, v23
	s_wait_loadcnt 0x5
	s_delay_alu instid0(VALU_DEP_3) | instskip(NEXT) | instid1(VALU_DEP_3)
	v_pk_fma_f32 v[4:5], v[28:29], v[22:23], v[4:5] op_sel_hi:[1,0,1]
	v_pk_fma_f32 v[0:1], v[30:31], v[22:23], v[0:1] op_sel_hi:[1,0,1]
	s_wait_loadcnt 0x4
	s_delay_alu instid0(VALU_DEP_2) | instskip(NEXT) | instid1(VALU_DEP_2)
	v_pk_fma_f32 v[4:5], v[32:33], v[12:13], v[4:5] op_sel_hi:[1,0,1]
	v_pk_fma_f32 v[0:1], v[34:35], v[12:13], v[0:1] op_sel_hi:[1,0,1]
	v_mov_b32_e32 v12, v27
	s_wait_loadcnt 0x3
	s_delay_alu instid0(VALU_DEP_3) | instskip(NEXT) | instid1(VALU_DEP_3)
	v_pk_fma_f32 v[4:5], v[36:37], v[24:25], v[4:5] op_sel_hi:[1,0,1]
	v_pk_fma_f32 v[0:1], v[38:39], v[24:25], v[0:1] op_sel_hi:[1,0,1]
	s_wait_loadcnt 0x2
	s_delay_alu instid0(VALU_DEP_2) | instskip(NEXT) | instid1(VALU_DEP_2)
	v_pk_fma_f32 v[4:5], v[40:41], v[24:25], v[4:5] op_sel:[0,1,0]
	v_pk_fma_f32 v[0:1], v[42:43], v[24:25], v[0:1] op_sel:[0,1,0]
	s_wait_loadcnt 0x1
	s_delay_alu instid0(VALU_DEP_2) | instskip(NEXT) | instid1(VALU_DEP_2)
	v_pk_fma_f32 v[4:5], v[44:45], v[26:27], v[4:5] op_sel_hi:[1,0,1]
	v_pk_fma_f32 v[0:1], v[46:47], v[26:27], v[0:1] op_sel_hi:[1,0,1]
	s_wait_loadcnt 0x0
	s_delay_alu instid0(VALU_DEP_2) | instskip(NEXT) | instid1(VALU_DEP_2)
	v_pk_fma_f32 v[4:5], v[48:49], v[12:13], v[4:5] op_sel_hi:[1,0,1]
	v_pk_fma_f32 v[0:1], v[50:51], v[12:13], v[0:1] op_sel_hi:[1,0,1]
	s_and_not1_b32 exec_lo, exec_lo, s4
	s_cbranch_execnz .LBB34_9
; %bb.10:
	s_or_b32 exec_lo, exec_lo, s4
.LBB34_11:
	s_delay_alu instid0(SALU_CYCLE_1)
	s_or_b32 exec_lo, exec_lo, s3
	s_cbranch_execz .LBB34_13
	s_branch .LBB34_18
.LBB34_12:
                                        ; implicit-def: $vgpr1
                                        ; implicit-def: $vgpr5
.LBB34_13:
	v_mov_b32_e32 v1, 0
	s_delay_alu instid0(VALU_DEP_1)
	v_dual_mov_b32 v0, v1 :: v_dual_mov_b32 v5, v1
	v_mov_b32_e32 v4, v1
	s_and_saveexec_b32 s3, s2
	s_cbranch_execz .LBB34_17
; %bb.14:
	v_dual_mov_b32 v7, 0 :: v_dual_lshlrev_b32 v6, 5, v9
	s_mov_b32 s2, 0
	s_delay_alu instid0(VALU_DEP_1)
	v_dual_mov_b32 v0, v7 :: v_dual_mov_b32 v1, v7
	v_dual_mov_b32 v4, v7 :: v_dual_mov_b32 v5, v7
.LBB34_15:                              ; =>This Inner Loop Header: Depth=1
	global_load_b32 v18, v9, s[6:7] scale_offset
	v_lshl_add_u64 v[42:43], v[6:7], 2, s[8:9]
	v_add_nc_u32_e32 v6, 0x800, v6
	s_clause 0x1
	global_load_b128 v[10:13], v[42:43], off offset:48
	global_load_b128 v[14:17], v[42:43], off offset:32
	s_wait_loadcnt 0x2
	v_subrev_nc_u32_e32 v30, s16, v18
	v_mov_b32_e32 v45, v7
	s_clause 0x2
	global_load_b128 v[18:21], v[42:43], off offset:16
	global_load_b128 v[22:25], v[42:43], off
	global_load_b128 v[26:29], v[42:43], off offset:112
	v_dual_add_nc_u32 v9, 64, v9 :: v_dual_lshlrev_b32 v44, 3, v30
	s_clause 0x2
	global_load_b128 v[30:33], v[42:43], off offset:96
	global_load_b128 v[34:37], v[42:43], off offset:80
	;; [unrolled: 1-line block ×3, first 2 shown]
	s_wait_loadcnt 0x6
	v_mov_b32_e32 v53, v16
	v_lshl_add_u64 v[50:51], v[44:45], 2, s[10:11]
	s_clause 0x1
	global_load_b128 v[42:45], v[50:51], off
	global_load_b128 v[46:49], v[50:51], off offset:16
	s_wait_loadcnt 0x6
	s_wait_xcnt 0x0
	v_dual_mov_b32 v51, v14 :: v_dual_mov_b32 v14, v23
	v_dual_mov_b32 v50, v22 :: v_dual_mov_b32 v52, v24
	v_cmp_ge_i32_e32 vcc_lo, v9, v8
	s_wait_loadcnt 0x2
	v_dual_mov_b32 v23, v30 :: v_dual_mov_b32 v22, v38
	v_dual_mov_b32 v30, v39 :: v_dual_mov_b32 v16, v25
	s_or_b32 s2, vcc_lo, s2
	s_wait_loadcnt 0x1
	v_pk_fma_f32 v[4:5], v[50:51], v[42:43], v[4:5] op_sel_hi:[1,0,1]
	v_pk_fma_f32 v[0:1], v[22:23], v[42:43], v[0:1] op_sel_hi:[1,0,1]
	v_dual_mov_b32 v22, v40 :: v_dual_mov_b32 v23, v32
	v_mov_b32_e32 v32, v41
	s_delay_alu instid0(VALU_DEP_4) | instskip(NEXT) | instid1(VALU_DEP_4)
	v_pk_fma_f32 v[4:5], v[14:15], v[42:43], v[4:5] op_sel:[0,1,0]
	v_pk_fma_f32 v[0:1], v[30:31], v[42:43], v[0:1] op_sel:[0,1,0]
	v_dual_mov_b32 v14, v18 :: v_dual_mov_b32 v18, v45
	v_mov_b32_e32 v15, v10
	s_delay_alu instid0(VALU_DEP_4) | instskip(NEXT) | instid1(VALU_DEP_4)
	v_pk_fma_f32 v[4:5], v[52:53], v[44:45], v[4:5] op_sel_hi:[1,0,1]
	v_pk_fma_f32 v[0:1], v[22:23], v[44:45], v[0:1] op_sel_hi:[1,0,1]
	v_dual_mov_b32 v22, v34 :: v_dual_mov_b32 v23, v26
	v_dual_mov_b32 v10, v19 :: v_dual_mov_b32 v26, v35
	s_delay_alu instid0(VALU_DEP_4) | instskip(NEXT) | instid1(VALU_DEP_4)
	v_pk_fma_f32 v[4:5], v[16:17], v[18:19], v[4:5] op_sel_hi:[1,0,1]
	v_pk_fma_f32 v[0:1], v[32:33], v[18:19], v[0:1] op_sel_hi:[1,0,1]
	v_dual_mov_b32 v16, v20 :: v_dual_mov_b32 v17, v12
	v_mov_b32_e32 v12, v21
	s_wait_loadcnt 0x0
	v_pk_fma_f32 v[4:5], v[14:15], v[46:47], v[4:5] op_sel_hi:[1,0,1]
	v_pk_fma_f32 v[0:1], v[22:23], v[46:47], v[0:1] op_sel_hi:[1,0,1]
	v_dual_mov_b32 v14, v36 :: v_dual_mov_b32 v15, v28
	v_mov_b32_e32 v28, v37
	s_delay_alu instid0(VALU_DEP_4) | instskip(NEXT) | instid1(VALU_DEP_4)
	v_pk_fma_f32 v[4:5], v[10:11], v[46:47], v[4:5] op_sel:[0,1,0]
	v_pk_fma_f32 v[0:1], v[26:27], v[46:47], v[0:1] op_sel:[0,1,0]
	v_mov_b32_e32 v10, v49
	s_delay_alu instid0(VALU_DEP_3) | instskip(NEXT) | instid1(VALU_DEP_3)
	v_pk_fma_f32 v[4:5], v[16:17], v[48:49], v[4:5] op_sel_hi:[1,0,1]
	v_pk_fma_f32 v[0:1], v[14:15], v[48:49], v[0:1] op_sel_hi:[1,0,1]
	s_delay_alu instid0(VALU_DEP_2) | instskip(NEXT) | instid1(VALU_DEP_2)
	v_pk_fma_f32 v[4:5], v[12:13], v[10:11], v[4:5] op_sel_hi:[1,0,1]
	v_pk_fma_f32 v[0:1], v[28:29], v[10:11], v[0:1] op_sel_hi:[1,0,1]
	s_and_not1_b32 exec_lo, exec_lo, s2
	s_cbranch_execnz .LBB34_15
; %bb.16:
	s_or_b32 exec_lo, exec_lo, s2
.LBB34_17:
	s_delay_alu instid0(SALU_CYCLE_1)
	s_or_b32 exec_lo, exec_lo, s3
.LBB34_18:
	v_mbcnt_lo_u32_b32 v10, -1, 0
	s_mov_b32 s2, -1
	s_delay_alu instid0(VALU_DEP_1) | instskip(SKIP_1) | instid1(VALU_DEP_1)
	v_xor_b32_e32 v11, 16, v10
	v_or_b32_e32 v6, 32, v10
	v_cmp_gt_i32_e32 vcc_lo, 32, v6
	v_cndmask_b32_e32 v6, v10, v6, vcc_lo
	s_delay_alu instid0(VALU_DEP_4) | instskip(SKIP_1) | instid1(VALU_DEP_1)
	v_cmp_gt_i32_e32 vcc_lo, 32, v11
	v_cndmask_b32_e32 v11, v10, v11, vcc_lo
	v_dual_lshlrev_b32 v11, 2, v11 :: v_dual_lshlrev_b32 v9, 2, v6
	ds_bpermute_b32 v6, v9, v4
	ds_bpermute_b32 v7, v9, v5
	;; [unrolled: 1-line block ×4, first 2 shown]
	s_wait_dscnt 0x2
	v_pk_add_f32 v[4:5], v[4:5], v[6:7]
	s_wait_dscnt 0x0
	v_pk_add_f32 v[0:1], v[0:1], v[8:9]
	ds_bpermute_b32 v6, v11, v4
	ds_bpermute_b32 v7, v11, v5
	ds_bpermute_b32 v8, v11, v0
	ds_bpermute_b32 v9, v11, v1
	v_xor_b32_e32 v11, 8, v10
	s_delay_alu instid0(VALU_DEP_1) | instskip(SKIP_1) | instid1(VALU_DEP_1)
	v_cmp_gt_i32_e32 vcc_lo, 32, v11
	v_cndmask_b32_e32 v11, v10, v11, vcc_lo
	v_lshlrev_b32_e32 v11, 2, v11
	s_wait_dscnt 0x2
	v_pk_add_f32 v[4:5], v[4:5], v[6:7]
	s_wait_dscnt 0x0
	v_pk_add_f32 v[0:1], v[0:1], v[8:9]
	ds_bpermute_b32 v6, v11, v4
	ds_bpermute_b32 v7, v11, v5
	ds_bpermute_b32 v8, v11, v0
	ds_bpermute_b32 v9, v11, v1
	v_xor_b32_e32 v11, 4, v10
	s_delay_alu instid0(VALU_DEP_1) | instskip(SKIP_1) | instid1(VALU_DEP_1)
	v_cmp_gt_i32_e32 vcc_lo, 32, v11
	v_cndmask_b32_e32 v11, v10, v11, vcc_lo
	v_lshlrev_b32_e32 v11, 2, v11
	s_wait_dscnt 0x2
	v_pk_add_f32 v[4:5], v[4:5], v[6:7]
	s_wait_dscnt 0x0
	v_pk_add_f32 v[0:1], v[0:1], v[8:9]
	ds_bpermute_b32 v6, v11, v4
	ds_bpermute_b32 v7, v11, v5
	ds_bpermute_b32 v8, v11, v0
	ds_bpermute_b32 v9, v11, v1
	v_xor_b32_e32 v11, 2, v10
	s_delay_alu instid0(VALU_DEP_1) | instskip(SKIP_1) | instid1(VALU_DEP_1)
	v_cmp_gt_i32_e32 vcc_lo, 32, v11
	v_cndmask_b32_e32 v11, v10, v11, vcc_lo
	v_lshlrev_b32_e32 v11, 2, v11
	s_wait_dscnt 0x2
	v_pk_add_f32 v[4:5], v[4:5], v[6:7]
	s_wait_dscnt 0x0
	v_pk_add_f32 v[6:7], v[0:1], v[8:9]
	ds_bpermute_b32 v0, v11, v4
	ds_bpermute_b32 v1, v11, v5
	;; [unrolled: 1-line block ×4, first 2 shown]
	v_xor_b32_e32 v11, 1, v10
	s_delay_alu instid0(VALU_DEP_1) | instskip(SKIP_2) | instid1(VALU_DEP_2)
	v_cmp_gt_i32_e32 vcc_lo, 32, v11
	v_cndmask_b32_e32 v10, v10, v11, vcc_lo
	v_cmp_eq_u32_e32 vcc_lo, 63, v3
	v_lshlrev_b32_e32 v10, 2, v10
	s_wait_dscnt 0x2
	v_pk_add_f32 v[0:1], v[4:5], v[0:1]
	s_wait_dscnt 0x0
	v_pk_add_f32 v[6:7], v[6:7], v[8:9]
	ds_bpermute_b32 v4, v10, v0
	ds_bpermute_b32 v5, v10, v1
	;; [unrolled: 1-line block ×4, first 2 shown]
	s_and_b32 exec_lo, exec_lo, vcc_lo
	s_cbranch_execz .LBB34_23
; %bb.19:
	s_load_b64 s[0:1], s[0:1], 0x38
	s_wait_dscnt 0x2
	v_pk_add_f32 v[4:5], v[0:1], v[4:5]
	s_wait_dscnt 0x0
	v_pk_add_f32 v[0:1], v[6:7], v[8:9]
	v_lshlrev_b32_e32 v2, 2, v2
	s_cmp_eq_f32 s12, 0
	s_cbranch_scc0 .LBB34_21
; %bb.20:
	s_delay_alu instid0(VALU_DEP_1)
	v_ashrrev_i32_e32 v3, 31, v2
	v_pk_mul_f32 v[6:7], s[14:15], v[4:5] op_sel_hi:[0,1]
	v_pk_mul_f32 v[8:9], s[14:15], v[0:1] op_sel_hi:[0,1]
	s_mov_b32 s2, 0
	s_wait_kmcnt 0x0
	v_lshl_add_u64 v[10:11], v[2:3], 2, s[0:1]
	global_store_b128 v[10:11], v[6:9], off
.LBB34_21:
	s_and_not1_b32 vcc_lo, exec_lo, s2
	s_cbranch_vccnz .LBB34_23
; %bb.22:
	v_ashrrev_i32_e32 v3, 31, v2
	s_wait_kmcnt 0x0
	s_delay_alu instid0(VALU_DEP_1)
	v_lshl_add_u64 v[10:11], v[2:3], 2, s[0:1]
	v_pk_mul_f32 v[2:3], s[14:15], v[4:5] op_sel_hi:[0,1]
	v_pk_mul_f32 v[4:5], s[14:15], v[0:1] op_sel_hi:[0,1]
	global_load_b128 v[6:9], v[10:11], off
	s_wait_loadcnt 0x0
	v_pk_fma_f32 v[0:1], s[12:13], v[6:7], v[2:3] op_sel_hi:[0,1,1]
	v_pk_fma_f32 v[2:3], s[12:13], v[8:9], v[4:5] op_sel_hi:[0,1,1]
	global_store_b128 v[10:11], v[0:3], off
.LBB34_23:
	s_endpgm
	.section	.rodata,"a",@progbits
	.p2align	6, 0x0
	.amdhsa_kernel _ZN9rocsparseL19gebsrmvn_4xn_kernelILj128ELj8ELj64EfEEvi20rocsparse_direction_NS_24const_host_device_scalarIT2_EEPKiS6_PKS3_S8_S4_PS3_21rocsparse_index_base_b
		.amdhsa_group_segment_fixed_size 0
		.amdhsa_private_segment_fixed_size 0
		.amdhsa_kernarg_size 72
		.amdhsa_user_sgpr_count 2
		.amdhsa_user_sgpr_dispatch_ptr 0
		.amdhsa_user_sgpr_queue_ptr 0
		.amdhsa_user_sgpr_kernarg_segment_ptr 1
		.amdhsa_user_sgpr_dispatch_id 0
		.amdhsa_user_sgpr_kernarg_preload_length 0
		.amdhsa_user_sgpr_kernarg_preload_offset 0
		.amdhsa_user_sgpr_private_segment_size 0
		.amdhsa_wavefront_size32 1
		.amdhsa_uses_dynamic_stack 0
		.amdhsa_enable_private_segment 0
		.amdhsa_system_sgpr_workgroup_id_x 1
		.amdhsa_system_sgpr_workgroup_id_y 0
		.amdhsa_system_sgpr_workgroup_id_z 0
		.amdhsa_system_sgpr_workgroup_info 0
		.amdhsa_system_vgpr_workitem_id 0
		.amdhsa_next_free_vgpr 56
		.amdhsa_next_free_sgpr 18
		.amdhsa_named_barrier_count 0
		.amdhsa_reserve_vcc 1
		.amdhsa_float_round_mode_32 0
		.amdhsa_float_round_mode_16_64 0
		.amdhsa_float_denorm_mode_32 3
		.amdhsa_float_denorm_mode_16_64 3
		.amdhsa_fp16_overflow 0
		.amdhsa_memory_ordered 1
		.amdhsa_forward_progress 1
		.amdhsa_inst_pref_size 16
		.amdhsa_round_robin_scheduling 0
		.amdhsa_exception_fp_ieee_invalid_op 0
		.amdhsa_exception_fp_denorm_src 0
		.amdhsa_exception_fp_ieee_div_zero 0
		.amdhsa_exception_fp_ieee_overflow 0
		.amdhsa_exception_fp_ieee_underflow 0
		.amdhsa_exception_fp_ieee_inexact 0
		.amdhsa_exception_int_div_zero 0
	.end_amdhsa_kernel
	.section	.text._ZN9rocsparseL19gebsrmvn_4xn_kernelILj128ELj8ELj64EfEEvi20rocsparse_direction_NS_24const_host_device_scalarIT2_EEPKiS6_PKS3_S8_S4_PS3_21rocsparse_index_base_b,"axG",@progbits,_ZN9rocsparseL19gebsrmvn_4xn_kernelILj128ELj8ELj64EfEEvi20rocsparse_direction_NS_24const_host_device_scalarIT2_EEPKiS6_PKS3_S8_S4_PS3_21rocsparse_index_base_b,comdat
.Lfunc_end34:
	.size	_ZN9rocsparseL19gebsrmvn_4xn_kernelILj128ELj8ELj64EfEEvi20rocsparse_direction_NS_24const_host_device_scalarIT2_EEPKiS6_PKS3_S8_S4_PS3_21rocsparse_index_base_b, .Lfunc_end34-_ZN9rocsparseL19gebsrmvn_4xn_kernelILj128ELj8ELj64EfEEvi20rocsparse_direction_NS_24const_host_device_scalarIT2_EEPKiS6_PKS3_S8_S4_PS3_21rocsparse_index_base_b
                                        ; -- End function
	.set _ZN9rocsparseL19gebsrmvn_4xn_kernelILj128ELj8ELj64EfEEvi20rocsparse_direction_NS_24const_host_device_scalarIT2_EEPKiS6_PKS3_S8_S4_PS3_21rocsparse_index_base_b.num_vgpr, 56
	.set _ZN9rocsparseL19gebsrmvn_4xn_kernelILj128ELj8ELj64EfEEvi20rocsparse_direction_NS_24const_host_device_scalarIT2_EEPKiS6_PKS3_S8_S4_PS3_21rocsparse_index_base_b.num_agpr, 0
	.set _ZN9rocsparseL19gebsrmvn_4xn_kernelILj128ELj8ELj64EfEEvi20rocsparse_direction_NS_24const_host_device_scalarIT2_EEPKiS6_PKS3_S8_S4_PS3_21rocsparse_index_base_b.numbered_sgpr, 18
	.set _ZN9rocsparseL19gebsrmvn_4xn_kernelILj128ELj8ELj64EfEEvi20rocsparse_direction_NS_24const_host_device_scalarIT2_EEPKiS6_PKS3_S8_S4_PS3_21rocsparse_index_base_b.num_named_barrier, 0
	.set _ZN9rocsparseL19gebsrmvn_4xn_kernelILj128ELj8ELj64EfEEvi20rocsparse_direction_NS_24const_host_device_scalarIT2_EEPKiS6_PKS3_S8_S4_PS3_21rocsparse_index_base_b.private_seg_size, 0
	.set _ZN9rocsparseL19gebsrmvn_4xn_kernelILj128ELj8ELj64EfEEvi20rocsparse_direction_NS_24const_host_device_scalarIT2_EEPKiS6_PKS3_S8_S4_PS3_21rocsparse_index_base_b.uses_vcc, 1
	.set _ZN9rocsparseL19gebsrmvn_4xn_kernelILj128ELj8ELj64EfEEvi20rocsparse_direction_NS_24const_host_device_scalarIT2_EEPKiS6_PKS3_S8_S4_PS3_21rocsparse_index_base_b.uses_flat_scratch, 0
	.set _ZN9rocsparseL19gebsrmvn_4xn_kernelILj128ELj8ELj64EfEEvi20rocsparse_direction_NS_24const_host_device_scalarIT2_EEPKiS6_PKS3_S8_S4_PS3_21rocsparse_index_base_b.has_dyn_sized_stack, 0
	.set _ZN9rocsparseL19gebsrmvn_4xn_kernelILj128ELj8ELj64EfEEvi20rocsparse_direction_NS_24const_host_device_scalarIT2_EEPKiS6_PKS3_S8_S4_PS3_21rocsparse_index_base_b.has_recursion, 0
	.set _ZN9rocsparseL19gebsrmvn_4xn_kernelILj128ELj8ELj64EfEEvi20rocsparse_direction_NS_24const_host_device_scalarIT2_EEPKiS6_PKS3_S8_S4_PS3_21rocsparse_index_base_b.has_indirect_call, 0
	.section	.AMDGPU.csdata,"",@progbits
; Kernel info:
; codeLenInByte = 1996
; TotalNumSgprs: 20
; NumVgprs: 56
; ScratchSize: 0
; MemoryBound: 0
; FloatMode: 240
; IeeeMode: 1
; LDSByteSize: 0 bytes/workgroup (compile time only)
; SGPRBlocks: 0
; VGPRBlocks: 3
; NumSGPRsForWavesPerEU: 20
; NumVGPRsForWavesPerEU: 56
; NamedBarCnt: 0
; Occupancy: 16
; WaveLimiterHint : 1
; COMPUTE_PGM_RSRC2:SCRATCH_EN: 0
; COMPUTE_PGM_RSRC2:USER_SGPR: 2
; COMPUTE_PGM_RSRC2:TRAP_HANDLER: 0
; COMPUTE_PGM_RSRC2:TGID_X_EN: 1
; COMPUTE_PGM_RSRC2:TGID_Y_EN: 0
; COMPUTE_PGM_RSRC2:TGID_Z_EN: 0
; COMPUTE_PGM_RSRC2:TIDIG_COMP_CNT: 0
	.section	.text._ZN9rocsparseL23gebsrmvn_general_kernelILj64ELj16EfEEvi20rocsparse_direction_NS_24const_host_device_scalarIT1_EEPKiS6_PKS3_iiS8_S4_PS3_21rocsparse_index_base_b,"axG",@progbits,_ZN9rocsparseL23gebsrmvn_general_kernelILj64ELj16EfEEvi20rocsparse_direction_NS_24const_host_device_scalarIT1_EEPKiS6_PKS3_iiS8_S4_PS3_21rocsparse_index_base_b,comdat
	.globl	_ZN9rocsparseL23gebsrmvn_general_kernelILj64ELj16EfEEvi20rocsparse_direction_NS_24const_host_device_scalarIT1_EEPKiS6_PKS3_iiS8_S4_PS3_21rocsparse_index_base_b ; -- Begin function _ZN9rocsparseL23gebsrmvn_general_kernelILj64ELj16EfEEvi20rocsparse_direction_NS_24const_host_device_scalarIT1_EEPKiS6_PKS3_iiS8_S4_PS3_21rocsparse_index_base_b
	.p2align	8
	.type	_ZN9rocsparseL23gebsrmvn_general_kernelILj64ELj16EfEEvi20rocsparse_direction_NS_24const_host_device_scalarIT1_EEPKiS6_PKS3_iiS8_S4_PS3_21rocsparse_index_base_b,@function
_ZN9rocsparseL23gebsrmvn_general_kernelILj64ELj16EfEEvi20rocsparse_direction_NS_24const_host_device_scalarIT1_EEPKiS6_PKS3_iiS8_S4_PS3_21rocsparse_index_base_b: ; @_ZN9rocsparseL23gebsrmvn_general_kernelILj64ELj16EfEEvi20rocsparse_direction_NS_24const_host_device_scalarIT1_EEPKiS6_PKS3_iiS8_S4_PS3_21rocsparse_index_base_b
; %bb.0:
	s_clause 0x2
	s_load_b64 s[2:3], s[0:1], 0x48
	s_load_b64 s[8:9], s[0:1], 0x8
	;; [unrolled: 1-line block ×3, first 2 shown]
	s_wait_kmcnt 0x0
	s_bitcmp1_b32 s3, 0
	s_cselect_b32 s3, -1, 0
	s_delay_alu instid0(SALU_CYCLE_1)
	s_and_b32 vcc_lo, exec_lo, s3
	s_xor_b32 s3, s3, -1
	s_cbranch_vccnz .LBB35_2
; %bb.1:
	s_load_b32 s8, s[8:9], 0x0
.LBB35_2:
	s_and_not1_b32 vcc_lo, exec_lo, s3
	s_cbranch_vccnz .LBB35_4
; %bb.3:
	s_load_b32 s10, s[10:11], 0x0
.LBB35_4:
	s_wait_kmcnt 0x0
	s_cmp_eq_f32 s8, 0
	s_cselect_b32 s3, -1, 0
	s_cmp_eq_f32 s10, 1.0
	s_cselect_b32 s4, -1, 0
	s_delay_alu instid0(SALU_CYCLE_1) | instskip(NEXT) | instid1(SALU_CYCLE_1)
	s_and_b32 s3, s3, s4
	s_and_b32 vcc_lo, exec_lo, s3
	s_cbranch_vccnz .LBB35_24
; %bb.5:
	s_load_b64 s[12:13], s[0:1], 0x28
	v_lshrrev_b32_e32 v1, 4, v0
	s_mov_b32 s3, exec_lo
	s_wait_kmcnt 0x0
	s_delay_alu instid0(VALU_DEP_1)
	v_cmpx_gt_i32_e64 s12, v1
	s_cbranch_execz .LBB35_24
; %bb.6:
	s_load_b128 s[4:7], s[0:1], 0x10
	s_bfe_u32 s3, ttmp6, 0x4000c
	s_and_b32 s9, ttmp6, 15
	s_add_co_i32 s3, s3, 1
	s_getreg_b32 s11, hwreg(HW_REG_IB_STS2, 6, 4)
	s_mul_i32 s3, ttmp9, s3
	v_mbcnt_lo_u32_b32 v3, -1, 0
	s_add_co_i32 s9, s9, s3
	s_cmp_eq_u32 s11, 0
	s_mov_b32 s3, 0
	s_cselect_b32 s18, ttmp9, s9
	v_xor_b32_e32 v4, 4, v3
	s_ashr_i32 s19, s18, 31
	v_xor_b32_e32 v2, 8, v3
	s_lshl_b64 s[14:15], s[18:19], 2
	s_load_b32 s19, s[0:1], 0x4
	s_mul_i32 s23, s12, s18
	s_mul_i32 s25, s13, s12
	v_cmp_gt_i32_e32 vcc_lo, 32, v2
	v_and_b32_e32 v0, 15, v0
	s_wait_kmcnt 0x0
	s_add_nc_u64 s[4:5], s[4:5], s[14:15]
	s_load_b64 s[20:21], s[4:5], 0x0
	v_cndmask_b32_e32 v2, v3, v2, vcc_lo
	s_wait_xcnt 0x0
	s_clause 0x2
	s_load_b64 s[4:5], s[0:1], 0x20
	s_load_b64 s[14:15], s[0:1], 0x30
	;; [unrolled: 1-line block ×3, first 2 shown]
	s_wait_xcnt 0x0
	v_cmp_gt_i32_e64 s0, s13, v0
	v_cmp_eq_u32_e64 s1, 15, v0
	v_lshlrev_b32_e32 v2, 2, v2
	v_cmp_gt_i32_e32 vcc_lo, 32, v4
	v_dual_cndmask_b32 v4, v3, v4, vcc_lo :: v_dual_bitop2_b32 v5, 2, v3 bitop3:0x14
	s_delay_alu instid0(VALU_DEP_1)
	v_cmp_gt_i32_e32 vcc_lo, 32, v5
	v_xor_b32_e32 v7, 1, v3
	s_wait_kmcnt 0x0
	s_sub_co_i32 s9, s20, s2
	s_sub_co_i32 s11, s21, s2
	v_mad_u32 v6, s12, s9, v1
	v_cndmask_b32_e32 v5, v3, v5, vcc_lo
	v_cmp_gt_i32_e32 vcc_lo, 32, v7
	s_cmp_lt_i32 s20, s21
	s_cselect_b32 s20, -1, 0
	s_cmp_lg_u32 s19, 0
	v_dual_cndmask_b32 v7, v3, v7, vcc_lo :: v_dual_lshlrev_b32 v5, 2, v5
	v_lshlrev_b32_e32 v3, 2, v4
	s_cselect_b32 s21, -1, 0
	v_mul_lo_u32 v4, s13, v6
	s_cmp_eq_f32 s10, 0
	v_lshlrev_b32_e32 v6, 2, v7
	s_cselect_b32 s22, -1, 0
	s_lshl_b32 s24, s13, 2
	s_branch .LBB35_8
.LBB35_7:                               ;   in Loop: Header=BB35_8 Depth=1
	s_wait_xcnt 0x0
	s_or_b32 exec_lo, exec_lo, s18
	v_dual_add_nc_u32 v1, 4, v1 :: v_dual_add_nc_u32 v4, s24, v4
	s_delay_alu instid0(VALU_DEP_1) | instskip(SKIP_1) | instid1(SALU_CYCLE_1)
	v_cmp_le_i32_e32 vcc_lo, s12, v1
	s_or_b32 s3, vcc_lo, s3
	s_and_not1_b32 exec_lo, exec_lo, s3
	s_cbranch_execz .LBB35_24
.LBB35_8:                               ; =>This Loop Header: Depth=1
                                        ;     Child Loop BB35_12 Depth 2
                                        ;       Child Loop BB35_15 Depth 3
	v_mov_b32_e32 v7, 0
	s_and_not1_b32 vcc_lo, exec_lo, s20
	s_cbranch_vccnz .LBB35_19
; %bb.9:                                ;   in Loop: Header=BB35_8 Depth=1
	s_wait_dscnt 0x0
	s_delay_alu instid0(VALU_DEP_3)
	v_dual_mov_b32 v7, 0 :: v_dual_mov_b32 v8, v4
	s_mov_b32 s18, s9
	s_branch .LBB35_12
.LBB35_10:                              ;   in Loop: Header=BB35_12 Depth=2
	s_or_b32 exec_lo, exec_lo, s27
.LBB35_11:                              ;   in Loop: Header=BB35_12 Depth=2
	s_delay_alu instid0(SALU_CYCLE_1) | instskip(SKIP_2) | instid1(SALU_CYCLE_1)
	s_or_b32 exec_lo, exec_lo, s26
	v_add_nc_u32_e32 v8, s25, v8
	s_add_co_i32 s18, s18, 1
	s_cmp_ge_i32 s18, s11
	s_cbranch_scc1 .LBB35_19
.LBB35_12:                              ;   Parent Loop BB35_8 Depth=1
                                        ; =>  This Loop Header: Depth=2
                                        ;       Child Loop BB35_15 Depth 3
	s_and_saveexec_b32 s26, s0
	s_cbranch_execz .LBB35_11
; %bb.13:                               ;   in Loop: Header=BB35_12 Depth=2
	s_ashr_i32 s19, s18, 31
	v_mov_b32_e32 v9, v0
	s_lshl_b64 s[28:29], s[18:19], 2
	s_mov_b32 s27, 0
	s_add_nc_u64 s[28:29], s[6:7], s[28:29]
	s_load_b32 s19, s[28:29], 0x0
	s_wait_kmcnt 0x0
	s_wait_xcnt 0x0
	s_sub_co_i32 s28, s19, s2
	s_mul_i32 s19, s18, s13
	s_mul_i32 s28, s28, s13
	s_branch .LBB35_15
.LBB35_14:                              ;   in Loop: Header=BB35_15 Depth=3
	v_dual_add_nc_u32 v11, s28, v9 :: v_dual_add_nc_u32 v9, 16, v9
	global_load_b32 v12, v10, s[4:5] scale_offset
	global_load_b32 v13, v11, s[14:15] scale_offset
	v_cmp_le_i32_e32 vcc_lo, s13, v9
	s_or_b32 s27, vcc_lo, s27
	s_wait_loadcnt 0x0
	v_fmac_f32_e32 v7, v12, v13
	s_wait_xcnt 0x0
	s_and_not1_b32 exec_lo, exec_lo, s27
	s_cbranch_execz .LBB35_10
.LBB35_15:                              ;   Parent Loop BB35_8 Depth=1
                                        ;     Parent Loop BB35_12 Depth=2
                                        ; =>    This Inner Loop Header: Depth=3
	s_and_b32 vcc_lo, exec_lo, s21
	s_cbranch_vccz .LBB35_17
; %bb.16:                               ;   in Loop: Header=BB35_15 Depth=3
	v_add_nc_u32_e32 v10, s19, v9
	s_delay_alu instid0(VALU_DEP_1)
	v_mad_u32 v10, v10, s12, v1
	s_cbranch_execnz .LBB35_14
	s_branch .LBB35_18
.LBB35_17:                              ;   in Loop: Header=BB35_15 Depth=3
                                        ; implicit-def: $vgpr10
.LBB35_18:                              ;   in Loop: Header=BB35_15 Depth=3
	v_add_nc_u32_e32 v10, v8, v9
	s_branch .LBB35_14
.LBB35_19:                              ;   in Loop: Header=BB35_8 Depth=1
	s_wait_dscnt 0x0
	ds_bpermute_b32 v8, v2, v7
	s_wait_dscnt 0x0
	v_add_f32_e32 v7, v7, v8
	ds_bpermute_b32 v8, v3, v7
	s_wait_dscnt 0x0
	v_add_f32_e32 v7, v7, v8
	ds_bpermute_b32 v8, v5, v7
	s_wait_dscnt 0x0
	v_add_f32_e32 v7, v7, v8
	ds_bpermute_b32 v8, v6, v7
	s_and_saveexec_b32 s18, s1
	s_cbranch_execz .LBB35_7
; %bb.20:                               ;   in Loop: Header=BB35_8 Depth=1
	s_wait_dscnt 0x0
	v_dual_add_f32 v7, v7, v8 :: v_dual_add_nc_u32 v8, s23, v1
	s_and_b32 vcc_lo, exec_lo, s22
	s_delay_alu instid0(VALU_DEP_1)
	v_mul_f32_e32 v7, s8, v7
	s_cbranch_vccz .LBB35_22
; %bb.21:                               ;   in Loop: Header=BB35_8 Depth=1
	global_store_b32 v8, v7, s[16:17] scale_offset
	s_cbranch_execnz .LBB35_7
	s_branch .LBB35_23
.LBB35_22:                              ;   in Loop: Header=BB35_8 Depth=1
.LBB35_23:                              ;   in Loop: Header=BB35_8 Depth=1
	global_load_b32 v9, v8, s[16:17] scale_offset
	s_wait_loadcnt 0x0
	s_wait_xcnt 0x1
	v_fmac_f32_e32 v7, s10, v9
	global_store_b32 v8, v7, s[16:17] scale_offset
	s_branch .LBB35_7
.LBB35_24:
	s_endpgm
	.section	.rodata,"a",@progbits
	.p2align	6, 0x0
	.amdhsa_kernel _ZN9rocsparseL23gebsrmvn_general_kernelILj64ELj16EfEEvi20rocsparse_direction_NS_24const_host_device_scalarIT1_EEPKiS6_PKS3_iiS8_S4_PS3_21rocsparse_index_base_b
		.amdhsa_group_segment_fixed_size 0
		.amdhsa_private_segment_fixed_size 0
		.amdhsa_kernarg_size 80
		.amdhsa_user_sgpr_count 2
		.amdhsa_user_sgpr_dispatch_ptr 0
		.amdhsa_user_sgpr_queue_ptr 0
		.amdhsa_user_sgpr_kernarg_segment_ptr 1
		.amdhsa_user_sgpr_dispatch_id 0
		.amdhsa_user_sgpr_kernarg_preload_length 0
		.amdhsa_user_sgpr_kernarg_preload_offset 0
		.amdhsa_user_sgpr_private_segment_size 0
		.amdhsa_wavefront_size32 1
		.amdhsa_uses_dynamic_stack 0
		.amdhsa_enable_private_segment 0
		.amdhsa_system_sgpr_workgroup_id_x 1
		.amdhsa_system_sgpr_workgroup_id_y 0
		.amdhsa_system_sgpr_workgroup_id_z 0
		.amdhsa_system_sgpr_workgroup_info 0
		.amdhsa_system_vgpr_workitem_id 0
		.amdhsa_next_free_vgpr 14
		.amdhsa_next_free_sgpr 30
		.amdhsa_named_barrier_count 0
		.amdhsa_reserve_vcc 1
		.amdhsa_float_round_mode_32 0
		.amdhsa_float_round_mode_16_64 0
		.amdhsa_float_denorm_mode_32 3
		.amdhsa_float_denorm_mode_16_64 3
		.amdhsa_fp16_overflow 0
		.amdhsa_memory_ordered 1
		.amdhsa_forward_progress 1
		.amdhsa_inst_pref_size 7
		.amdhsa_round_robin_scheduling 0
		.amdhsa_exception_fp_ieee_invalid_op 0
		.amdhsa_exception_fp_denorm_src 0
		.amdhsa_exception_fp_ieee_div_zero 0
		.amdhsa_exception_fp_ieee_overflow 0
		.amdhsa_exception_fp_ieee_underflow 0
		.amdhsa_exception_fp_ieee_inexact 0
		.amdhsa_exception_int_div_zero 0
	.end_amdhsa_kernel
	.section	.text._ZN9rocsparseL23gebsrmvn_general_kernelILj64ELj16EfEEvi20rocsparse_direction_NS_24const_host_device_scalarIT1_EEPKiS6_PKS3_iiS8_S4_PS3_21rocsparse_index_base_b,"axG",@progbits,_ZN9rocsparseL23gebsrmvn_general_kernelILj64ELj16EfEEvi20rocsparse_direction_NS_24const_host_device_scalarIT1_EEPKiS6_PKS3_iiS8_S4_PS3_21rocsparse_index_base_b,comdat
.Lfunc_end35:
	.size	_ZN9rocsparseL23gebsrmvn_general_kernelILj64ELj16EfEEvi20rocsparse_direction_NS_24const_host_device_scalarIT1_EEPKiS6_PKS3_iiS8_S4_PS3_21rocsparse_index_base_b, .Lfunc_end35-_ZN9rocsparseL23gebsrmvn_general_kernelILj64ELj16EfEEvi20rocsparse_direction_NS_24const_host_device_scalarIT1_EEPKiS6_PKS3_iiS8_S4_PS3_21rocsparse_index_base_b
                                        ; -- End function
	.set _ZN9rocsparseL23gebsrmvn_general_kernelILj64ELj16EfEEvi20rocsparse_direction_NS_24const_host_device_scalarIT1_EEPKiS6_PKS3_iiS8_S4_PS3_21rocsparse_index_base_b.num_vgpr, 14
	.set _ZN9rocsparseL23gebsrmvn_general_kernelILj64ELj16EfEEvi20rocsparse_direction_NS_24const_host_device_scalarIT1_EEPKiS6_PKS3_iiS8_S4_PS3_21rocsparse_index_base_b.num_agpr, 0
	.set _ZN9rocsparseL23gebsrmvn_general_kernelILj64ELj16EfEEvi20rocsparse_direction_NS_24const_host_device_scalarIT1_EEPKiS6_PKS3_iiS8_S4_PS3_21rocsparse_index_base_b.numbered_sgpr, 30
	.set _ZN9rocsparseL23gebsrmvn_general_kernelILj64ELj16EfEEvi20rocsparse_direction_NS_24const_host_device_scalarIT1_EEPKiS6_PKS3_iiS8_S4_PS3_21rocsparse_index_base_b.num_named_barrier, 0
	.set _ZN9rocsparseL23gebsrmvn_general_kernelILj64ELj16EfEEvi20rocsparse_direction_NS_24const_host_device_scalarIT1_EEPKiS6_PKS3_iiS8_S4_PS3_21rocsparse_index_base_b.private_seg_size, 0
	.set _ZN9rocsparseL23gebsrmvn_general_kernelILj64ELj16EfEEvi20rocsparse_direction_NS_24const_host_device_scalarIT1_EEPKiS6_PKS3_iiS8_S4_PS3_21rocsparse_index_base_b.uses_vcc, 1
	.set _ZN9rocsparseL23gebsrmvn_general_kernelILj64ELj16EfEEvi20rocsparse_direction_NS_24const_host_device_scalarIT1_EEPKiS6_PKS3_iiS8_S4_PS3_21rocsparse_index_base_b.uses_flat_scratch, 0
	.set _ZN9rocsparseL23gebsrmvn_general_kernelILj64ELj16EfEEvi20rocsparse_direction_NS_24const_host_device_scalarIT1_EEPKiS6_PKS3_iiS8_S4_PS3_21rocsparse_index_base_b.has_dyn_sized_stack, 0
	.set _ZN9rocsparseL23gebsrmvn_general_kernelILj64ELj16EfEEvi20rocsparse_direction_NS_24const_host_device_scalarIT1_EEPKiS6_PKS3_iiS8_S4_PS3_21rocsparse_index_base_b.has_recursion, 0
	.set _ZN9rocsparseL23gebsrmvn_general_kernelILj64ELj16EfEEvi20rocsparse_direction_NS_24const_host_device_scalarIT1_EEPKiS6_PKS3_iiS8_S4_PS3_21rocsparse_index_base_b.has_indirect_call, 0
	.section	.AMDGPU.csdata,"",@progbits
; Kernel info:
; codeLenInByte = 868
; TotalNumSgprs: 32
; NumVgprs: 14
; ScratchSize: 0
; MemoryBound: 0
; FloatMode: 240
; IeeeMode: 1
; LDSByteSize: 0 bytes/workgroup (compile time only)
; SGPRBlocks: 0
; VGPRBlocks: 0
; NumSGPRsForWavesPerEU: 32
; NumVGPRsForWavesPerEU: 14
; NamedBarCnt: 0
; Occupancy: 16
; WaveLimiterHint : 1
; COMPUTE_PGM_RSRC2:SCRATCH_EN: 0
; COMPUTE_PGM_RSRC2:USER_SGPR: 2
; COMPUTE_PGM_RSRC2:TRAP_HANDLER: 0
; COMPUTE_PGM_RSRC2:TGID_X_EN: 1
; COMPUTE_PGM_RSRC2:TGID_Y_EN: 0
; COMPUTE_PGM_RSRC2:TGID_Z_EN: 0
; COMPUTE_PGM_RSRC2:TIDIG_COMP_CNT: 0
	.section	.text._ZN9rocsparseL23gebsrmvn_general_kernelILj128ELj32EfEEvi20rocsparse_direction_NS_24const_host_device_scalarIT1_EEPKiS6_PKS3_iiS8_S4_PS3_21rocsparse_index_base_b,"axG",@progbits,_ZN9rocsparseL23gebsrmvn_general_kernelILj128ELj32EfEEvi20rocsparse_direction_NS_24const_host_device_scalarIT1_EEPKiS6_PKS3_iiS8_S4_PS3_21rocsparse_index_base_b,comdat
	.globl	_ZN9rocsparseL23gebsrmvn_general_kernelILj128ELj32EfEEvi20rocsparse_direction_NS_24const_host_device_scalarIT1_EEPKiS6_PKS3_iiS8_S4_PS3_21rocsparse_index_base_b ; -- Begin function _ZN9rocsparseL23gebsrmvn_general_kernelILj128ELj32EfEEvi20rocsparse_direction_NS_24const_host_device_scalarIT1_EEPKiS6_PKS3_iiS8_S4_PS3_21rocsparse_index_base_b
	.p2align	8
	.type	_ZN9rocsparseL23gebsrmvn_general_kernelILj128ELj32EfEEvi20rocsparse_direction_NS_24const_host_device_scalarIT1_EEPKiS6_PKS3_iiS8_S4_PS3_21rocsparse_index_base_b,@function
_ZN9rocsparseL23gebsrmvn_general_kernelILj128ELj32EfEEvi20rocsparse_direction_NS_24const_host_device_scalarIT1_EEPKiS6_PKS3_iiS8_S4_PS3_21rocsparse_index_base_b: ; @_ZN9rocsparseL23gebsrmvn_general_kernelILj128ELj32EfEEvi20rocsparse_direction_NS_24const_host_device_scalarIT1_EEPKiS6_PKS3_iiS8_S4_PS3_21rocsparse_index_base_b
; %bb.0:
	s_clause 0x2
	s_load_b64 s[2:3], s[0:1], 0x48
	s_load_b64 s[8:9], s[0:1], 0x8
	;; [unrolled: 1-line block ×3, first 2 shown]
	s_wait_kmcnt 0x0
	s_bitcmp1_b32 s3, 0
	s_cselect_b32 s3, -1, 0
	s_delay_alu instid0(SALU_CYCLE_1)
	s_and_b32 vcc_lo, exec_lo, s3
	s_xor_b32 s3, s3, -1
	s_cbranch_vccnz .LBB36_2
; %bb.1:
	s_load_b32 s8, s[8:9], 0x0
.LBB36_2:
	s_and_not1_b32 vcc_lo, exec_lo, s3
	s_cbranch_vccnz .LBB36_4
; %bb.3:
	s_load_b32 s10, s[10:11], 0x0
.LBB36_4:
	s_wait_kmcnt 0x0
	s_cmp_eq_f32 s8, 0
	s_cselect_b32 s3, -1, 0
	s_cmp_eq_f32 s10, 1.0
	s_cselect_b32 s4, -1, 0
	s_delay_alu instid0(SALU_CYCLE_1) | instskip(NEXT) | instid1(SALU_CYCLE_1)
	s_and_b32 s3, s3, s4
	s_and_b32 vcc_lo, exec_lo, s3
	s_cbranch_vccnz .LBB36_24
; %bb.5:
	s_load_b64 s[12:13], s[0:1], 0x28
	v_lshrrev_b32_e32 v1, 5, v0
	s_mov_b32 s3, exec_lo
	s_wait_kmcnt 0x0
	s_delay_alu instid0(VALU_DEP_1)
	v_cmpx_gt_i32_e64 s12, v1
	s_cbranch_execz .LBB36_24
; %bb.6:
	s_load_b128 s[4:7], s[0:1], 0x10
	s_bfe_u32 s3, ttmp6, 0x4000c
	s_and_b32 s9, ttmp6, 15
	s_add_co_i32 s3, s3, 1
	s_getreg_b32 s11, hwreg(HW_REG_IB_STS2, 6, 4)
	s_mul_i32 s3, ttmp9, s3
	v_mbcnt_lo_u32_b32 v4, -1, 0
	s_add_co_i32 s9, s9, s3
	s_cmp_eq_u32 s11, 0
	s_mov_b32 s3, 0
	s_cselect_b32 s18, ttmp9, s9
	v_xor_b32_e32 v3, 8, v4
	v_xor_b32_e32 v2, 16, v4
	s_ashr_i32 s19, s18, 31
	s_mul_i32 s23, s12, s18
	s_lshl_b64 s[14:15], s[18:19], 2
	s_load_b32 s19, s[0:1], 0x4
	v_cmp_gt_i32_e32 vcc_lo, 32, v2
	v_and_b32_e32 v0, 31, v0
	s_mul_i32 s25, s13, s12
	s_wait_kmcnt 0x0
	s_add_nc_u64 s[4:5], s[4:5], s[14:15]
	v_cndmask_b32_e32 v2, v4, v2, vcc_lo
	s_load_b64 s[20:21], s[4:5], 0x0
	s_wait_xcnt 0x0
	s_clause 0x2
	s_load_b64 s[4:5], s[0:1], 0x20
	s_load_b64 s[14:15], s[0:1], 0x30
	;; [unrolled: 1-line block ×3, first 2 shown]
	s_wait_xcnt 0x0
	v_cmp_gt_i32_e64 s0, s13, v0
	v_cmp_eq_u32_e64 s1, 31, v0
	v_lshlrev_b32_e32 v2, 2, v2
	v_cmp_gt_i32_e32 vcc_lo, 32, v3
	v_dual_cndmask_b32 v3, v4, v3, vcc_lo :: v_dual_bitop2_b32 v5, 4, v4 bitop3:0x14
	s_delay_alu instid0(VALU_DEP_1) | instskip(NEXT) | instid1(VALU_DEP_2)
	v_lshlrev_b32_e32 v3, 2, v3
	v_cmp_gt_i32_e32 vcc_lo, 32, v5
	v_xor_b32_e32 v6, 2, v4
	s_wait_kmcnt 0x0
	s_sub_co_i32 s9, s20, s2
	v_cndmask_b32_e32 v5, v4, v5, vcc_lo
	v_mad_u32 v7, s12, s9, v1
	v_cmp_gt_i32_e32 vcc_lo, 32, v6
	v_xor_b32_e32 v8, 1, v4
	s_sub_co_i32 s11, s21, s2
	s_cmp_lt_i32 s20, s21
	v_cndmask_b32_e32 v6, v4, v6, vcc_lo
	s_delay_alu instid0(VALU_DEP_2)
	v_cmp_gt_i32_e32 vcc_lo, 32, v8
	s_cselect_b32 s20, -1, 0
	s_cmp_lg_u32 s19, 0
	s_cselect_b32 s21, -1, 0
	v_dual_cndmask_b32 v8, v4, v8, vcc_lo :: v_dual_lshlrev_b32 v4, 2, v5
	v_mul_lo_u32 v5, s13, v7
	s_cmp_eq_f32 s10, 0
	s_delay_alu instid0(VALU_DEP_2)
	v_dual_lshlrev_b32 v6, 2, v6 :: v_dual_lshlrev_b32 v7, 2, v8
	s_cselect_b32 s22, -1, 0
	s_lshl_b32 s24, s13, 2
	s_branch .LBB36_8
.LBB36_7:                               ;   in Loop: Header=BB36_8 Depth=1
	s_wait_xcnt 0x0
	s_or_b32 exec_lo, exec_lo, s18
	v_add_nc_u32_e32 v1, 4, v1
	v_add_nc_u32_e32 v5, s24, v5
	s_delay_alu instid0(VALU_DEP_2) | instskip(SKIP_1) | instid1(SALU_CYCLE_1)
	v_cmp_le_i32_e32 vcc_lo, s12, v1
	s_or_b32 s3, vcc_lo, s3
	s_and_not1_b32 exec_lo, exec_lo, s3
	s_cbranch_execz .LBB36_24
.LBB36_8:                               ; =>This Loop Header: Depth=1
                                        ;     Child Loop BB36_12 Depth 2
                                        ;       Child Loop BB36_15 Depth 3
	v_mov_b32_e32 v8, 0
	s_and_not1_b32 vcc_lo, exec_lo, s20
	s_cbranch_vccnz .LBB36_19
; %bb.9:                                ;   in Loop: Header=BB36_8 Depth=1
	s_wait_dscnt 0x0
	s_delay_alu instid0(VALU_DEP_3)
	v_dual_mov_b32 v8, 0 :: v_dual_mov_b32 v9, v5
	s_mov_b32 s18, s9
	s_branch .LBB36_12
.LBB36_10:                              ;   in Loop: Header=BB36_12 Depth=2
	s_or_b32 exec_lo, exec_lo, s27
.LBB36_11:                              ;   in Loop: Header=BB36_12 Depth=2
	s_delay_alu instid0(SALU_CYCLE_1) | instskip(SKIP_2) | instid1(SALU_CYCLE_1)
	s_or_b32 exec_lo, exec_lo, s26
	v_add_nc_u32_e32 v9, s25, v9
	s_add_co_i32 s18, s18, 1
	s_cmp_ge_i32 s18, s11
	s_cbranch_scc1 .LBB36_19
.LBB36_12:                              ;   Parent Loop BB36_8 Depth=1
                                        ; =>  This Loop Header: Depth=2
                                        ;       Child Loop BB36_15 Depth 3
	s_and_saveexec_b32 s26, s0
	s_cbranch_execz .LBB36_11
; %bb.13:                               ;   in Loop: Header=BB36_12 Depth=2
	s_ashr_i32 s19, s18, 31
	v_mov_b32_e32 v10, v0
	s_lshl_b64 s[28:29], s[18:19], 2
	s_mov_b32 s27, 0
	s_add_nc_u64 s[28:29], s[6:7], s[28:29]
	s_load_b32 s19, s[28:29], 0x0
	s_wait_kmcnt 0x0
	s_wait_xcnt 0x0
	s_sub_co_i32 s28, s19, s2
	s_mul_i32 s19, s18, s13
	s_mul_i32 s28, s28, s13
	s_branch .LBB36_15
.LBB36_14:                              ;   in Loop: Header=BB36_15 Depth=3
	v_dual_add_nc_u32 v12, s28, v10 :: v_dual_add_nc_u32 v10, 32, v10
	global_load_b32 v13, v11, s[4:5] scale_offset
	global_load_b32 v14, v12, s[14:15] scale_offset
	v_cmp_le_i32_e32 vcc_lo, s13, v10
	s_or_b32 s27, vcc_lo, s27
	s_wait_loadcnt 0x0
	v_fmac_f32_e32 v8, v13, v14
	s_wait_xcnt 0x0
	s_and_not1_b32 exec_lo, exec_lo, s27
	s_cbranch_execz .LBB36_10
.LBB36_15:                              ;   Parent Loop BB36_8 Depth=1
                                        ;     Parent Loop BB36_12 Depth=2
                                        ; =>    This Inner Loop Header: Depth=3
	s_and_b32 vcc_lo, exec_lo, s21
	s_cbranch_vccz .LBB36_17
; %bb.16:                               ;   in Loop: Header=BB36_15 Depth=3
	v_add_nc_u32_e32 v11, s19, v10
	s_delay_alu instid0(VALU_DEP_1)
	v_mad_u32 v11, v11, s12, v1
	s_cbranch_execnz .LBB36_14
	s_branch .LBB36_18
.LBB36_17:                              ;   in Loop: Header=BB36_15 Depth=3
                                        ; implicit-def: $vgpr11
.LBB36_18:                              ;   in Loop: Header=BB36_15 Depth=3
	v_add_nc_u32_e32 v11, v9, v10
	s_branch .LBB36_14
.LBB36_19:                              ;   in Loop: Header=BB36_8 Depth=1
	s_wait_dscnt 0x0
	ds_bpermute_b32 v9, v2, v8
	s_wait_dscnt 0x0
	v_add_f32_e32 v8, v8, v9
	ds_bpermute_b32 v9, v3, v8
	s_wait_dscnt 0x0
	v_add_f32_e32 v8, v8, v9
	;; [unrolled: 3-line block ×4, first 2 shown]
	ds_bpermute_b32 v9, v7, v8
	s_and_saveexec_b32 s18, s1
	s_cbranch_execz .LBB36_7
; %bb.20:                               ;   in Loop: Header=BB36_8 Depth=1
	s_wait_dscnt 0x0
	v_add_f32_e32 v8, v8, v9
	s_and_b32 vcc_lo, exec_lo, s22
	s_delay_alu instid0(VALU_DEP_1)
	v_dual_mul_f32 v8, s8, v8 :: v_dual_add_nc_u32 v9, s23, v1
	s_cbranch_vccz .LBB36_22
; %bb.21:                               ;   in Loop: Header=BB36_8 Depth=1
	global_store_b32 v9, v8, s[16:17] scale_offset
	s_cbranch_execnz .LBB36_7
	s_branch .LBB36_23
.LBB36_22:                              ;   in Loop: Header=BB36_8 Depth=1
.LBB36_23:                              ;   in Loop: Header=BB36_8 Depth=1
	global_load_b32 v10, v9, s[16:17] scale_offset
	s_wait_loadcnt 0x0
	s_wait_xcnt 0x1
	v_fmac_f32_e32 v8, s10, v10
	global_store_b32 v9, v8, s[16:17] scale_offset
	s_branch .LBB36_7
.LBB36_24:
	s_endpgm
	.section	.rodata,"a",@progbits
	.p2align	6, 0x0
	.amdhsa_kernel _ZN9rocsparseL23gebsrmvn_general_kernelILj128ELj32EfEEvi20rocsparse_direction_NS_24const_host_device_scalarIT1_EEPKiS6_PKS3_iiS8_S4_PS3_21rocsparse_index_base_b
		.amdhsa_group_segment_fixed_size 0
		.amdhsa_private_segment_fixed_size 0
		.amdhsa_kernarg_size 80
		.amdhsa_user_sgpr_count 2
		.amdhsa_user_sgpr_dispatch_ptr 0
		.amdhsa_user_sgpr_queue_ptr 0
		.amdhsa_user_sgpr_kernarg_segment_ptr 1
		.amdhsa_user_sgpr_dispatch_id 0
		.amdhsa_user_sgpr_kernarg_preload_length 0
		.amdhsa_user_sgpr_kernarg_preload_offset 0
		.amdhsa_user_sgpr_private_segment_size 0
		.amdhsa_wavefront_size32 1
		.amdhsa_uses_dynamic_stack 0
		.amdhsa_enable_private_segment 0
		.amdhsa_system_sgpr_workgroup_id_x 1
		.amdhsa_system_sgpr_workgroup_id_y 0
		.amdhsa_system_sgpr_workgroup_id_z 0
		.amdhsa_system_sgpr_workgroup_info 0
		.amdhsa_system_vgpr_workitem_id 0
		.amdhsa_next_free_vgpr 15
		.amdhsa_next_free_sgpr 30
		.amdhsa_named_barrier_count 0
		.amdhsa_reserve_vcc 1
		.amdhsa_float_round_mode_32 0
		.amdhsa_float_round_mode_16_64 0
		.amdhsa_float_denorm_mode_32 3
		.amdhsa_float_denorm_mode_16_64 3
		.amdhsa_fp16_overflow 0
		.amdhsa_memory_ordered 1
		.amdhsa_forward_progress 1
		.amdhsa_inst_pref_size 8
		.amdhsa_round_robin_scheduling 0
		.amdhsa_exception_fp_ieee_invalid_op 0
		.amdhsa_exception_fp_denorm_src 0
		.amdhsa_exception_fp_ieee_div_zero 0
		.amdhsa_exception_fp_ieee_overflow 0
		.amdhsa_exception_fp_ieee_underflow 0
		.amdhsa_exception_fp_ieee_inexact 0
		.amdhsa_exception_int_div_zero 0
	.end_amdhsa_kernel
	.section	.text._ZN9rocsparseL23gebsrmvn_general_kernelILj128ELj32EfEEvi20rocsparse_direction_NS_24const_host_device_scalarIT1_EEPKiS6_PKS3_iiS8_S4_PS3_21rocsparse_index_base_b,"axG",@progbits,_ZN9rocsparseL23gebsrmvn_general_kernelILj128ELj32EfEEvi20rocsparse_direction_NS_24const_host_device_scalarIT1_EEPKiS6_PKS3_iiS8_S4_PS3_21rocsparse_index_base_b,comdat
.Lfunc_end36:
	.size	_ZN9rocsparseL23gebsrmvn_general_kernelILj128ELj32EfEEvi20rocsparse_direction_NS_24const_host_device_scalarIT1_EEPKiS6_PKS3_iiS8_S4_PS3_21rocsparse_index_base_b, .Lfunc_end36-_ZN9rocsparseL23gebsrmvn_general_kernelILj128ELj32EfEEvi20rocsparse_direction_NS_24const_host_device_scalarIT1_EEPKiS6_PKS3_iiS8_S4_PS3_21rocsparse_index_base_b
                                        ; -- End function
	.set _ZN9rocsparseL23gebsrmvn_general_kernelILj128ELj32EfEEvi20rocsparse_direction_NS_24const_host_device_scalarIT1_EEPKiS6_PKS3_iiS8_S4_PS3_21rocsparse_index_base_b.num_vgpr, 15
	.set _ZN9rocsparseL23gebsrmvn_general_kernelILj128ELj32EfEEvi20rocsparse_direction_NS_24const_host_device_scalarIT1_EEPKiS6_PKS3_iiS8_S4_PS3_21rocsparse_index_base_b.num_agpr, 0
	.set _ZN9rocsparseL23gebsrmvn_general_kernelILj128ELj32EfEEvi20rocsparse_direction_NS_24const_host_device_scalarIT1_EEPKiS6_PKS3_iiS8_S4_PS3_21rocsparse_index_base_b.numbered_sgpr, 30
	.set _ZN9rocsparseL23gebsrmvn_general_kernelILj128ELj32EfEEvi20rocsparse_direction_NS_24const_host_device_scalarIT1_EEPKiS6_PKS3_iiS8_S4_PS3_21rocsparse_index_base_b.num_named_barrier, 0
	.set _ZN9rocsparseL23gebsrmvn_general_kernelILj128ELj32EfEEvi20rocsparse_direction_NS_24const_host_device_scalarIT1_EEPKiS6_PKS3_iiS8_S4_PS3_21rocsparse_index_base_b.private_seg_size, 0
	.set _ZN9rocsparseL23gebsrmvn_general_kernelILj128ELj32EfEEvi20rocsparse_direction_NS_24const_host_device_scalarIT1_EEPKiS6_PKS3_iiS8_S4_PS3_21rocsparse_index_base_b.uses_vcc, 1
	.set _ZN9rocsparseL23gebsrmvn_general_kernelILj128ELj32EfEEvi20rocsparse_direction_NS_24const_host_device_scalarIT1_EEPKiS6_PKS3_iiS8_S4_PS3_21rocsparse_index_base_b.uses_flat_scratch, 0
	.set _ZN9rocsparseL23gebsrmvn_general_kernelILj128ELj32EfEEvi20rocsparse_direction_NS_24const_host_device_scalarIT1_EEPKiS6_PKS3_iiS8_S4_PS3_21rocsparse_index_base_b.has_dyn_sized_stack, 0
	.set _ZN9rocsparseL23gebsrmvn_general_kernelILj128ELj32EfEEvi20rocsparse_direction_NS_24const_host_device_scalarIT1_EEPKiS6_PKS3_iiS8_S4_PS3_21rocsparse_index_base_b.has_recursion, 0
	.set _ZN9rocsparseL23gebsrmvn_general_kernelILj128ELj32EfEEvi20rocsparse_direction_NS_24const_host_device_scalarIT1_EEPKiS6_PKS3_iiS8_S4_PS3_21rocsparse_index_base_b.has_indirect_call, 0
	.section	.AMDGPU.csdata,"",@progbits
; Kernel info:
; codeLenInByte = 908
; TotalNumSgprs: 32
; NumVgprs: 15
; ScratchSize: 0
; MemoryBound: 0
; FloatMode: 240
; IeeeMode: 1
; LDSByteSize: 0 bytes/workgroup (compile time only)
; SGPRBlocks: 0
; VGPRBlocks: 0
; NumSGPRsForWavesPerEU: 32
; NumVGPRsForWavesPerEU: 15
; NamedBarCnt: 0
; Occupancy: 16
; WaveLimiterHint : 1
; COMPUTE_PGM_RSRC2:SCRATCH_EN: 0
; COMPUTE_PGM_RSRC2:USER_SGPR: 2
; COMPUTE_PGM_RSRC2:TRAP_HANDLER: 0
; COMPUTE_PGM_RSRC2:TGID_X_EN: 1
; COMPUTE_PGM_RSRC2:TGID_Y_EN: 0
; COMPUTE_PGM_RSRC2:TGID_Z_EN: 0
; COMPUTE_PGM_RSRC2:TIDIG_COMP_CNT: 0
	.section	.text._ZN9rocsparseL19gebsrmvn_4xn_kernelILj128ELj1ELj4EdEEvi20rocsparse_direction_NS_24const_host_device_scalarIT2_EEPKiS6_PKS3_S8_S4_PS3_21rocsparse_index_base_b,"axG",@progbits,_ZN9rocsparseL19gebsrmvn_4xn_kernelILj128ELj1ELj4EdEEvi20rocsparse_direction_NS_24const_host_device_scalarIT2_EEPKiS6_PKS3_S8_S4_PS3_21rocsparse_index_base_b,comdat
	.globl	_ZN9rocsparseL19gebsrmvn_4xn_kernelILj128ELj1ELj4EdEEvi20rocsparse_direction_NS_24const_host_device_scalarIT2_EEPKiS6_PKS3_S8_S4_PS3_21rocsparse_index_base_b ; -- Begin function _ZN9rocsparseL19gebsrmvn_4xn_kernelILj128ELj1ELj4EdEEvi20rocsparse_direction_NS_24const_host_device_scalarIT2_EEPKiS6_PKS3_S8_S4_PS3_21rocsparse_index_base_b
	.p2align	8
	.type	_ZN9rocsparseL19gebsrmvn_4xn_kernelILj128ELj1ELj4EdEEvi20rocsparse_direction_NS_24const_host_device_scalarIT2_EEPKiS6_PKS3_S8_S4_PS3_21rocsparse_index_base_b,@function
_ZN9rocsparseL19gebsrmvn_4xn_kernelILj128ELj1ELj4EdEEvi20rocsparse_direction_NS_24const_host_device_scalarIT2_EEPKiS6_PKS3_S8_S4_PS3_21rocsparse_index_base_b: ; @_ZN9rocsparseL19gebsrmvn_4xn_kernelILj128ELj1ELj4EdEEvi20rocsparse_direction_NS_24const_host_device_scalarIT2_EEPKiS6_PKS3_S8_S4_PS3_21rocsparse_index_base_b
; %bb.0:
	s_clause 0x2
	s_load_b64 s[12:13], s[0:1], 0x40
	s_load_b64 s[4:5], s[0:1], 0x8
	;; [unrolled: 1-line block ×3, first 2 shown]
	s_wait_kmcnt 0x0
	s_bitcmp1_b32 s13, 0
	v_mov_b64_e32 v[2:3], s[4:5]
	s_cselect_b32 s6, -1, 0
	s_delay_alu instid0(SALU_CYCLE_1)
	s_and_b32 vcc_lo, exec_lo, s6
	s_xor_b32 s6, s6, -1
	s_cbranch_vccnz .LBB37_2
; %bb.1:
	v_mov_b32_e32 v1, 0
	flat_load_b64 v[2:3], v1, s[4:5]
.LBB37_2:
	v_mov_b64_e32 v[4:5], s[2:3]
	s_and_not1_b32 vcc_lo, exec_lo, s6
	s_cbranch_vccnz .LBB37_4
; %bb.3:
	s_wait_xcnt 0x0
	v_mov_b32_e32 v1, 0
	flat_load_b64 v[4:5], v1, s[2:3]
.LBB37_4:
	s_wait_loadcnt_dscnt 0x0
	v_cmp_neq_f64_e32 vcc_lo, 0, v[2:3]
	s_delay_alu instid0(VALU_DEP_2) | instskip(SKIP_1) | instid1(SALU_CYCLE_1)
	v_cmp_neq_f64_e64 s2, 1.0, v[4:5]
	s_or_b32 s2, vcc_lo, s2
	s_and_saveexec_b32 s3, s2
	s_cbranch_execz .LBB37_23
; %bb.5:
	s_load_b64 s[2:3], s[0:1], 0x0
	s_bfe_u32 s4, ttmp6, 0x4000c
	s_and_b32 s5, ttmp6, 15
	s_add_co_i32 s4, s4, 1
	s_getreg_b32 s6, hwreg(HW_REG_IB_STS2, 6, 4)
	s_mul_i32 s4, ttmp9, s4
	v_lshrrev_b32_e32 v1, 2, v0
	s_add_co_i32 s5, s5, s4
	s_cmp_eq_u32 s6, 0
	s_cselect_b32 s4, ttmp9, s5
	s_delay_alu instid0(VALU_DEP_1) | instid1(SALU_CYCLE_1)
	v_lshl_or_b32 v6, s4, 5, v1
	s_wait_kmcnt 0x0
	s_delay_alu instid0(VALU_DEP_1)
	v_cmp_gt_i32_e32 vcc_lo, s2, v6
	s_and_b32 exec_lo, exec_lo, vcc_lo
	s_cbranch_execz .LBB37_23
; %bb.6:
	s_load_b256 s[4:11], s[0:1], 0x10
	v_ashrrev_i32_e32 v7, 31, v6
	s_cmp_lg_u32 s3, 0
	s_wait_kmcnt 0x0
	s_delay_alu instid0(VALU_DEP_1)
	v_lshl_add_u64 v[8:9], v[6:7], 2, s[4:5]
	v_and_b32_e32 v7, 3, v0
	global_load_b64 v[8:9], v[8:9], off
	s_wait_loadcnt 0x0
	v_subrev_nc_u32_e32 v0, s12, v8
	v_subrev_nc_u32_e32 v16, s12, v9
	s_delay_alu instid0(VALU_DEP_2) | instskip(NEXT) | instid1(VALU_DEP_1)
	v_add_nc_u32_e32 v17, v0, v7
	v_cmp_lt_i32_e64 s2, v17, v16
	s_cbranch_scc0 .LBB37_12
; %bb.7:
	v_mov_b64_e32 v[0:1], 0
	v_mov_b64_e32 v[8:9], 0
	;; [unrolled: 1-line block ×4, first 2 shown]
	s_and_saveexec_b32 s3, s2
	s_cbranch_execz .LBB37_11
; %bb.8:
	v_mov_b64_e32 v[0:1], 0
	v_mov_b64_e32 v[8:9], 0
	;; [unrolled: 1-line block ×4, first 2 shown]
	v_dual_mov_b32 v15, 0 :: v_dual_lshlrev_b32 v14, 2, v17
	v_mov_b32_e32 v18, v17
	s_mov_b32 s4, 0
.LBB37_9:                               ; =>This Inner Loop Header: Depth=1
	global_load_b32 v19, v18, s[6:7] scale_offset
	v_lshl_add_u64 v[28:29], v[14:15], 3, s[8:9]
	s_wait_xcnt 0x0
	v_add_nc_u32_e32 v18, 4, v18
	v_add_nc_u32_e32 v14, 16, v14
	global_load_b128 v[20:23], v[28:29], off offset:16
	v_cmp_ge_i32_e32 vcc_lo, v18, v16
	s_or_b32 s4, vcc_lo, s4
	s_wait_loadcnt 0x1
	v_subrev_nc_u32_e32 v19, s12, v19
	global_load_b128 v[24:27], v[28:29], off
	global_load_b64 v[30:31], v19, s[10:11] scale_offset
	s_wait_loadcnt 0x0
	v_fmac_f64_e32 v[0:1], v[24:25], v[30:31]
	v_fmac_f64_e32 v[12:13], v[26:27], v[30:31]
	;; [unrolled: 1-line block ×4, first 2 shown]
	s_and_not1_b32 exec_lo, exec_lo, s4
	s_cbranch_execnz .LBB37_9
; %bb.10:
	s_or_b32 exec_lo, exec_lo, s4
.LBB37_11:
	s_delay_alu instid0(SALU_CYCLE_1)
	s_or_b32 exec_lo, exec_lo, s3
	s_cbranch_execz .LBB37_13
	s_branch .LBB37_18
.LBB37_12:
                                        ; implicit-def: $vgpr0_vgpr1
                                        ; implicit-def: $vgpr8_vgpr9
                                        ; implicit-def: $vgpr10_vgpr11
                                        ; implicit-def: $vgpr12_vgpr13
.LBB37_13:
	v_mov_b64_e32 v[0:1], 0
	v_mov_b64_e32 v[8:9], 0
	;; [unrolled: 1-line block ×4, first 2 shown]
	s_and_saveexec_b32 s3, s2
	s_cbranch_execz .LBB37_17
; %bb.14:
	v_mov_b64_e32 v[0:1], 0
	v_mov_b64_e32 v[8:9], 0
	;; [unrolled: 1-line block ×4, first 2 shown]
	v_dual_mov_b32 v15, 0 :: v_dual_lshlrev_b32 v14, 2, v17
	s_mov_b32 s2, 0
.LBB37_15:                              ; =>This Inner Loop Header: Depth=1
	global_load_b32 v22, v17, s[6:7] scale_offset
	v_lshl_add_u64 v[26:27], v[14:15], 3, s[8:9]
	s_wait_xcnt 0x0
	v_dual_add_nc_u32 v17, 4, v17 :: v_dual_add_nc_u32 v14, 16, v14
	global_load_b128 v[18:21], v[26:27], off offset:16
	v_cmp_ge_i32_e32 vcc_lo, v17, v16
	s_or_b32 s2, vcc_lo, s2
	s_wait_loadcnt 0x1
	v_subrev_nc_u32_e32 v30, s12, v22
	global_load_b128 v[22:25], v[26:27], off
	global_load_b64 v[28:29], v30, s[10:11] scale_offset
	s_wait_loadcnt 0x0
	v_fmac_f64_e32 v[0:1], v[22:23], v[28:29]
	v_fmac_f64_e32 v[12:13], v[24:25], v[28:29]
	;; [unrolled: 1-line block ×4, first 2 shown]
	s_and_not1_b32 exec_lo, exec_lo, s2
	s_cbranch_execnz .LBB37_15
; %bb.16:
	s_or_b32 exec_lo, exec_lo, s2
.LBB37_17:
	s_delay_alu instid0(SALU_CYCLE_1)
	s_or_b32 exec_lo, exec_lo, s3
.LBB37_18:
	v_mbcnt_lo_u32_b32 v24, -1, 0
	s_delay_alu instid0(VALU_DEP_1) | instskip(NEXT) | instid1(VALU_DEP_1)
	v_xor_b32_e32 v14, 2, v24
	v_cmp_gt_i32_e32 vcc_lo, 32, v14
	v_cndmask_b32_e32 v14, v24, v14, vcc_lo
	s_delay_alu instid0(VALU_DEP_1)
	v_lshlrev_b32_e32 v16, 2, v14
	ds_bpermute_b32 v14, v16, v0
	ds_bpermute_b32 v15, v16, v1
	;; [unrolled: 1-line block ×8, first 2 shown]
	s_wait_dscnt 0x6
	v_add_f64_e32 v[16:17], v[0:1], v[14:15]
	s_wait_dscnt 0x4
	v_add_f64_e32 v[14:15], v[12:13], v[18:19]
	;; [unrolled: 2-line block ×3, first 2 shown]
	s_wait_dscnt 0x0
	v_dual_add_f64 v[8:9], v[8:9], v[22:23] :: v_dual_bitop2_b32 v10, 1, v24 bitop3:0x14
	s_delay_alu instid0(VALU_DEP_1) | instskip(SKIP_2) | instid1(VALU_DEP_2)
	v_cmp_gt_i32_e32 vcc_lo, 32, v10
	v_cndmask_b32_e32 v10, v24, v10, vcc_lo
	v_cmp_eq_u32_e32 vcc_lo, 3, v7
	v_lshlrev_b32_e32 v19, 2, v10
	ds_bpermute_b32 v12, v19, v16
	ds_bpermute_b32 v13, v19, v17
	;; [unrolled: 1-line block ×8, first 2 shown]
	s_and_b32 exec_lo, exec_lo, vcc_lo
	s_cbranch_execz .LBB37_23
; %bb.19:
	s_wait_dscnt 0x6
	v_add_f64_e32 v[12:13], v[16:17], v[12:13]
	s_wait_dscnt 0x4
	v_add_f64_e32 v[10:11], v[14:15], v[10:11]
	;; [unrolled: 2-line block ×4, first 2 shown]
	s_load_b64 s[0:1], s[0:1], 0x38
	s_mov_b32 s2, exec_lo
	v_cmpx_eq_f64_e32 0, v[4:5]
	s_xor_b32 s2, exec_lo, s2
	s_cbranch_execz .LBB37_21
; %bb.20:
	v_dual_mul_f64 v[12:13], v[2:3], v[12:13] :: v_dual_lshlrev_b32 v4, 2, v6
	v_mul_f64_e32 v[14:15], v[2:3], v[10:11]
	v_mul_f64_e32 v[0:1], v[2:3], v[0:1]
	;; [unrolled: 1-line block ×3, first 2 shown]
                                        ; implicit-def: $vgpr6
                                        ; implicit-def: $vgpr10_vgpr11
                                        ; implicit-def: $vgpr8_vgpr9
	s_delay_alu instid0(VALU_DEP_4) | instskip(SKIP_1) | instid1(VALU_DEP_1)
	v_ashrrev_i32_e32 v5, 31, v4
	s_wait_kmcnt 0x0
	v_lshl_add_u64 v[4:5], v[4:5], 3, s[0:1]
	s_clause 0x1
	global_store_b128 v[4:5], v[12:15], off
	global_store_b128 v[4:5], v[0:3], off offset:16
                                        ; implicit-def: $vgpr2_vgpr3
                                        ; implicit-def: $vgpr12_vgpr13
                                        ; implicit-def: $vgpr4_vgpr5
                                        ; implicit-def: $vgpr0_vgpr1
.LBB37_21:
	s_wait_xcnt 0x0
	s_and_not1_saveexec_b32 s2, s2
	s_cbranch_execz .LBB37_23
; %bb.22:
	v_dual_mul_f64 v[22:23], v[2:3], v[12:13] :: v_dual_lshlrev_b32 v6, 2, v6
	v_mul_f64_e32 v[24:25], v[2:3], v[10:11]
	v_mul_f64_e32 v[0:1], v[2:3], v[0:1]
	s_delay_alu instid0(VALU_DEP_3) | instskip(SKIP_1) | instid1(VALU_DEP_1)
	v_dual_mul_f64 v[2:3], v[2:3], v[8:9] :: v_dual_ashrrev_i32 v7, 31, v6
	s_wait_kmcnt 0x0
	v_lshl_add_u64 v[6:7], v[6:7], 3, s[0:1]
	s_clause 0x1
	global_load_b128 v[14:17], v[6:7], off
	global_load_b128 v[18:21], v[6:7], off offset:16
	s_wait_loadcnt 0x1
	v_fmac_f64_e32 v[22:23], v[4:5], v[14:15]
	v_fmac_f64_e32 v[24:25], v[4:5], v[16:17]
	s_wait_loadcnt 0x0
	v_fmac_f64_e32 v[0:1], v[4:5], v[18:19]
	v_fmac_f64_e32 v[2:3], v[4:5], v[20:21]
	s_clause 0x1
	global_store_b128 v[6:7], v[22:25], off
	global_store_b128 v[6:7], v[0:3], off offset:16
.LBB37_23:
	s_endpgm
	.section	.rodata,"a",@progbits
	.p2align	6, 0x0
	.amdhsa_kernel _ZN9rocsparseL19gebsrmvn_4xn_kernelILj128ELj1ELj4EdEEvi20rocsparse_direction_NS_24const_host_device_scalarIT2_EEPKiS6_PKS3_S8_S4_PS3_21rocsparse_index_base_b
		.amdhsa_group_segment_fixed_size 0
		.amdhsa_private_segment_fixed_size 0
		.amdhsa_kernarg_size 72
		.amdhsa_user_sgpr_count 2
		.amdhsa_user_sgpr_dispatch_ptr 0
		.amdhsa_user_sgpr_queue_ptr 0
		.amdhsa_user_sgpr_kernarg_segment_ptr 1
		.amdhsa_user_sgpr_dispatch_id 0
		.amdhsa_user_sgpr_kernarg_preload_length 0
		.amdhsa_user_sgpr_kernarg_preload_offset 0
		.amdhsa_user_sgpr_private_segment_size 0
		.amdhsa_wavefront_size32 1
		.amdhsa_uses_dynamic_stack 0
		.amdhsa_enable_private_segment 0
		.amdhsa_system_sgpr_workgroup_id_x 1
		.amdhsa_system_sgpr_workgroup_id_y 0
		.amdhsa_system_sgpr_workgroup_id_z 0
		.amdhsa_system_sgpr_workgroup_info 0
		.amdhsa_system_vgpr_workitem_id 0
		.amdhsa_next_free_vgpr 32
		.amdhsa_next_free_sgpr 14
		.amdhsa_named_barrier_count 0
		.amdhsa_reserve_vcc 1
		.amdhsa_float_round_mode_32 0
		.amdhsa_float_round_mode_16_64 0
		.amdhsa_float_denorm_mode_32 3
		.amdhsa_float_denorm_mode_16_64 3
		.amdhsa_fp16_overflow 0
		.amdhsa_memory_ordered 1
		.amdhsa_forward_progress 1
		.amdhsa_inst_pref_size 10
		.amdhsa_round_robin_scheduling 0
		.amdhsa_exception_fp_ieee_invalid_op 0
		.amdhsa_exception_fp_denorm_src 0
		.amdhsa_exception_fp_ieee_div_zero 0
		.amdhsa_exception_fp_ieee_overflow 0
		.amdhsa_exception_fp_ieee_underflow 0
		.amdhsa_exception_fp_ieee_inexact 0
		.amdhsa_exception_int_div_zero 0
	.end_amdhsa_kernel
	.section	.text._ZN9rocsparseL19gebsrmvn_4xn_kernelILj128ELj1ELj4EdEEvi20rocsparse_direction_NS_24const_host_device_scalarIT2_EEPKiS6_PKS3_S8_S4_PS3_21rocsparse_index_base_b,"axG",@progbits,_ZN9rocsparseL19gebsrmvn_4xn_kernelILj128ELj1ELj4EdEEvi20rocsparse_direction_NS_24const_host_device_scalarIT2_EEPKiS6_PKS3_S8_S4_PS3_21rocsparse_index_base_b,comdat
.Lfunc_end37:
	.size	_ZN9rocsparseL19gebsrmvn_4xn_kernelILj128ELj1ELj4EdEEvi20rocsparse_direction_NS_24const_host_device_scalarIT2_EEPKiS6_PKS3_S8_S4_PS3_21rocsparse_index_base_b, .Lfunc_end37-_ZN9rocsparseL19gebsrmvn_4xn_kernelILj128ELj1ELj4EdEEvi20rocsparse_direction_NS_24const_host_device_scalarIT2_EEPKiS6_PKS3_S8_S4_PS3_21rocsparse_index_base_b
                                        ; -- End function
	.set _ZN9rocsparseL19gebsrmvn_4xn_kernelILj128ELj1ELj4EdEEvi20rocsparse_direction_NS_24const_host_device_scalarIT2_EEPKiS6_PKS3_S8_S4_PS3_21rocsparse_index_base_b.num_vgpr, 32
	.set _ZN9rocsparseL19gebsrmvn_4xn_kernelILj128ELj1ELj4EdEEvi20rocsparse_direction_NS_24const_host_device_scalarIT2_EEPKiS6_PKS3_S8_S4_PS3_21rocsparse_index_base_b.num_agpr, 0
	.set _ZN9rocsparseL19gebsrmvn_4xn_kernelILj128ELj1ELj4EdEEvi20rocsparse_direction_NS_24const_host_device_scalarIT2_EEPKiS6_PKS3_S8_S4_PS3_21rocsparse_index_base_b.numbered_sgpr, 14
	.set _ZN9rocsparseL19gebsrmvn_4xn_kernelILj128ELj1ELj4EdEEvi20rocsparse_direction_NS_24const_host_device_scalarIT2_EEPKiS6_PKS3_S8_S4_PS3_21rocsparse_index_base_b.num_named_barrier, 0
	.set _ZN9rocsparseL19gebsrmvn_4xn_kernelILj128ELj1ELj4EdEEvi20rocsparse_direction_NS_24const_host_device_scalarIT2_EEPKiS6_PKS3_S8_S4_PS3_21rocsparse_index_base_b.private_seg_size, 0
	.set _ZN9rocsparseL19gebsrmvn_4xn_kernelILj128ELj1ELj4EdEEvi20rocsparse_direction_NS_24const_host_device_scalarIT2_EEPKiS6_PKS3_S8_S4_PS3_21rocsparse_index_base_b.uses_vcc, 1
	.set _ZN9rocsparseL19gebsrmvn_4xn_kernelILj128ELj1ELj4EdEEvi20rocsparse_direction_NS_24const_host_device_scalarIT2_EEPKiS6_PKS3_S8_S4_PS3_21rocsparse_index_base_b.uses_flat_scratch, 0
	.set _ZN9rocsparseL19gebsrmvn_4xn_kernelILj128ELj1ELj4EdEEvi20rocsparse_direction_NS_24const_host_device_scalarIT2_EEPKiS6_PKS3_S8_S4_PS3_21rocsparse_index_base_b.has_dyn_sized_stack, 0
	.set _ZN9rocsparseL19gebsrmvn_4xn_kernelILj128ELj1ELj4EdEEvi20rocsparse_direction_NS_24const_host_device_scalarIT2_EEPKiS6_PKS3_S8_S4_PS3_21rocsparse_index_base_b.has_recursion, 0
	.set _ZN9rocsparseL19gebsrmvn_4xn_kernelILj128ELj1ELj4EdEEvi20rocsparse_direction_NS_24const_host_device_scalarIT2_EEPKiS6_PKS3_S8_S4_PS3_21rocsparse_index_base_b.has_indirect_call, 0
	.section	.AMDGPU.csdata,"",@progbits
; Kernel info:
; codeLenInByte = 1168
; TotalNumSgprs: 16
; NumVgprs: 32
; ScratchSize: 0
; MemoryBound: 0
; FloatMode: 240
; IeeeMode: 1
; LDSByteSize: 0 bytes/workgroup (compile time only)
; SGPRBlocks: 0
; VGPRBlocks: 1
; NumSGPRsForWavesPerEU: 16
; NumVGPRsForWavesPerEU: 32
; NamedBarCnt: 0
; Occupancy: 16
; WaveLimiterHint : 1
; COMPUTE_PGM_RSRC2:SCRATCH_EN: 0
; COMPUTE_PGM_RSRC2:USER_SGPR: 2
; COMPUTE_PGM_RSRC2:TRAP_HANDLER: 0
; COMPUTE_PGM_RSRC2:TGID_X_EN: 1
; COMPUTE_PGM_RSRC2:TGID_Y_EN: 0
; COMPUTE_PGM_RSRC2:TGID_Z_EN: 0
; COMPUTE_PGM_RSRC2:TIDIG_COMP_CNT: 0
	.section	.text._ZN9rocsparseL19gebsrmvn_4xn_kernelILj128ELj1ELj8EdEEvi20rocsparse_direction_NS_24const_host_device_scalarIT2_EEPKiS6_PKS3_S8_S4_PS3_21rocsparse_index_base_b,"axG",@progbits,_ZN9rocsparseL19gebsrmvn_4xn_kernelILj128ELj1ELj8EdEEvi20rocsparse_direction_NS_24const_host_device_scalarIT2_EEPKiS6_PKS3_S8_S4_PS3_21rocsparse_index_base_b,comdat
	.globl	_ZN9rocsparseL19gebsrmvn_4xn_kernelILj128ELj1ELj8EdEEvi20rocsparse_direction_NS_24const_host_device_scalarIT2_EEPKiS6_PKS3_S8_S4_PS3_21rocsparse_index_base_b ; -- Begin function _ZN9rocsparseL19gebsrmvn_4xn_kernelILj128ELj1ELj8EdEEvi20rocsparse_direction_NS_24const_host_device_scalarIT2_EEPKiS6_PKS3_S8_S4_PS3_21rocsparse_index_base_b
	.p2align	8
	.type	_ZN9rocsparseL19gebsrmvn_4xn_kernelILj128ELj1ELj8EdEEvi20rocsparse_direction_NS_24const_host_device_scalarIT2_EEPKiS6_PKS3_S8_S4_PS3_21rocsparse_index_base_b,@function
_ZN9rocsparseL19gebsrmvn_4xn_kernelILj128ELj1ELj8EdEEvi20rocsparse_direction_NS_24const_host_device_scalarIT2_EEPKiS6_PKS3_S8_S4_PS3_21rocsparse_index_base_b: ; @_ZN9rocsparseL19gebsrmvn_4xn_kernelILj128ELj1ELj8EdEEvi20rocsparse_direction_NS_24const_host_device_scalarIT2_EEPKiS6_PKS3_S8_S4_PS3_21rocsparse_index_base_b
; %bb.0:
	s_clause 0x2
	s_load_b64 s[12:13], s[0:1], 0x40
	s_load_b64 s[4:5], s[0:1], 0x8
	s_load_b64 s[2:3], s[0:1], 0x30
	s_wait_kmcnt 0x0
	s_bitcmp1_b32 s13, 0
	v_mov_b64_e32 v[2:3], s[4:5]
	s_cselect_b32 s6, -1, 0
	s_delay_alu instid0(SALU_CYCLE_1)
	s_and_b32 vcc_lo, exec_lo, s6
	s_xor_b32 s6, s6, -1
	s_cbranch_vccnz .LBB38_2
; %bb.1:
	v_mov_b32_e32 v1, 0
	flat_load_b64 v[2:3], v1, s[4:5]
.LBB38_2:
	v_mov_b64_e32 v[4:5], s[2:3]
	s_and_not1_b32 vcc_lo, exec_lo, s6
	s_cbranch_vccnz .LBB38_4
; %bb.3:
	s_wait_xcnt 0x0
	v_mov_b32_e32 v1, 0
	flat_load_b64 v[4:5], v1, s[2:3]
.LBB38_4:
	s_wait_loadcnt_dscnt 0x0
	v_cmp_neq_f64_e32 vcc_lo, 0, v[2:3]
	s_delay_alu instid0(VALU_DEP_2) | instskip(SKIP_1) | instid1(SALU_CYCLE_1)
	v_cmp_neq_f64_e64 s2, 1.0, v[4:5]
	s_or_b32 s2, vcc_lo, s2
	s_and_saveexec_b32 s3, s2
	s_cbranch_execz .LBB38_23
; %bb.5:
	s_load_b64 s[2:3], s[0:1], 0x0
	s_bfe_u32 s4, ttmp6, 0x4000c
	s_and_b32 s5, ttmp6, 15
	s_add_co_i32 s4, s4, 1
	s_getreg_b32 s6, hwreg(HW_REG_IB_STS2, 6, 4)
	s_mul_i32 s4, ttmp9, s4
	v_lshrrev_b32_e32 v1, 3, v0
	s_add_co_i32 s5, s5, s4
	s_cmp_eq_u32 s6, 0
	s_cselect_b32 s4, ttmp9, s5
	s_delay_alu instid0(VALU_DEP_1) | instid1(SALU_CYCLE_1)
	v_lshl_or_b32 v6, s4, 4, v1
	s_wait_kmcnt 0x0
	s_delay_alu instid0(VALU_DEP_1)
	v_cmp_gt_i32_e32 vcc_lo, s2, v6
	s_and_b32 exec_lo, exec_lo, vcc_lo
	s_cbranch_execz .LBB38_23
; %bb.6:
	s_load_b256 s[4:11], s[0:1], 0x10
	v_ashrrev_i32_e32 v7, 31, v6
	s_cmp_lg_u32 s3, 0
	s_wait_kmcnt 0x0
	s_delay_alu instid0(VALU_DEP_1)
	v_lshl_add_u64 v[8:9], v[6:7], 2, s[4:5]
	v_and_b32_e32 v7, 7, v0
	global_load_b64 v[8:9], v[8:9], off
	s_wait_loadcnt 0x0
	v_subrev_nc_u32_e32 v0, s12, v8
	v_subrev_nc_u32_e32 v16, s12, v9
	s_delay_alu instid0(VALU_DEP_2) | instskip(NEXT) | instid1(VALU_DEP_1)
	v_add_nc_u32_e32 v17, v0, v7
	v_cmp_lt_i32_e64 s2, v17, v16
	s_cbranch_scc0 .LBB38_12
; %bb.7:
	v_mov_b64_e32 v[0:1], 0
	v_mov_b64_e32 v[8:9], 0
	;; [unrolled: 1-line block ×4, first 2 shown]
	s_and_saveexec_b32 s3, s2
	s_cbranch_execz .LBB38_11
; %bb.8:
	v_mov_b64_e32 v[0:1], 0
	v_mov_b64_e32 v[8:9], 0
	;; [unrolled: 1-line block ×4, first 2 shown]
	v_dual_mov_b32 v15, 0 :: v_dual_lshlrev_b32 v14, 2, v17
	v_mov_b32_e32 v18, v17
	s_mov_b32 s4, 0
.LBB38_9:                               ; =>This Inner Loop Header: Depth=1
	global_load_b32 v19, v18, s[6:7] scale_offset
	v_lshl_add_u64 v[28:29], v[14:15], 3, s[8:9]
	s_wait_xcnt 0x0
	v_add_nc_u32_e32 v18, 8, v18
	v_add_nc_u32_e32 v14, 32, v14
	global_load_b128 v[20:23], v[28:29], off offset:16
	v_cmp_ge_i32_e32 vcc_lo, v18, v16
	s_or_b32 s4, vcc_lo, s4
	s_wait_loadcnt 0x1
	v_subrev_nc_u32_e32 v19, s12, v19
	global_load_b128 v[24:27], v[28:29], off
	global_load_b64 v[30:31], v19, s[10:11] scale_offset
	s_wait_loadcnt 0x0
	v_fmac_f64_e32 v[0:1], v[24:25], v[30:31]
	v_fmac_f64_e32 v[12:13], v[26:27], v[30:31]
	;; [unrolled: 1-line block ×4, first 2 shown]
	s_and_not1_b32 exec_lo, exec_lo, s4
	s_cbranch_execnz .LBB38_9
; %bb.10:
	s_or_b32 exec_lo, exec_lo, s4
.LBB38_11:
	s_delay_alu instid0(SALU_CYCLE_1)
	s_or_b32 exec_lo, exec_lo, s3
	s_cbranch_execz .LBB38_13
	s_branch .LBB38_18
.LBB38_12:
                                        ; implicit-def: $vgpr0_vgpr1
                                        ; implicit-def: $vgpr8_vgpr9
                                        ; implicit-def: $vgpr10_vgpr11
                                        ; implicit-def: $vgpr12_vgpr13
.LBB38_13:
	v_mov_b64_e32 v[0:1], 0
	v_mov_b64_e32 v[8:9], 0
	;; [unrolled: 1-line block ×4, first 2 shown]
	s_and_saveexec_b32 s3, s2
	s_cbranch_execz .LBB38_17
; %bb.14:
	v_mov_b64_e32 v[0:1], 0
	v_mov_b64_e32 v[8:9], 0
	;; [unrolled: 1-line block ×4, first 2 shown]
	v_dual_mov_b32 v15, 0 :: v_dual_lshlrev_b32 v14, 2, v17
	s_mov_b32 s2, 0
.LBB38_15:                              ; =>This Inner Loop Header: Depth=1
	global_load_b32 v22, v17, s[6:7] scale_offset
	v_lshl_add_u64 v[26:27], v[14:15], 3, s[8:9]
	s_wait_xcnt 0x0
	v_dual_add_nc_u32 v17, 8, v17 :: v_dual_add_nc_u32 v14, 32, v14
	global_load_b128 v[18:21], v[26:27], off offset:16
	v_cmp_ge_i32_e32 vcc_lo, v17, v16
	s_or_b32 s2, vcc_lo, s2
	s_wait_loadcnt 0x1
	v_subrev_nc_u32_e32 v30, s12, v22
	global_load_b128 v[22:25], v[26:27], off
	global_load_b64 v[28:29], v30, s[10:11] scale_offset
	s_wait_loadcnt 0x0
	v_fmac_f64_e32 v[0:1], v[22:23], v[28:29]
	v_fmac_f64_e32 v[12:13], v[24:25], v[28:29]
	;; [unrolled: 1-line block ×4, first 2 shown]
	s_and_not1_b32 exec_lo, exec_lo, s2
	s_cbranch_execnz .LBB38_15
; %bb.16:
	s_or_b32 exec_lo, exec_lo, s2
.LBB38_17:
	s_delay_alu instid0(SALU_CYCLE_1)
	s_or_b32 exec_lo, exec_lo, s3
.LBB38_18:
	v_mbcnt_lo_u32_b32 v24, -1, 0
	s_delay_alu instid0(VALU_DEP_1) | instskip(NEXT) | instid1(VALU_DEP_1)
	v_xor_b32_e32 v14, 4, v24
	v_cmp_gt_i32_e32 vcc_lo, 32, v14
	v_cndmask_b32_e32 v14, v24, v14, vcc_lo
	s_delay_alu instid0(VALU_DEP_1)
	v_lshlrev_b32_e32 v21, 2, v14
	ds_bpermute_b32 v14, v21, v0
	ds_bpermute_b32 v15, v21, v1
	ds_bpermute_b32 v16, v21, v12
	ds_bpermute_b32 v17, v21, v13
	s_wait_dscnt 0x2
	v_add_f64_e32 v[0:1], v[0:1], v[14:15]
	s_wait_dscnt 0x0
	v_add_f64_e32 v[14:15], v[12:13], v[16:17]
	ds_bpermute_b32 v18, v21, v10
	ds_bpermute_b32 v19, v21, v11
	;; [unrolled: 1-line block ×4, first 2 shown]
	s_wait_dscnt 0x2
	v_dual_add_f64 v[16:17], v[10:11], v[18:19] :: v_dual_bitop2_b32 v10, 2, v24 bitop3:0x14
	s_delay_alu instid0(VALU_DEP_1) | instskip(SKIP_2) | instid1(VALU_DEP_1)
	v_cmp_gt_i32_e32 vcc_lo, 32, v10
	v_cndmask_b32_e32 v10, v24, v10, vcc_lo
	s_wait_dscnt 0x0
	v_dual_add_f64 v[8:9], v[8:9], v[20:21] :: v_dual_lshlrev_b32 v12, 2, v10
	ds_bpermute_b32 v10, v12, v0
	ds_bpermute_b32 v11, v12, v1
	;; [unrolled: 1-line block ×8, first 2 shown]
	s_wait_dscnt 0x6
	v_add_f64_e32 v[12:13], v[0:1], v[10:11]
	s_wait_dscnt 0x4
	v_dual_add_f64 v[10:11], v[14:15], v[18:19] :: v_dual_bitop2_b32 v14, 1, v24 bitop3:0x14
	s_delay_alu instid0(VALU_DEP_1) | instskip(SKIP_4) | instid1(VALU_DEP_3)
	v_cmp_gt_i32_e32 vcc_lo, 32, v14
	v_cndmask_b32_e32 v14, v24, v14, vcc_lo
	s_wait_dscnt 0x2
	v_add_f64_e32 v[0:1], v[16:17], v[20:21]
	v_cmp_eq_u32_e32 vcc_lo, 7, v7
	v_lshlrev_b32_e32 v15, 2, v14
	s_wait_dscnt 0x0
	v_add_f64_e32 v[8:9], v[8:9], v[22:23]
	ds_bpermute_b32 v20, v15, v12
	ds_bpermute_b32 v21, v15, v13
	;; [unrolled: 1-line block ×8, first 2 shown]
	s_and_b32 exec_lo, exec_lo, vcc_lo
	s_cbranch_execz .LBB38_23
; %bb.19:
	s_wait_dscnt 0x6
	v_add_f64_e32 v[12:13], v[12:13], v[20:21]
	s_wait_dscnt 0x4
	v_add_f64_e32 v[10:11], v[10:11], v[18:19]
	s_wait_dscnt 0x2
	v_add_f64_e32 v[0:1], v[0:1], v[16:17]
	s_wait_dscnt 0x0
	v_add_f64_e32 v[8:9], v[8:9], v[14:15]
	s_load_b64 s[0:1], s[0:1], 0x38
	s_mov_b32 s2, exec_lo
	v_cmpx_eq_f64_e32 0, v[4:5]
	s_xor_b32 s2, exec_lo, s2
	s_cbranch_execz .LBB38_21
; %bb.20:
	v_dual_mul_f64 v[12:13], v[2:3], v[12:13] :: v_dual_lshlrev_b32 v4, 2, v6
	v_mul_f64_e32 v[14:15], v[2:3], v[10:11]
	v_mul_f64_e32 v[0:1], v[2:3], v[0:1]
	v_mul_f64_e32 v[2:3], v[2:3], v[8:9]
                                        ; implicit-def: $vgpr6
                                        ; implicit-def: $vgpr10_vgpr11
                                        ; implicit-def: $vgpr8_vgpr9
	s_delay_alu instid0(VALU_DEP_4) | instskip(SKIP_1) | instid1(VALU_DEP_1)
	v_ashrrev_i32_e32 v5, 31, v4
	s_wait_kmcnt 0x0
	v_lshl_add_u64 v[4:5], v[4:5], 3, s[0:1]
	s_clause 0x1
	global_store_b128 v[4:5], v[12:15], off
	global_store_b128 v[4:5], v[0:3], off offset:16
                                        ; implicit-def: $vgpr2_vgpr3
                                        ; implicit-def: $vgpr12_vgpr13
                                        ; implicit-def: $vgpr4_vgpr5
                                        ; implicit-def: $vgpr0_vgpr1
.LBB38_21:
	s_wait_xcnt 0x0
	s_and_not1_saveexec_b32 s2, s2
	s_cbranch_execz .LBB38_23
; %bb.22:
	v_dual_mul_f64 v[22:23], v[2:3], v[12:13] :: v_dual_lshlrev_b32 v6, 2, v6
	v_mul_f64_e32 v[24:25], v[2:3], v[10:11]
	v_mul_f64_e32 v[0:1], v[2:3], v[0:1]
	s_delay_alu instid0(VALU_DEP_3) | instskip(SKIP_1) | instid1(VALU_DEP_1)
	v_dual_mul_f64 v[2:3], v[2:3], v[8:9] :: v_dual_ashrrev_i32 v7, 31, v6
	s_wait_kmcnt 0x0
	v_lshl_add_u64 v[6:7], v[6:7], 3, s[0:1]
	s_clause 0x1
	global_load_b128 v[14:17], v[6:7], off
	global_load_b128 v[18:21], v[6:7], off offset:16
	s_wait_loadcnt 0x1
	v_fmac_f64_e32 v[22:23], v[4:5], v[14:15]
	v_fmac_f64_e32 v[24:25], v[4:5], v[16:17]
	s_wait_loadcnt 0x0
	v_fmac_f64_e32 v[0:1], v[4:5], v[18:19]
	v_fmac_f64_e32 v[2:3], v[4:5], v[20:21]
	s_clause 0x1
	global_store_b128 v[6:7], v[22:25], off
	global_store_b128 v[6:7], v[0:3], off offset:16
.LBB38_23:
	s_endpgm
	.section	.rodata,"a",@progbits
	.p2align	6, 0x0
	.amdhsa_kernel _ZN9rocsparseL19gebsrmvn_4xn_kernelILj128ELj1ELj8EdEEvi20rocsparse_direction_NS_24const_host_device_scalarIT2_EEPKiS6_PKS3_S8_S4_PS3_21rocsparse_index_base_b
		.amdhsa_group_segment_fixed_size 0
		.amdhsa_private_segment_fixed_size 0
		.amdhsa_kernarg_size 72
		.amdhsa_user_sgpr_count 2
		.amdhsa_user_sgpr_dispatch_ptr 0
		.amdhsa_user_sgpr_queue_ptr 0
		.amdhsa_user_sgpr_kernarg_segment_ptr 1
		.amdhsa_user_sgpr_dispatch_id 0
		.amdhsa_user_sgpr_kernarg_preload_length 0
		.amdhsa_user_sgpr_kernarg_preload_offset 0
		.amdhsa_user_sgpr_private_segment_size 0
		.amdhsa_wavefront_size32 1
		.amdhsa_uses_dynamic_stack 0
		.amdhsa_enable_private_segment 0
		.amdhsa_system_sgpr_workgroup_id_x 1
		.amdhsa_system_sgpr_workgroup_id_y 0
		.amdhsa_system_sgpr_workgroup_id_z 0
		.amdhsa_system_sgpr_workgroup_info 0
		.amdhsa_system_vgpr_workitem_id 0
		.amdhsa_next_free_vgpr 32
		.amdhsa_next_free_sgpr 14
		.amdhsa_named_barrier_count 0
		.amdhsa_reserve_vcc 1
		.amdhsa_float_round_mode_32 0
		.amdhsa_float_round_mode_16_64 0
		.amdhsa_float_denorm_mode_32 3
		.amdhsa_float_denorm_mode_16_64 3
		.amdhsa_fp16_overflow 0
		.amdhsa_memory_ordered 1
		.amdhsa_forward_progress 1
		.amdhsa_inst_pref_size 11
		.amdhsa_round_robin_scheduling 0
		.amdhsa_exception_fp_ieee_invalid_op 0
		.amdhsa_exception_fp_denorm_src 0
		.amdhsa_exception_fp_ieee_div_zero 0
		.amdhsa_exception_fp_ieee_overflow 0
		.amdhsa_exception_fp_ieee_underflow 0
		.amdhsa_exception_fp_ieee_inexact 0
		.amdhsa_exception_int_div_zero 0
	.end_amdhsa_kernel
	.section	.text._ZN9rocsparseL19gebsrmvn_4xn_kernelILj128ELj1ELj8EdEEvi20rocsparse_direction_NS_24const_host_device_scalarIT2_EEPKiS6_PKS3_S8_S4_PS3_21rocsparse_index_base_b,"axG",@progbits,_ZN9rocsparseL19gebsrmvn_4xn_kernelILj128ELj1ELj8EdEEvi20rocsparse_direction_NS_24const_host_device_scalarIT2_EEPKiS6_PKS3_S8_S4_PS3_21rocsparse_index_base_b,comdat
.Lfunc_end38:
	.size	_ZN9rocsparseL19gebsrmvn_4xn_kernelILj128ELj1ELj8EdEEvi20rocsparse_direction_NS_24const_host_device_scalarIT2_EEPKiS6_PKS3_S8_S4_PS3_21rocsparse_index_base_b, .Lfunc_end38-_ZN9rocsparseL19gebsrmvn_4xn_kernelILj128ELj1ELj8EdEEvi20rocsparse_direction_NS_24const_host_device_scalarIT2_EEPKiS6_PKS3_S8_S4_PS3_21rocsparse_index_base_b
                                        ; -- End function
	.set _ZN9rocsparseL19gebsrmvn_4xn_kernelILj128ELj1ELj8EdEEvi20rocsparse_direction_NS_24const_host_device_scalarIT2_EEPKiS6_PKS3_S8_S4_PS3_21rocsparse_index_base_b.num_vgpr, 32
	.set _ZN9rocsparseL19gebsrmvn_4xn_kernelILj128ELj1ELj8EdEEvi20rocsparse_direction_NS_24const_host_device_scalarIT2_EEPKiS6_PKS3_S8_S4_PS3_21rocsparse_index_base_b.num_agpr, 0
	.set _ZN9rocsparseL19gebsrmvn_4xn_kernelILj128ELj1ELj8EdEEvi20rocsparse_direction_NS_24const_host_device_scalarIT2_EEPKiS6_PKS3_S8_S4_PS3_21rocsparse_index_base_b.numbered_sgpr, 14
	.set _ZN9rocsparseL19gebsrmvn_4xn_kernelILj128ELj1ELj8EdEEvi20rocsparse_direction_NS_24const_host_device_scalarIT2_EEPKiS6_PKS3_S8_S4_PS3_21rocsparse_index_base_b.num_named_barrier, 0
	.set _ZN9rocsparseL19gebsrmvn_4xn_kernelILj128ELj1ELj8EdEEvi20rocsparse_direction_NS_24const_host_device_scalarIT2_EEPKiS6_PKS3_S8_S4_PS3_21rocsparse_index_base_b.private_seg_size, 0
	.set _ZN9rocsparseL19gebsrmvn_4xn_kernelILj128ELj1ELj8EdEEvi20rocsparse_direction_NS_24const_host_device_scalarIT2_EEPKiS6_PKS3_S8_S4_PS3_21rocsparse_index_base_b.uses_vcc, 1
	.set _ZN9rocsparseL19gebsrmvn_4xn_kernelILj128ELj1ELj8EdEEvi20rocsparse_direction_NS_24const_host_device_scalarIT2_EEPKiS6_PKS3_S8_S4_PS3_21rocsparse_index_base_b.uses_flat_scratch, 0
	.set _ZN9rocsparseL19gebsrmvn_4xn_kernelILj128ELj1ELj8EdEEvi20rocsparse_direction_NS_24const_host_device_scalarIT2_EEPKiS6_PKS3_S8_S4_PS3_21rocsparse_index_base_b.has_dyn_sized_stack, 0
	.set _ZN9rocsparseL19gebsrmvn_4xn_kernelILj128ELj1ELj8EdEEvi20rocsparse_direction_NS_24const_host_device_scalarIT2_EEPKiS6_PKS3_S8_S4_PS3_21rocsparse_index_base_b.has_recursion, 0
	.set _ZN9rocsparseL19gebsrmvn_4xn_kernelILj128ELj1ELj8EdEEvi20rocsparse_direction_NS_24const_host_device_scalarIT2_EEPKiS6_PKS3_S8_S4_PS3_21rocsparse_index_base_b.has_indirect_call, 0
	.section	.AMDGPU.csdata,"",@progbits
; Kernel info:
; codeLenInByte = 1292
; TotalNumSgprs: 16
; NumVgprs: 32
; ScratchSize: 0
; MemoryBound: 0
; FloatMode: 240
; IeeeMode: 1
; LDSByteSize: 0 bytes/workgroup (compile time only)
; SGPRBlocks: 0
; VGPRBlocks: 1
; NumSGPRsForWavesPerEU: 16
; NumVGPRsForWavesPerEU: 32
; NamedBarCnt: 0
; Occupancy: 16
; WaveLimiterHint : 1
; COMPUTE_PGM_RSRC2:SCRATCH_EN: 0
; COMPUTE_PGM_RSRC2:USER_SGPR: 2
; COMPUTE_PGM_RSRC2:TRAP_HANDLER: 0
; COMPUTE_PGM_RSRC2:TGID_X_EN: 1
; COMPUTE_PGM_RSRC2:TGID_Y_EN: 0
; COMPUTE_PGM_RSRC2:TGID_Z_EN: 0
; COMPUTE_PGM_RSRC2:TIDIG_COMP_CNT: 0
	.section	.text._ZN9rocsparseL19gebsrmvn_4xn_kernelILj128ELj1ELj16EdEEvi20rocsparse_direction_NS_24const_host_device_scalarIT2_EEPKiS6_PKS3_S8_S4_PS3_21rocsparse_index_base_b,"axG",@progbits,_ZN9rocsparseL19gebsrmvn_4xn_kernelILj128ELj1ELj16EdEEvi20rocsparse_direction_NS_24const_host_device_scalarIT2_EEPKiS6_PKS3_S8_S4_PS3_21rocsparse_index_base_b,comdat
	.globl	_ZN9rocsparseL19gebsrmvn_4xn_kernelILj128ELj1ELj16EdEEvi20rocsparse_direction_NS_24const_host_device_scalarIT2_EEPKiS6_PKS3_S8_S4_PS3_21rocsparse_index_base_b ; -- Begin function _ZN9rocsparseL19gebsrmvn_4xn_kernelILj128ELj1ELj16EdEEvi20rocsparse_direction_NS_24const_host_device_scalarIT2_EEPKiS6_PKS3_S8_S4_PS3_21rocsparse_index_base_b
	.p2align	8
	.type	_ZN9rocsparseL19gebsrmvn_4xn_kernelILj128ELj1ELj16EdEEvi20rocsparse_direction_NS_24const_host_device_scalarIT2_EEPKiS6_PKS3_S8_S4_PS3_21rocsparse_index_base_b,@function
_ZN9rocsparseL19gebsrmvn_4xn_kernelILj128ELj1ELj16EdEEvi20rocsparse_direction_NS_24const_host_device_scalarIT2_EEPKiS6_PKS3_S8_S4_PS3_21rocsparse_index_base_b: ; @_ZN9rocsparseL19gebsrmvn_4xn_kernelILj128ELj1ELj16EdEEvi20rocsparse_direction_NS_24const_host_device_scalarIT2_EEPKiS6_PKS3_S8_S4_PS3_21rocsparse_index_base_b
; %bb.0:
	s_clause 0x2
	s_load_b64 s[12:13], s[0:1], 0x40
	s_load_b64 s[4:5], s[0:1], 0x8
	;; [unrolled: 1-line block ×3, first 2 shown]
	s_wait_kmcnt 0x0
	s_bitcmp1_b32 s13, 0
	v_mov_b64_e32 v[2:3], s[4:5]
	s_cselect_b32 s6, -1, 0
	s_delay_alu instid0(SALU_CYCLE_1)
	s_and_b32 vcc_lo, exec_lo, s6
	s_xor_b32 s6, s6, -1
	s_cbranch_vccnz .LBB39_2
; %bb.1:
	v_mov_b32_e32 v1, 0
	flat_load_b64 v[2:3], v1, s[4:5]
.LBB39_2:
	v_mov_b64_e32 v[4:5], s[2:3]
	s_and_not1_b32 vcc_lo, exec_lo, s6
	s_cbranch_vccnz .LBB39_4
; %bb.3:
	s_wait_xcnt 0x0
	v_mov_b32_e32 v1, 0
	flat_load_b64 v[4:5], v1, s[2:3]
.LBB39_4:
	s_wait_loadcnt_dscnt 0x0
	v_cmp_neq_f64_e32 vcc_lo, 0, v[2:3]
	s_delay_alu instid0(VALU_DEP_2) | instskip(SKIP_1) | instid1(SALU_CYCLE_1)
	v_cmp_neq_f64_e64 s2, 1.0, v[4:5]
	s_or_b32 s2, vcc_lo, s2
	s_and_saveexec_b32 s3, s2
	s_cbranch_execz .LBB39_23
; %bb.5:
	s_load_b64 s[2:3], s[0:1], 0x0
	s_bfe_u32 s4, ttmp6, 0x4000c
	s_and_b32 s5, ttmp6, 15
	s_add_co_i32 s4, s4, 1
	s_getreg_b32 s6, hwreg(HW_REG_IB_STS2, 6, 4)
	s_mul_i32 s4, ttmp9, s4
	v_lshrrev_b32_e32 v1, 4, v0
	s_add_co_i32 s5, s5, s4
	s_cmp_eq_u32 s6, 0
	s_cselect_b32 s4, ttmp9, s5
	s_delay_alu instid0(VALU_DEP_1) | instid1(SALU_CYCLE_1)
	v_lshl_or_b32 v6, s4, 3, v1
	s_wait_kmcnt 0x0
	s_delay_alu instid0(VALU_DEP_1)
	v_cmp_gt_i32_e32 vcc_lo, s2, v6
	s_and_b32 exec_lo, exec_lo, vcc_lo
	s_cbranch_execz .LBB39_23
; %bb.6:
	s_load_b256 s[4:11], s[0:1], 0x10
	v_ashrrev_i32_e32 v7, 31, v6
	s_cmp_lg_u32 s3, 0
	s_wait_kmcnt 0x0
	s_delay_alu instid0(VALU_DEP_1)
	v_lshl_add_u64 v[8:9], v[6:7], 2, s[4:5]
	v_and_b32_e32 v7, 15, v0
	global_load_b64 v[8:9], v[8:9], off
	s_wait_loadcnt 0x0
	v_subrev_nc_u32_e32 v0, s12, v8
	v_subrev_nc_u32_e32 v16, s12, v9
	s_delay_alu instid0(VALU_DEP_2) | instskip(NEXT) | instid1(VALU_DEP_1)
	v_add_nc_u32_e32 v17, v0, v7
	v_cmp_lt_i32_e64 s2, v17, v16
	s_cbranch_scc0 .LBB39_12
; %bb.7:
	v_mov_b64_e32 v[0:1], 0
	v_mov_b64_e32 v[8:9], 0
	;; [unrolled: 1-line block ×4, first 2 shown]
	s_and_saveexec_b32 s3, s2
	s_cbranch_execz .LBB39_11
; %bb.8:
	v_mov_b64_e32 v[0:1], 0
	v_mov_b64_e32 v[8:9], 0
	v_mov_b64_e32 v[10:11], 0
	v_mov_b64_e32 v[12:13], 0
	v_dual_mov_b32 v15, 0 :: v_dual_lshlrev_b32 v14, 2, v17
	v_mov_b32_e32 v18, v17
	s_mov_b32 s4, 0
.LBB39_9:                               ; =>This Inner Loop Header: Depth=1
	global_load_b32 v19, v18, s[6:7] scale_offset
	v_lshl_add_u64 v[28:29], v[14:15], 3, s[8:9]
	s_wait_xcnt 0x0
	v_add_nc_u32_e32 v18, 16, v18
	v_add_nc_u32_e32 v14, 64, v14
	global_load_b128 v[20:23], v[28:29], off offset:16
	v_cmp_ge_i32_e32 vcc_lo, v18, v16
	s_or_b32 s4, vcc_lo, s4
	s_wait_loadcnt 0x1
	v_subrev_nc_u32_e32 v19, s12, v19
	global_load_b128 v[24:27], v[28:29], off
	global_load_b64 v[30:31], v19, s[10:11] scale_offset
	s_wait_loadcnt 0x0
	v_fmac_f64_e32 v[0:1], v[24:25], v[30:31]
	v_fmac_f64_e32 v[12:13], v[26:27], v[30:31]
	;; [unrolled: 1-line block ×4, first 2 shown]
	s_and_not1_b32 exec_lo, exec_lo, s4
	s_cbranch_execnz .LBB39_9
; %bb.10:
	s_or_b32 exec_lo, exec_lo, s4
.LBB39_11:
	s_delay_alu instid0(SALU_CYCLE_1)
	s_or_b32 exec_lo, exec_lo, s3
	s_cbranch_execz .LBB39_13
	s_branch .LBB39_18
.LBB39_12:
                                        ; implicit-def: $vgpr0_vgpr1
                                        ; implicit-def: $vgpr8_vgpr9
                                        ; implicit-def: $vgpr10_vgpr11
                                        ; implicit-def: $vgpr12_vgpr13
.LBB39_13:
	v_mov_b64_e32 v[0:1], 0
	v_mov_b64_e32 v[8:9], 0
	;; [unrolled: 1-line block ×4, first 2 shown]
	s_and_saveexec_b32 s3, s2
	s_cbranch_execz .LBB39_17
; %bb.14:
	v_mov_b64_e32 v[0:1], 0
	v_mov_b64_e32 v[8:9], 0
	;; [unrolled: 1-line block ×4, first 2 shown]
	v_dual_mov_b32 v15, 0 :: v_dual_lshlrev_b32 v14, 2, v17
	s_mov_b32 s2, 0
.LBB39_15:                              ; =>This Inner Loop Header: Depth=1
	global_load_b32 v22, v17, s[6:7] scale_offset
	v_lshl_add_u64 v[26:27], v[14:15], 3, s[8:9]
	s_wait_xcnt 0x0
	v_dual_add_nc_u32 v17, 16, v17 :: v_dual_add_nc_u32 v14, 64, v14
	global_load_b128 v[18:21], v[26:27], off offset:16
	v_cmp_ge_i32_e32 vcc_lo, v17, v16
	s_or_b32 s2, vcc_lo, s2
	s_wait_loadcnt 0x1
	v_subrev_nc_u32_e32 v30, s12, v22
	global_load_b128 v[22:25], v[26:27], off
	global_load_b64 v[28:29], v30, s[10:11] scale_offset
	s_wait_loadcnt 0x0
	v_fmac_f64_e32 v[0:1], v[22:23], v[28:29]
	v_fmac_f64_e32 v[12:13], v[24:25], v[28:29]
	;; [unrolled: 1-line block ×4, first 2 shown]
	s_and_not1_b32 exec_lo, exec_lo, s2
	s_cbranch_execnz .LBB39_15
; %bb.16:
	s_or_b32 exec_lo, exec_lo, s2
.LBB39_17:
	s_delay_alu instid0(SALU_CYCLE_1)
	s_or_b32 exec_lo, exec_lo, s3
.LBB39_18:
	v_mbcnt_lo_u32_b32 v24, -1, 0
	s_delay_alu instid0(VALU_DEP_1) | instskip(NEXT) | instid1(VALU_DEP_1)
	v_xor_b32_e32 v14, 8, v24
	v_cmp_gt_i32_e32 vcc_lo, 32, v14
	v_cndmask_b32_e32 v14, v24, v14, vcc_lo
	s_delay_alu instid0(VALU_DEP_1)
	v_lshlrev_b32_e32 v21, 2, v14
	ds_bpermute_b32 v16, v21, v12
	ds_bpermute_b32 v17, v21, v13
	s_wait_dscnt 0x0
	v_add_f64_e32 v[12:13], v[12:13], v[16:17]
	ds_bpermute_b32 v14, v21, v0
	ds_bpermute_b32 v15, v21, v1
	;; [unrolled: 1-line block ×6, first 2 shown]
	s_wait_dscnt 0x4
	v_dual_add_f64 v[0:1], v[0:1], v[14:15] :: v_dual_bitop2_b32 v14, 4, v24 bitop3:0x14
	s_wait_dscnt 0x2
	v_add_f64_e32 v[10:11], v[10:11], v[18:19]
	s_delay_alu instid0(VALU_DEP_2) | instskip(SKIP_2) | instid1(VALU_DEP_1)
	v_cmp_gt_i32_e32 vcc_lo, 32, v14
	v_cndmask_b32_e32 v14, v24, v14, vcc_lo
	s_wait_dscnt 0x0
	v_dual_add_f64 v[8:9], v[8:9], v[20:21] :: v_dual_lshlrev_b32 v21, 2, v14
	ds_bpermute_b32 v16, v21, v12
	ds_bpermute_b32 v17, v21, v13
	;; [unrolled: 1-line block ×8, first 2 shown]
	s_wait_dscnt 0x4
	v_add_f64_e32 v[0:1], v[0:1], v[14:15]
	v_add_f64_e32 v[14:15], v[12:13], v[16:17]
	s_wait_dscnt 0x2
	v_dual_add_f64 v[16:17], v[10:11], v[18:19] :: v_dual_bitop2_b32 v10, 2, v24 bitop3:0x14
	s_delay_alu instid0(VALU_DEP_1) | instskip(SKIP_3) | instid1(VALU_DEP_1)
	v_cmp_gt_i32_e32 vcc_lo, 32, v10
	s_wait_dscnt 0x0
	v_add_f64_e32 v[8:9], v[8:9], v[20:21]
	v_cndmask_b32_e32 v10, v24, v10, vcc_lo
	v_lshlrev_b32_e32 v12, 2, v10
	ds_bpermute_b32 v10, v12, v0
	ds_bpermute_b32 v11, v12, v1
	;; [unrolled: 1-line block ×8, first 2 shown]
	s_wait_dscnt 0x6
	v_add_f64_e32 v[12:13], v[0:1], v[10:11]
	s_wait_dscnt 0x4
	v_dual_add_f64 v[10:11], v[14:15], v[18:19] :: v_dual_bitop2_b32 v14, 1, v24 bitop3:0x14
	s_wait_dscnt 0x2
	v_add_f64_e32 v[0:1], v[16:17], v[20:21]
	s_delay_alu instid0(VALU_DEP_2) | instskip(SKIP_2) | instid1(VALU_DEP_2)
	v_cmp_gt_i32_e32 vcc_lo, 32, v14
	v_cndmask_b32_e32 v14, v24, v14, vcc_lo
	v_cmp_eq_u32_e32 vcc_lo, 15, v7
	v_lshlrev_b32_e32 v15, 2, v14
	s_wait_dscnt 0x0
	v_add_f64_e32 v[8:9], v[8:9], v[22:23]
	ds_bpermute_b32 v20, v15, v12
	ds_bpermute_b32 v21, v15, v13
	;; [unrolled: 1-line block ×8, first 2 shown]
	s_and_b32 exec_lo, exec_lo, vcc_lo
	s_cbranch_execz .LBB39_23
; %bb.19:
	s_wait_dscnt 0x6
	v_add_f64_e32 v[12:13], v[12:13], v[20:21]
	s_wait_dscnt 0x4
	v_add_f64_e32 v[10:11], v[10:11], v[18:19]
	;; [unrolled: 2-line block ×4, first 2 shown]
	s_load_b64 s[0:1], s[0:1], 0x38
	s_mov_b32 s2, exec_lo
	v_cmpx_eq_f64_e32 0, v[4:5]
	s_xor_b32 s2, exec_lo, s2
	s_cbranch_execz .LBB39_21
; %bb.20:
	v_dual_mul_f64 v[12:13], v[2:3], v[12:13] :: v_dual_lshlrev_b32 v4, 2, v6
	v_mul_f64_e32 v[14:15], v[2:3], v[10:11]
	v_mul_f64_e32 v[0:1], v[2:3], v[0:1]
	;; [unrolled: 1-line block ×3, first 2 shown]
                                        ; implicit-def: $vgpr6
                                        ; implicit-def: $vgpr10_vgpr11
                                        ; implicit-def: $vgpr8_vgpr9
	s_delay_alu instid0(VALU_DEP_4) | instskip(SKIP_1) | instid1(VALU_DEP_1)
	v_ashrrev_i32_e32 v5, 31, v4
	s_wait_kmcnt 0x0
	v_lshl_add_u64 v[4:5], v[4:5], 3, s[0:1]
	s_clause 0x1
	global_store_b128 v[4:5], v[12:15], off
	global_store_b128 v[4:5], v[0:3], off offset:16
                                        ; implicit-def: $vgpr2_vgpr3
                                        ; implicit-def: $vgpr12_vgpr13
                                        ; implicit-def: $vgpr4_vgpr5
                                        ; implicit-def: $vgpr0_vgpr1
.LBB39_21:
	s_wait_xcnt 0x0
	s_and_not1_saveexec_b32 s2, s2
	s_cbranch_execz .LBB39_23
; %bb.22:
	v_dual_mul_f64 v[22:23], v[2:3], v[12:13] :: v_dual_lshlrev_b32 v6, 2, v6
	v_mul_f64_e32 v[24:25], v[2:3], v[10:11]
	v_mul_f64_e32 v[0:1], v[2:3], v[0:1]
	s_delay_alu instid0(VALU_DEP_3) | instskip(SKIP_1) | instid1(VALU_DEP_1)
	v_dual_mul_f64 v[2:3], v[2:3], v[8:9] :: v_dual_ashrrev_i32 v7, 31, v6
	s_wait_kmcnt 0x0
	v_lshl_add_u64 v[6:7], v[6:7], 3, s[0:1]
	s_clause 0x1
	global_load_b128 v[14:17], v[6:7], off
	global_load_b128 v[18:21], v[6:7], off offset:16
	s_wait_loadcnt 0x1
	v_fmac_f64_e32 v[22:23], v[4:5], v[14:15]
	v_fmac_f64_e32 v[24:25], v[4:5], v[16:17]
	s_wait_loadcnt 0x0
	v_fmac_f64_e32 v[0:1], v[4:5], v[18:19]
	v_fmac_f64_e32 v[2:3], v[4:5], v[20:21]
	s_clause 0x1
	global_store_b128 v[6:7], v[22:25], off
	global_store_b128 v[6:7], v[0:3], off offset:16
.LBB39_23:
	s_endpgm
	.section	.rodata,"a",@progbits
	.p2align	6, 0x0
	.amdhsa_kernel _ZN9rocsparseL19gebsrmvn_4xn_kernelILj128ELj1ELj16EdEEvi20rocsparse_direction_NS_24const_host_device_scalarIT2_EEPKiS6_PKS3_S8_S4_PS3_21rocsparse_index_base_b
		.amdhsa_group_segment_fixed_size 0
		.amdhsa_private_segment_fixed_size 0
		.amdhsa_kernarg_size 72
		.amdhsa_user_sgpr_count 2
		.amdhsa_user_sgpr_dispatch_ptr 0
		.amdhsa_user_sgpr_queue_ptr 0
		.amdhsa_user_sgpr_kernarg_segment_ptr 1
		.amdhsa_user_sgpr_dispatch_id 0
		.amdhsa_user_sgpr_kernarg_preload_length 0
		.amdhsa_user_sgpr_kernarg_preload_offset 0
		.amdhsa_user_sgpr_private_segment_size 0
		.amdhsa_wavefront_size32 1
		.amdhsa_uses_dynamic_stack 0
		.amdhsa_enable_private_segment 0
		.amdhsa_system_sgpr_workgroup_id_x 1
		.amdhsa_system_sgpr_workgroup_id_y 0
		.amdhsa_system_sgpr_workgroup_id_z 0
		.amdhsa_system_sgpr_workgroup_info 0
		.amdhsa_system_vgpr_workitem_id 0
		.amdhsa_next_free_vgpr 32
		.amdhsa_next_free_sgpr 14
		.amdhsa_named_barrier_count 0
		.amdhsa_reserve_vcc 1
		.amdhsa_float_round_mode_32 0
		.amdhsa_float_round_mode_16_64 0
		.amdhsa_float_denorm_mode_32 3
		.amdhsa_float_denorm_mode_16_64 3
		.amdhsa_fp16_overflow 0
		.amdhsa_memory_ordered 1
		.amdhsa_forward_progress 1
		.amdhsa_inst_pref_size 11
		.amdhsa_round_robin_scheduling 0
		.amdhsa_exception_fp_ieee_invalid_op 0
		.amdhsa_exception_fp_denorm_src 0
		.amdhsa_exception_fp_ieee_div_zero 0
		.amdhsa_exception_fp_ieee_overflow 0
		.amdhsa_exception_fp_ieee_underflow 0
		.amdhsa_exception_fp_ieee_inexact 0
		.amdhsa_exception_int_div_zero 0
	.end_amdhsa_kernel
	.section	.text._ZN9rocsparseL19gebsrmvn_4xn_kernelILj128ELj1ELj16EdEEvi20rocsparse_direction_NS_24const_host_device_scalarIT2_EEPKiS6_PKS3_S8_S4_PS3_21rocsparse_index_base_b,"axG",@progbits,_ZN9rocsparseL19gebsrmvn_4xn_kernelILj128ELj1ELj16EdEEvi20rocsparse_direction_NS_24const_host_device_scalarIT2_EEPKiS6_PKS3_S8_S4_PS3_21rocsparse_index_base_b,comdat
.Lfunc_end39:
	.size	_ZN9rocsparseL19gebsrmvn_4xn_kernelILj128ELj1ELj16EdEEvi20rocsparse_direction_NS_24const_host_device_scalarIT2_EEPKiS6_PKS3_S8_S4_PS3_21rocsparse_index_base_b, .Lfunc_end39-_ZN9rocsparseL19gebsrmvn_4xn_kernelILj128ELj1ELj16EdEEvi20rocsparse_direction_NS_24const_host_device_scalarIT2_EEPKiS6_PKS3_S8_S4_PS3_21rocsparse_index_base_b
                                        ; -- End function
	.set _ZN9rocsparseL19gebsrmvn_4xn_kernelILj128ELj1ELj16EdEEvi20rocsparse_direction_NS_24const_host_device_scalarIT2_EEPKiS6_PKS3_S8_S4_PS3_21rocsparse_index_base_b.num_vgpr, 32
	.set _ZN9rocsparseL19gebsrmvn_4xn_kernelILj128ELj1ELj16EdEEvi20rocsparse_direction_NS_24const_host_device_scalarIT2_EEPKiS6_PKS3_S8_S4_PS3_21rocsparse_index_base_b.num_agpr, 0
	.set _ZN9rocsparseL19gebsrmvn_4xn_kernelILj128ELj1ELj16EdEEvi20rocsparse_direction_NS_24const_host_device_scalarIT2_EEPKiS6_PKS3_S8_S4_PS3_21rocsparse_index_base_b.numbered_sgpr, 14
	.set _ZN9rocsparseL19gebsrmvn_4xn_kernelILj128ELj1ELj16EdEEvi20rocsparse_direction_NS_24const_host_device_scalarIT2_EEPKiS6_PKS3_S8_S4_PS3_21rocsparse_index_base_b.num_named_barrier, 0
	.set _ZN9rocsparseL19gebsrmvn_4xn_kernelILj128ELj1ELj16EdEEvi20rocsparse_direction_NS_24const_host_device_scalarIT2_EEPKiS6_PKS3_S8_S4_PS3_21rocsparse_index_base_b.private_seg_size, 0
	.set _ZN9rocsparseL19gebsrmvn_4xn_kernelILj128ELj1ELj16EdEEvi20rocsparse_direction_NS_24const_host_device_scalarIT2_EEPKiS6_PKS3_S8_S4_PS3_21rocsparse_index_base_b.uses_vcc, 1
	.set _ZN9rocsparseL19gebsrmvn_4xn_kernelILj128ELj1ELj16EdEEvi20rocsparse_direction_NS_24const_host_device_scalarIT2_EEPKiS6_PKS3_S8_S4_PS3_21rocsparse_index_base_b.uses_flat_scratch, 0
	.set _ZN9rocsparseL19gebsrmvn_4xn_kernelILj128ELj1ELj16EdEEvi20rocsparse_direction_NS_24const_host_device_scalarIT2_EEPKiS6_PKS3_S8_S4_PS3_21rocsparse_index_base_b.has_dyn_sized_stack, 0
	.set _ZN9rocsparseL19gebsrmvn_4xn_kernelILj128ELj1ELj16EdEEvi20rocsparse_direction_NS_24const_host_device_scalarIT2_EEPKiS6_PKS3_S8_S4_PS3_21rocsparse_index_base_b.has_recursion, 0
	.set _ZN9rocsparseL19gebsrmvn_4xn_kernelILj128ELj1ELj16EdEEvi20rocsparse_direction_NS_24const_host_device_scalarIT2_EEPKiS6_PKS3_S8_S4_PS3_21rocsparse_index_base_b.has_indirect_call, 0
	.section	.AMDGPU.csdata,"",@progbits
; Kernel info:
; codeLenInByte = 1408
; TotalNumSgprs: 16
; NumVgprs: 32
; ScratchSize: 0
; MemoryBound: 0
; FloatMode: 240
; IeeeMode: 1
; LDSByteSize: 0 bytes/workgroup (compile time only)
; SGPRBlocks: 0
; VGPRBlocks: 1
; NumSGPRsForWavesPerEU: 16
; NumVGPRsForWavesPerEU: 32
; NamedBarCnt: 0
; Occupancy: 16
; WaveLimiterHint : 1
; COMPUTE_PGM_RSRC2:SCRATCH_EN: 0
; COMPUTE_PGM_RSRC2:USER_SGPR: 2
; COMPUTE_PGM_RSRC2:TRAP_HANDLER: 0
; COMPUTE_PGM_RSRC2:TGID_X_EN: 1
; COMPUTE_PGM_RSRC2:TGID_Y_EN: 0
; COMPUTE_PGM_RSRC2:TGID_Z_EN: 0
; COMPUTE_PGM_RSRC2:TIDIG_COMP_CNT: 0
	.section	.text._ZN9rocsparseL19gebsrmvn_4xn_kernelILj128ELj1ELj32EdEEvi20rocsparse_direction_NS_24const_host_device_scalarIT2_EEPKiS6_PKS3_S8_S4_PS3_21rocsparse_index_base_b,"axG",@progbits,_ZN9rocsparseL19gebsrmvn_4xn_kernelILj128ELj1ELj32EdEEvi20rocsparse_direction_NS_24const_host_device_scalarIT2_EEPKiS6_PKS3_S8_S4_PS3_21rocsparse_index_base_b,comdat
	.globl	_ZN9rocsparseL19gebsrmvn_4xn_kernelILj128ELj1ELj32EdEEvi20rocsparse_direction_NS_24const_host_device_scalarIT2_EEPKiS6_PKS3_S8_S4_PS3_21rocsparse_index_base_b ; -- Begin function _ZN9rocsparseL19gebsrmvn_4xn_kernelILj128ELj1ELj32EdEEvi20rocsparse_direction_NS_24const_host_device_scalarIT2_EEPKiS6_PKS3_S8_S4_PS3_21rocsparse_index_base_b
	.p2align	8
	.type	_ZN9rocsparseL19gebsrmvn_4xn_kernelILj128ELj1ELj32EdEEvi20rocsparse_direction_NS_24const_host_device_scalarIT2_EEPKiS6_PKS3_S8_S4_PS3_21rocsparse_index_base_b,@function
_ZN9rocsparseL19gebsrmvn_4xn_kernelILj128ELj1ELj32EdEEvi20rocsparse_direction_NS_24const_host_device_scalarIT2_EEPKiS6_PKS3_S8_S4_PS3_21rocsparse_index_base_b: ; @_ZN9rocsparseL19gebsrmvn_4xn_kernelILj128ELj1ELj32EdEEvi20rocsparse_direction_NS_24const_host_device_scalarIT2_EEPKiS6_PKS3_S8_S4_PS3_21rocsparse_index_base_b
; %bb.0:
	s_clause 0x2
	s_load_b64 s[12:13], s[0:1], 0x40
	s_load_b64 s[4:5], s[0:1], 0x8
	;; [unrolled: 1-line block ×3, first 2 shown]
	s_wait_kmcnt 0x0
	s_bitcmp1_b32 s13, 0
	v_mov_b64_e32 v[2:3], s[4:5]
	s_cselect_b32 s6, -1, 0
	s_delay_alu instid0(SALU_CYCLE_1)
	s_and_b32 vcc_lo, exec_lo, s6
	s_xor_b32 s6, s6, -1
	s_cbranch_vccnz .LBB40_2
; %bb.1:
	v_mov_b32_e32 v1, 0
	flat_load_b64 v[2:3], v1, s[4:5]
.LBB40_2:
	v_mov_b64_e32 v[4:5], s[2:3]
	s_and_not1_b32 vcc_lo, exec_lo, s6
	s_cbranch_vccnz .LBB40_4
; %bb.3:
	s_wait_xcnt 0x0
	v_mov_b32_e32 v1, 0
	flat_load_b64 v[4:5], v1, s[2:3]
.LBB40_4:
	s_wait_loadcnt_dscnt 0x0
	v_cmp_neq_f64_e32 vcc_lo, 0, v[2:3]
	s_delay_alu instid0(VALU_DEP_2) | instskip(SKIP_1) | instid1(SALU_CYCLE_1)
	v_cmp_neq_f64_e64 s2, 1.0, v[4:5]
	s_or_b32 s2, vcc_lo, s2
	s_and_saveexec_b32 s3, s2
	s_cbranch_execz .LBB40_23
; %bb.5:
	s_load_b64 s[2:3], s[0:1], 0x0
	s_bfe_u32 s4, ttmp6, 0x4000c
	s_and_b32 s5, ttmp6, 15
	s_add_co_i32 s4, s4, 1
	s_getreg_b32 s6, hwreg(HW_REG_IB_STS2, 6, 4)
	s_mul_i32 s4, ttmp9, s4
	v_lshrrev_b32_e32 v1, 5, v0
	s_add_co_i32 s5, s5, s4
	s_cmp_eq_u32 s6, 0
	s_cselect_b32 s4, ttmp9, s5
	s_delay_alu instid0(VALU_DEP_1) | instid1(SALU_CYCLE_1)
	v_lshl_or_b32 v6, s4, 2, v1
	s_wait_kmcnt 0x0
	s_delay_alu instid0(VALU_DEP_1)
	v_cmp_gt_i32_e32 vcc_lo, s2, v6
	s_and_b32 exec_lo, exec_lo, vcc_lo
	s_cbranch_execz .LBB40_23
; %bb.6:
	s_load_b256 s[4:11], s[0:1], 0x10
	v_ashrrev_i32_e32 v7, 31, v6
	s_cmp_lg_u32 s3, 0
	s_wait_kmcnt 0x0
	s_delay_alu instid0(VALU_DEP_1)
	v_lshl_add_u64 v[8:9], v[6:7], 2, s[4:5]
	v_and_b32_e32 v7, 31, v0
	global_load_b64 v[8:9], v[8:9], off
	s_wait_loadcnt 0x0
	v_subrev_nc_u32_e32 v0, s12, v8
	v_subrev_nc_u32_e32 v16, s12, v9
	s_delay_alu instid0(VALU_DEP_2) | instskip(NEXT) | instid1(VALU_DEP_1)
	v_add_nc_u32_e32 v17, v0, v7
	v_cmp_lt_i32_e64 s2, v17, v16
	s_cbranch_scc0 .LBB40_12
; %bb.7:
	v_mov_b64_e32 v[0:1], 0
	v_mov_b64_e32 v[8:9], 0
	;; [unrolled: 1-line block ×4, first 2 shown]
	s_and_saveexec_b32 s3, s2
	s_cbranch_execz .LBB40_11
; %bb.8:
	v_mov_b64_e32 v[0:1], 0
	v_mov_b64_e32 v[8:9], 0
	;; [unrolled: 1-line block ×4, first 2 shown]
	v_dual_mov_b32 v15, 0 :: v_dual_lshlrev_b32 v14, 2, v17
	v_mov_b32_e32 v18, v17
	s_mov_b32 s4, 0
.LBB40_9:                               ; =>This Inner Loop Header: Depth=1
	global_load_b32 v19, v18, s[6:7] scale_offset
	v_lshl_add_u64 v[28:29], v[14:15], 3, s[8:9]
	s_wait_xcnt 0x0
	v_add_nc_u32_e32 v18, 32, v18
	v_add_nc_u32_e32 v14, 0x80, v14
	global_load_b128 v[20:23], v[28:29], off offset:16
	v_cmp_ge_i32_e32 vcc_lo, v18, v16
	s_or_b32 s4, vcc_lo, s4
	s_wait_loadcnt 0x1
	v_subrev_nc_u32_e32 v19, s12, v19
	global_load_b128 v[24:27], v[28:29], off
	global_load_b64 v[30:31], v19, s[10:11] scale_offset
	s_wait_loadcnt 0x0
	v_fmac_f64_e32 v[0:1], v[24:25], v[30:31]
	v_fmac_f64_e32 v[12:13], v[26:27], v[30:31]
	;; [unrolled: 1-line block ×4, first 2 shown]
	s_and_not1_b32 exec_lo, exec_lo, s4
	s_cbranch_execnz .LBB40_9
; %bb.10:
	s_or_b32 exec_lo, exec_lo, s4
.LBB40_11:
	s_delay_alu instid0(SALU_CYCLE_1)
	s_or_b32 exec_lo, exec_lo, s3
	s_cbranch_execz .LBB40_13
	s_branch .LBB40_18
.LBB40_12:
                                        ; implicit-def: $vgpr0_vgpr1
                                        ; implicit-def: $vgpr8_vgpr9
                                        ; implicit-def: $vgpr10_vgpr11
                                        ; implicit-def: $vgpr12_vgpr13
.LBB40_13:
	v_mov_b64_e32 v[0:1], 0
	v_mov_b64_e32 v[8:9], 0
	;; [unrolled: 1-line block ×4, first 2 shown]
	s_and_saveexec_b32 s3, s2
	s_cbranch_execz .LBB40_17
; %bb.14:
	v_mov_b64_e32 v[0:1], 0
	v_mov_b64_e32 v[8:9], 0
	;; [unrolled: 1-line block ×4, first 2 shown]
	v_dual_mov_b32 v15, 0 :: v_dual_lshlrev_b32 v14, 2, v17
	s_mov_b32 s2, 0
.LBB40_15:                              ; =>This Inner Loop Header: Depth=1
	global_load_b32 v22, v17, s[6:7] scale_offset
	v_lshl_add_u64 v[26:27], v[14:15], 3, s[8:9]
	s_wait_xcnt 0x0
	v_add_nc_u32_e32 v17, 32, v17
	v_add_nc_u32_e32 v14, 0x80, v14
	global_load_b128 v[18:21], v[26:27], off offset:16
	v_cmp_ge_i32_e32 vcc_lo, v17, v16
	s_or_b32 s2, vcc_lo, s2
	s_wait_loadcnt 0x1
	v_subrev_nc_u32_e32 v30, s12, v22
	global_load_b128 v[22:25], v[26:27], off
	global_load_b64 v[28:29], v30, s[10:11] scale_offset
	s_wait_loadcnt 0x0
	v_fmac_f64_e32 v[0:1], v[22:23], v[28:29]
	v_fmac_f64_e32 v[12:13], v[24:25], v[28:29]
	;; [unrolled: 1-line block ×4, first 2 shown]
	s_and_not1_b32 exec_lo, exec_lo, s2
	s_cbranch_execnz .LBB40_15
; %bb.16:
	s_or_b32 exec_lo, exec_lo, s2
.LBB40_17:
	s_delay_alu instid0(SALU_CYCLE_1)
	s_or_b32 exec_lo, exec_lo, s3
.LBB40_18:
	v_mbcnt_lo_u32_b32 v24, -1, 0
	s_delay_alu instid0(VALU_DEP_1) | instskip(NEXT) | instid1(VALU_DEP_1)
	v_xor_b32_e32 v14, 16, v24
	v_cmp_gt_i32_e32 vcc_lo, 32, v14
	v_cndmask_b32_e32 v14, v24, v14, vcc_lo
	s_delay_alu instid0(VALU_DEP_1)
	v_lshlrev_b32_e32 v21, 2, v14
	ds_bpermute_b32 v16, v21, v12
	ds_bpermute_b32 v17, v21, v13
	s_wait_dscnt 0x0
	v_add_f64_e32 v[12:13], v[12:13], v[16:17]
	ds_bpermute_b32 v14, v21, v0
	ds_bpermute_b32 v15, v21, v1
	;; [unrolled: 1-line block ×6, first 2 shown]
	s_wait_dscnt 0x4
	v_dual_add_f64 v[0:1], v[0:1], v[14:15] :: v_dual_bitop2_b32 v14, 8, v24 bitop3:0x14
	s_wait_dscnt 0x2
	v_add_f64_e32 v[10:11], v[10:11], v[18:19]
	s_delay_alu instid0(VALU_DEP_2) | instskip(SKIP_2) | instid1(VALU_DEP_1)
	v_cmp_gt_i32_e32 vcc_lo, 32, v14
	v_cndmask_b32_e32 v14, v24, v14, vcc_lo
	s_wait_dscnt 0x0
	v_dual_add_f64 v[8:9], v[8:9], v[20:21] :: v_dual_lshlrev_b32 v21, 2, v14
	ds_bpermute_b32 v16, v21, v12
	ds_bpermute_b32 v17, v21, v13
	;; [unrolled: 1-line block ×8, first 2 shown]
	s_wait_dscnt 0x4
	v_dual_add_f64 v[0:1], v[0:1], v[14:15] :: v_dual_bitop2_b32 v14, 4, v24 bitop3:0x14
	s_wait_dscnt 0x2
	v_add_f64_e32 v[10:11], v[10:11], v[18:19]
	s_delay_alu instid0(VALU_DEP_2) | instskip(SKIP_3) | instid1(VALU_DEP_2)
	v_cmp_gt_i32_e32 vcc_lo, 32, v14
	v_cndmask_b32_e32 v14, v24, v14, vcc_lo
	v_add_f64_e32 v[12:13], v[12:13], v[16:17]
	s_wait_dscnt 0x0
	v_dual_add_f64 v[8:9], v[8:9], v[20:21] :: v_dual_lshlrev_b32 v21, 2, v14
	ds_bpermute_b32 v14, v21, v0
	ds_bpermute_b32 v15, v21, v1
	;; [unrolled: 1-line block ×6, first 2 shown]
	s_wait_dscnt 0x4
	v_add_f64_e32 v[0:1], v[0:1], v[14:15]
	s_wait_dscnt 0x0
	v_add_f64_e32 v[14:15], v[12:13], v[16:17]
	v_dual_add_f64 v[16:17], v[10:11], v[18:19] :: v_dual_bitop2_b32 v10, 2, v24 bitop3:0x14
	s_delay_alu instid0(VALU_DEP_1) | instskip(SKIP_1) | instid1(VALU_DEP_1)
	v_cmp_gt_i32_e32 vcc_lo, 32, v10
	v_cndmask_b32_e32 v10, v24, v10, vcc_lo
	v_lshlrev_b32_e32 v12, 2, v10
	ds_bpermute_b32 v20, v21, v8
	ds_bpermute_b32 v21, v21, v9
	;; [unrolled: 1-line block ×6, first 2 shown]
	s_wait_dscnt 0x4
	v_add_f64_e32 v[8:9], v[8:9], v[20:21]
	ds_bpermute_b32 v20, v12, v16
	ds_bpermute_b32 v21, v12, v17
	;; [unrolled: 1-line block ×4, first 2 shown]
	s_wait_dscnt 0x6
	v_add_f64_e32 v[12:13], v[0:1], v[10:11]
	s_wait_dscnt 0x4
	v_dual_add_f64 v[10:11], v[14:15], v[18:19] :: v_dual_bitop2_b32 v14, 1, v24 bitop3:0x14
	s_wait_dscnt 0x2
	v_add_f64_e32 v[0:1], v[16:17], v[20:21]
	s_delay_alu instid0(VALU_DEP_2) | instskip(SKIP_2) | instid1(VALU_DEP_2)
	v_cmp_gt_i32_e32 vcc_lo, 32, v14
	v_cndmask_b32_e32 v14, v24, v14, vcc_lo
	v_cmp_eq_u32_e32 vcc_lo, 31, v7
	v_lshlrev_b32_e32 v15, 2, v14
	s_wait_dscnt 0x0
	v_add_f64_e32 v[8:9], v[8:9], v[22:23]
	ds_bpermute_b32 v20, v15, v12
	ds_bpermute_b32 v21, v15, v13
	;; [unrolled: 1-line block ×8, first 2 shown]
	s_and_b32 exec_lo, exec_lo, vcc_lo
	s_cbranch_execz .LBB40_23
; %bb.19:
	s_wait_dscnt 0x6
	v_add_f64_e32 v[12:13], v[12:13], v[20:21]
	s_wait_dscnt 0x4
	v_add_f64_e32 v[10:11], v[10:11], v[18:19]
	;; [unrolled: 2-line block ×4, first 2 shown]
	s_load_b64 s[0:1], s[0:1], 0x38
	s_mov_b32 s2, exec_lo
	v_cmpx_eq_f64_e32 0, v[4:5]
	s_xor_b32 s2, exec_lo, s2
	s_cbranch_execz .LBB40_21
; %bb.20:
	v_dual_mul_f64 v[12:13], v[2:3], v[12:13] :: v_dual_lshlrev_b32 v4, 2, v6
	v_mul_f64_e32 v[14:15], v[2:3], v[10:11]
	v_mul_f64_e32 v[0:1], v[2:3], v[0:1]
	;; [unrolled: 1-line block ×3, first 2 shown]
                                        ; implicit-def: $vgpr6
                                        ; implicit-def: $vgpr10_vgpr11
                                        ; implicit-def: $vgpr8_vgpr9
	s_delay_alu instid0(VALU_DEP_4) | instskip(SKIP_1) | instid1(VALU_DEP_1)
	v_ashrrev_i32_e32 v5, 31, v4
	s_wait_kmcnt 0x0
	v_lshl_add_u64 v[4:5], v[4:5], 3, s[0:1]
	s_clause 0x1
	global_store_b128 v[4:5], v[12:15], off
	global_store_b128 v[4:5], v[0:3], off offset:16
                                        ; implicit-def: $vgpr2_vgpr3
                                        ; implicit-def: $vgpr12_vgpr13
                                        ; implicit-def: $vgpr4_vgpr5
                                        ; implicit-def: $vgpr0_vgpr1
.LBB40_21:
	s_wait_xcnt 0x0
	s_and_not1_saveexec_b32 s2, s2
	s_cbranch_execz .LBB40_23
; %bb.22:
	v_dual_mul_f64 v[22:23], v[2:3], v[12:13] :: v_dual_lshlrev_b32 v6, 2, v6
	v_mul_f64_e32 v[24:25], v[2:3], v[10:11]
	v_mul_f64_e32 v[0:1], v[2:3], v[0:1]
	s_delay_alu instid0(VALU_DEP_3) | instskip(SKIP_1) | instid1(VALU_DEP_1)
	v_dual_mul_f64 v[2:3], v[2:3], v[8:9] :: v_dual_ashrrev_i32 v7, 31, v6
	s_wait_kmcnt 0x0
	v_lshl_add_u64 v[6:7], v[6:7], 3, s[0:1]
	s_clause 0x1
	global_load_b128 v[14:17], v[6:7], off
	global_load_b128 v[18:21], v[6:7], off offset:16
	s_wait_loadcnt 0x1
	v_fmac_f64_e32 v[22:23], v[4:5], v[14:15]
	v_fmac_f64_e32 v[24:25], v[4:5], v[16:17]
	s_wait_loadcnt 0x0
	v_fmac_f64_e32 v[0:1], v[4:5], v[18:19]
	v_fmac_f64_e32 v[2:3], v[4:5], v[20:21]
	s_clause 0x1
	global_store_b128 v[6:7], v[22:25], off
	global_store_b128 v[6:7], v[0:3], off offset:16
.LBB40_23:
	s_endpgm
	.section	.rodata,"a",@progbits
	.p2align	6, 0x0
	.amdhsa_kernel _ZN9rocsparseL19gebsrmvn_4xn_kernelILj128ELj1ELj32EdEEvi20rocsparse_direction_NS_24const_host_device_scalarIT2_EEPKiS6_PKS3_S8_S4_PS3_21rocsparse_index_base_b
		.amdhsa_group_segment_fixed_size 0
		.amdhsa_private_segment_fixed_size 0
		.amdhsa_kernarg_size 72
		.amdhsa_user_sgpr_count 2
		.amdhsa_user_sgpr_dispatch_ptr 0
		.amdhsa_user_sgpr_queue_ptr 0
		.amdhsa_user_sgpr_kernarg_segment_ptr 1
		.amdhsa_user_sgpr_dispatch_id 0
		.amdhsa_user_sgpr_kernarg_preload_length 0
		.amdhsa_user_sgpr_kernarg_preload_offset 0
		.amdhsa_user_sgpr_private_segment_size 0
		.amdhsa_wavefront_size32 1
		.amdhsa_uses_dynamic_stack 0
		.amdhsa_enable_private_segment 0
		.amdhsa_system_sgpr_workgroup_id_x 1
		.amdhsa_system_sgpr_workgroup_id_y 0
		.amdhsa_system_sgpr_workgroup_id_z 0
		.amdhsa_system_sgpr_workgroup_info 0
		.amdhsa_system_vgpr_workitem_id 0
		.amdhsa_next_free_vgpr 32
		.amdhsa_next_free_sgpr 14
		.amdhsa_named_barrier_count 0
		.amdhsa_reserve_vcc 1
		.amdhsa_float_round_mode_32 0
		.amdhsa_float_round_mode_16_64 0
		.amdhsa_float_denorm_mode_32 3
		.amdhsa_float_denorm_mode_16_64 3
		.amdhsa_fp16_overflow 0
		.amdhsa_memory_ordered 1
		.amdhsa_forward_progress 1
		.amdhsa_inst_pref_size 12
		.amdhsa_round_robin_scheduling 0
		.amdhsa_exception_fp_ieee_invalid_op 0
		.amdhsa_exception_fp_denorm_src 0
		.amdhsa_exception_fp_ieee_div_zero 0
		.amdhsa_exception_fp_ieee_overflow 0
		.amdhsa_exception_fp_ieee_underflow 0
		.amdhsa_exception_fp_ieee_inexact 0
		.amdhsa_exception_int_div_zero 0
	.end_amdhsa_kernel
	.section	.text._ZN9rocsparseL19gebsrmvn_4xn_kernelILj128ELj1ELj32EdEEvi20rocsparse_direction_NS_24const_host_device_scalarIT2_EEPKiS6_PKS3_S8_S4_PS3_21rocsparse_index_base_b,"axG",@progbits,_ZN9rocsparseL19gebsrmvn_4xn_kernelILj128ELj1ELj32EdEEvi20rocsparse_direction_NS_24const_host_device_scalarIT2_EEPKiS6_PKS3_S8_S4_PS3_21rocsparse_index_base_b,comdat
.Lfunc_end40:
	.size	_ZN9rocsparseL19gebsrmvn_4xn_kernelILj128ELj1ELj32EdEEvi20rocsparse_direction_NS_24const_host_device_scalarIT2_EEPKiS6_PKS3_S8_S4_PS3_21rocsparse_index_base_b, .Lfunc_end40-_ZN9rocsparseL19gebsrmvn_4xn_kernelILj128ELj1ELj32EdEEvi20rocsparse_direction_NS_24const_host_device_scalarIT2_EEPKiS6_PKS3_S8_S4_PS3_21rocsparse_index_base_b
                                        ; -- End function
	.set _ZN9rocsparseL19gebsrmvn_4xn_kernelILj128ELj1ELj32EdEEvi20rocsparse_direction_NS_24const_host_device_scalarIT2_EEPKiS6_PKS3_S8_S4_PS3_21rocsparse_index_base_b.num_vgpr, 32
	.set _ZN9rocsparseL19gebsrmvn_4xn_kernelILj128ELj1ELj32EdEEvi20rocsparse_direction_NS_24const_host_device_scalarIT2_EEPKiS6_PKS3_S8_S4_PS3_21rocsparse_index_base_b.num_agpr, 0
	.set _ZN9rocsparseL19gebsrmvn_4xn_kernelILj128ELj1ELj32EdEEvi20rocsparse_direction_NS_24const_host_device_scalarIT2_EEPKiS6_PKS3_S8_S4_PS3_21rocsparse_index_base_b.numbered_sgpr, 14
	.set _ZN9rocsparseL19gebsrmvn_4xn_kernelILj128ELj1ELj32EdEEvi20rocsparse_direction_NS_24const_host_device_scalarIT2_EEPKiS6_PKS3_S8_S4_PS3_21rocsparse_index_base_b.num_named_barrier, 0
	.set _ZN9rocsparseL19gebsrmvn_4xn_kernelILj128ELj1ELj32EdEEvi20rocsparse_direction_NS_24const_host_device_scalarIT2_EEPKiS6_PKS3_S8_S4_PS3_21rocsparse_index_base_b.private_seg_size, 0
	.set _ZN9rocsparseL19gebsrmvn_4xn_kernelILj128ELj1ELj32EdEEvi20rocsparse_direction_NS_24const_host_device_scalarIT2_EEPKiS6_PKS3_S8_S4_PS3_21rocsparse_index_base_b.uses_vcc, 1
	.set _ZN9rocsparseL19gebsrmvn_4xn_kernelILj128ELj1ELj32EdEEvi20rocsparse_direction_NS_24const_host_device_scalarIT2_EEPKiS6_PKS3_S8_S4_PS3_21rocsparse_index_base_b.uses_flat_scratch, 0
	.set _ZN9rocsparseL19gebsrmvn_4xn_kernelILj128ELj1ELj32EdEEvi20rocsparse_direction_NS_24const_host_device_scalarIT2_EEPKiS6_PKS3_S8_S4_PS3_21rocsparse_index_base_b.has_dyn_sized_stack, 0
	.set _ZN9rocsparseL19gebsrmvn_4xn_kernelILj128ELj1ELj32EdEEvi20rocsparse_direction_NS_24const_host_device_scalarIT2_EEPKiS6_PKS3_S8_S4_PS3_21rocsparse_index_base_b.has_recursion, 0
	.set _ZN9rocsparseL19gebsrmvn_4xn_kernelILj128ELj1ELj32EdEEvi20rocsparse_direction_NS_24const_host_device_scalarIT2_EEPKiS6_PKS3_S8_S4_PS3_21rocsparse_index_base_b.has_indirect_call, 0
	.section	.AMDGPU.csdata,"",@progbits
; Kernel info:
; codeLenInByte = 1532
; TotalNumSgprs: 16
; NumVgprs: 32
; ScratchSize: 0
; MemoryBound: 0
; FloatMode: 240
; IeeeMode: 1
; LDSByteSize: 0 bytes/workgroup (compile time only)
; SGPRBlocks: 0
; VGPRBlocks: 1
; NumSGPRsForWavesPerEU: 16
; NumVGPRsForWavesPerEU: 32
; NamedBarCnt: 0
; Occupancy: 16
; WaveLimiterHint : 1
; COMPUTE_PGM_RSRC2:SCRATCH_EN: 0
; COMPUTE_PGM_RSRC2:USER_SGPR: 2
; COMPUTE_PGM_RSRC2:TRAP_HANDLER: 0
; COMPUTE_PGM_RSRC2:TGID_X_EN: 1
; COMPUTE_PGM_RSRC2:TGID_Y_EN: 0
; COMPUTE_PGM_RSRC2:TGID_Z_EN: 0
; COMPUTE_PGM_RSRC2:TIDIG_COMP_CNT: 0
	.section	.text._ZN9rocsparseL19gebsrmvn_4xn_kernelILj128ELj1ELj64EdEEvi20rocsparse_direction_NS_24const_host_device_scalarIT2_EEPKiS6_PKS3_S8_S4_PS3_21rocsparse_index_base_b,"axG",@progbits,_ZN9rocsparseL19gebsrmvn_4xn_kernelILj128ELj1ELj64EdEEvi20rocsparse_direction_NS_24const_host_device_scalarIT2_EEPKiS6_PKS3_S8_S4_PS3_21rocsparse_index_base_b,comdat
	.globl	_ZN9rocsparseL19gebsrmvn_4xn_kernelILj128ELj1ELj64EdEEvi20rocsparse_direction_NS_24const_host_device_scalarIT2_EEPKiS6_PKS3_S8_S4_PS3_21rocsparse_index_base_b ; -- Begin function _ZN9rocsparseL19gebsrmvn_4xn_kernelILj128ELj1ELj64EdEEvi20rocsparse_direction_NS_24const_host_device_scalarIT2_EEPKiS6_PKS3_S8_S4_PS3_21rocsparse_index_base_b
	.p2align	8
	.type	_ZN9rocsparseL19gebsrmvn_4xn_kernelILj128ELj1ELj64EdEEvi20rocsparse_direction_NS_24const_host_device_scalarIT2_EEPKiS6_PKS3_S8_S4_PS3_21rocsparse_index_base_b,@function
_ZN9rocsparseL19gebsrmvn_4xn_kernelILj128ELj1ELj64EdEEvi20rocsparse_direction_NS_24const_host_device_scalarIT2_EEPKiS6_PKS3_S8_S4_PS3_21rocsparse_index_base_b: ; @_ZN9rocsparseL19gebsrmvn_4xn_kernelILj128ELj1ELj64EdEEvi20rocsparse_direction_NS_24const_host_device_scalarIT2_EEPKiS6_PKS3_S8_S4_PS3_21rocsparse_index_base_b
; %bb.0:
	s_clause 0x2
	s_load_b64 s[12:13], s[0:1], 0x40
	s_load_b64 s[4:5], s[0:1], 0x8
	;; [unrolled: 1-line block ×3, first 2 shown]
	s_wait_kmcnt 0x0
	s_bitcmp1_b32 s13, 0
	v_mov_b64_e32 v[2:3], s[4:5]
	s_cselect_b32 s6, -1, 0
	s_delay_alu instid0(SALU_CYCLE_1)
	s_and_b32 vcc_lo, exec_lo, s6
	s_xor_b32 s6, s6, -1
	s_cbranch_vccnz .LBB41_2
; %bb.1:
	v_mov_b32_e32 v1, 0
	flat_load_b64 v[2:3], v1, s[4:5]
.LBB41_2:
	v_mov_b64_e32 v[4:5], s[2:3]
	s_and_not1_b32 vcc_lo, exec_lo, s6
	s_cbranch_vccnz .LBB41_4
; %bb.3:
	s_wait_xcnt 0x0
	v_mov_b32_e32 v1, 0
	flat_load_b64 v[4:5], v1, s[2:3]
.LBB41_4:
	s_wait_loadcnt_dscnt 0x0
	v_cmp_neq_f64_e32 vcc_lo, 0, v[2:3]
	s_delay_alu instid0(VALU_DEP_2) | instskip(SKIP_1) | instid1(SALU_CYCLE_1)
	v_cmp_neq_f64_e64 s2, 1.0, v[4:5]
	s_or_b32 s2, vcc_lo, s2
	s_and_saveexec_b32 s3, s2
	s_cbranch_execz .LBB41_23
; %bb.5:
	s_load_b64 s[2:3], s[0:1], 0x0
	s_bfe_u32 s4, ttmp6, 0x4000c
	s_and_b32 s5, ttmp6, 15
	s_add_co_i32 s4, s4, 1
	s_getreg_b32 s6, hwreg(HW_REG_IB_STS2, 6, 4)
	s_mul_i32 s4, ttmp9, s4
	v_lshrrev_b32_e32 v1, 6, v0
	s_add_co_i32 s5, s5, s4
	s_cmp_eq_u32 s6, 0
	s_cselect_b32 s4, ttmp9, s5
	s_delay_alu instid0(VALU_DEP_1) | instid1(SALU_CYCLE_1)
	v_lshl_or_b32 v6, s4, 1, v1
	s_wait_kmcnt 0x0
	s_delay_alu instid0(VALU_DEP_1)
	v_cmp_gt_i32_e32 vcc_lo, s2, v6
	s_and_b32 exec_lo, exec_lo, vcc_lo
	s_cbranch_execz .LBB41_23
; %bb.6:
	s_load_b256 s[4:11], s[0:1], 0x10
	v_ashrrev_i32_e32 v7, 31, v6
	s_cmp_lg_u32 s3, 0
	s_wait_kmcnt 0x0
	s_delay_alu instid0(VALU_DEP_1)
	v_lshl_add_u64 v[8:9], v[6:7], 2, s[4:5]
	v_and_b32_e32 v7, 63, v0
	global_load_b64 v[8:9], v[8:9], off
	s_wait_loadcnt 0x0
	v_subrev_nc_u32_e32 v0, s12, v8
	v_subrev_nc_u32_e32 v16, s12, v9
	s_delay_alu instid0(VALU_DEP_2) | instskip(NEXT) | instid1(VALU_DEP_1)
	v_add_nc_u32_e32 v17, v0, v7
	v_cmp_lt_i32_e64 s2, v17, v16
	s_cbranch_scc0 .LBB41_12
; %bb.7:
	v_mov_b64_e32 v[0:1], 0
	v_mov_b64_e32 v[8:9], 0
	;; [unrolled: 1-line block ×4, first 2 shown]
	s_and_saveexec_b32 s3, s2
	s_cbranch_execz .LBB41_11
; %bb.8:
	v_mov_b64_e32 v[0:1], 0
	v_mov_b64_e32 v[8:9], 0
	;; [unrolled: 1-line block ×4, first 2 shown]
	v_dual_mov_b32 v15, 0 :: v_dual_lshlrev_b32 v14, 2, v17
	v_mov_b32_e32 v18, v17
	s_mov_b32 s4, 0
.LBB41_9:                               ; =>This Inner Loop Header: Depth=1
	global_load_b32 v19, v18, s[6:7] scale_offset
	v_lshl_add_u64 v[28:29], v[14:15], 3, s[8:9]
	s_wait_xcnt 0x0
	v_add_nc_u32_e32 v18, 64, v18
	v_add_nc_u32_e32 v14, 0x100, v14
	global_load_b128 v[20:23], v[28:29], off offset:16
	v_cmp_ge_i32_e32 vcc_lo, v18, v16
	s_or_b32 s4, vcc_lo, s4
	s_wait_loadcnt 0x1
	v_subrev_nc_u32_e32 v19, s12, v19
	global_load_b128 v[24:27], v[28:29], off
	global_load_b64 v[30:31], v19, s[10:11] scale_offset
	s_wait_loadcnt 0x0
	v_fmac_f64_e32 v[0:1], v[24:25], v[30:31]
	v_fmac_f64_e32 v[12:13], v[26:27], v[30:31]
	;; [unrolled: 1-line block ×4, first 2 shown]
	s_and_not1_b32 exec_lo, exec_lo, s4
	s_cbranch_execnz .LBB41_9
; %bb.10:
	s_or_b32 exec_lo, exec_lo, s4
.LBB41_11:
	s_delay_alu instid0(SALU_CYCLE_1)
	s_or_b32 exec_lo, exec_lo, s3
	s_cbranch_execz .LBB41_13
	s_branch .LBB41_18
.LBB41_12:
                                        ; implicit-def: $vgpr0_vgpr1
                                        ; implicit-def: $vgpr8_vgpr9
                                        ; implicit-def: $vgpr10_vgpr11
                                        ; implicit-def: $vgpr12_vgpr13
.LBB41_13:
	v_mov_b64_e32 v[0:1], 0
	v_mov_b64_e32 v[8:9], 0
	;; [unrolled: 1-line block ×4, first 2 shown]
	s_and_saveexec_b32 s3, s2
	s_cbranch_execz .LBB41_17
; %bb.14:
	v_mov_b64_e32 v[0:1], 0
	v_mov_b64_e32 v[8:9], 0
	;; [unrolled: 1-line block ×4, first 2 shown]
	v_dual_mov_b32 v15, 0 :: v_dual_lshlrev_b32 v14, 2, v17
	s_mov_b32 s2, 0
.LBB41_15:                              ; =>This Inner Loop Header: Depth=1
	global_load_b32 v22, v17, s[6:7] scale_offset
	v_lshl_add_u64 v[26:27], v[14:15], 3, s[8:9]
	s_wait_xcnt 0x0
	v_add_nc_u32_e32 v17, 64, v17
	v_add_nc_u32_e32 v14, 0x100, v14
	global_load_b128 v[18:21], v[26:27], off offset:16
	v_cmp_ge_i32_e32 vcc_lo, v17, v16
	s_or_b32 s2, vcc_lo, s2
	s_wait_loadcnt 0x1
	v_subrev_nc_u32_e32 v30, s12, v22
	global_load_b128 v[22:25], v[26:27], off
	global_load_b64 v[28:29], v30, s[10:11] scale_offset
	s_wait_loadcnt 0x0
	v_fmac_f64_e32 v[0:1], v[22:23], v[28:29]
	v_fmac_f64_e32 v[12:13], v[24:25], v[28:29]
	;; [unrolled: 1-line block ×4, first 2 shown]
	s_and_not1_b32 exec_lo, exec_lo, s2
	s_cbranch_execnz .LBB41_15
; %bb.16:
	s_or_b32 exec_lo, exec_lo, s2
.LBB41_17:
	s_delay_alu instid0(SALU_CYCLE_1)
	s_or_b32 exec_lo, exec_lo, s3
.LBB41_18:
	v_mbcnt_lo_u32_b32 v24, -1, 0
	s_delay_alu instid0(VALU_DEP_1) | instskip(NEXT) | instid1(VALU_DEP_1)
	v_or_b32_e32 v14, 32, v24
	v_cmp_gt_i32_e32 vcc_lo, 32, v14
	v_cndmask_b32_e32 v14, v24, v14, vcc_lo
	s_delay_alu instid0(VALU_DEP_1)
	v_lshlrev_b32_e32 v21, 2, v14
	ds_bpermute_b32 v16, v21, v12
	ds_bpermute_b32 v17, v21, v13
	s_wait_dscnt 0x0
	v_add_f64_e32 v[12:13], v[12:13], v[16:17]
	ds_bpermute_b32 v14, v21, v0
	ds_bpermute_b32 v15, v21, v1
	;; [unrolled: 1-line block ×6, first 2 shown]
	s_wait_dscnt 0x4
	v_dual_add_f64 v[0:1], v[0:1], v[14:15] :: v_dual_bitop2_b32 v14, 16, v24 bitop3:0x14
	s_wait_dscnt 0x2
	v_add_f64_e32 v[10:11], v[10:11], v[18:19]
	s_delay_alu instid0(VALU_DEP_2) | instskip(SKIP_2) | instid1(VALU_DEP_1)
	v_cmp_gt_i32_e32 vcc_lo, 32, v14
	v_cndmask_b32_e32 v14, v24, v14, vcc_lo
	s_wait_dscnt 0x0
	v_dual_add_f64 v[8:9], v[8:9], v[20:21] :: v_dual_lshlrev_b32 v21, 2, v14
	ds_bpermute_b32 v16, v21, v12
	ds_bpermute_b32 v17, v21, v13
	;; [unrolled: 1-line block ×8, first 2 shown]
	s_wait_dscnt 0x4
	v_dual_add_f64 v[0:1], v[0:1], v[14:15] :: v_dual_bitop2_b32 v14, 8, v24 bitop3:0x14
	s_wait_dscnt 0x2
	v_add_f64_e32 v[10:11], v[10:11], v[18:19]
	s_delay_alu instid0(VALU_DEP_2) | instskip(SKIP_3) | instid1(VALU_DEP_2)
	v_cmp_gt_i32_e32 vcc_lo, 32, v14
	v_cndmask_b32_e32 v14, v24, v14, vcc_lo
	v_add_f64_e32 v[12:13], v[12:13], v[16:17]
	s_wait_dscnt 0x0
	v_dual_add_f64 v[8:9], v[8:9], v[20:21] :: v_dual_lshlrev_b32 v21, 2, v14
	ds_bpermute_b32 v14, v21, v0
	ds_bpermute_b32 v15, v21, v1
	;; [unrolled: 1-line block ×5, first 2 shown]
	s_wait_dscnt 0x3
	v_dual_add_f64 v[0:1], v[0:1], v[14:15] :: v_dual_bitop2_b32 v14, 4, v24 bitop3:0x14
	ds_bpermute_b32 v18, v21, v10
	ds_bpermute_b32 v19, v21, v11
	;; [unrolled: 1-line block ×3, first 2 shown]
	v_cmp_gt_i32_e32 vcc_lo, 32, v14
	v_cndmask_b32_e32 v14, v24, v14, vcc_lo
	s_wait_dscnt 0x4
	v_add_f64_e32 v[12:13], v[12:13], v[16:17]
	s_wait_dscnt 0x1
	v_add_f64_e32 v[10:11], v[10:11], v[18:19]
	s_wait_dscnt 0x0
	v_dual_add_f64 v[8:9], v[8:9], v[20:21] :: v_dual_lshlrev_b32 v21, 2, v14
	ds_bpermute_b32 v14, v21, v0
	ds_bpermute_b32 v15, v21, v1
	;; [unrolled: 1-line block ×4, first 2 shown]
	s_wait_dscnt 0x2
	v_add_f64_e32 v[0:1], v[0:1], v[14:15]
	ds_bpermute_b32 v18, v21, v10
	ds_bpermute_b32 v19, v21, v11
	s_wait_dscnt 0x2
	v_add_f64_e32 v[14:15], v[12:13], v[16:17]
	s_wait_dscnt 0x0
	v_dual_add_f64 v[16:17], v[10:11], v[18:19] :: v_dual_bitop2_b32 v10, 2, v24 bitop3:0x14
	s_delay_alu instid0(VALU_DEP_1) | instskip(SKIP_1) | instid1(VALU_DEP_1)
	v_cmp_gt_i32_e32 vcc_lo, 32, v10
	v_cndmask_b32_e32 v10, v24, v10, vcc_lo
	v_lshlrev_b32_e32 v12, 2, v10
	ds_bpermute_b32 v20, v21, v8
	ds_bpermute_b32 v21, v21, v9
	;; [unrolled: 1-line block ×6, first 2 shown]
	s_wait_dscnt 0x4
	v_add_f64_e32 v[8:9], v[8:9], v[20:21]
	ds_bpermute_b32 v20, v12, v16
	ds_bpermute_b32 v21, v12, v17
	;; [unrolled: 1-line block ×4, first 2 shown]
	s_wait_dscnt 0x6
	v_add_f64_e32 v[12:13], v[0:1], v[10:11]
	s_wait_dscnt 0x4
	v_add_f64_e32 v[10:11], v[14:15], v[18:19]
	;; [unrolled: 2-line block ×3, first 2 shown]
	v_xor_b32_e32 v14, 1, v24
	s_delay_alu instid0(VALU_DEP_1) | instskip(SKIP_2) | instid1(VALU_DEP_2)
	v_cmp_gt_i32_e32 vcc_lo, 32, v14
	v_cndmask_b32_e32 v14, v24, v14, vcc_lo
	v_cmp_eq_u32_e32 vcc_lo, 63, v7
	v_lshlrev_b32_e32 v15, 2, v14
	s_wait_dscnt 0x0
	v_add_f64_e32 v[8:9], v[8:9], v[22:23]
	ds_bpermute_b32 v20, v15, v12
	ds_bpermute_b32 v21, v15, v13
	ds_bpermute_b32 v18, v15, v10
	ds_bpermute_b32 v19, v15, v11
	ds_bpermute_b32 v16, v15, v0
	ds_bpermute_b32 v17, v15, v1
	ds_bpermute_b32 v14, v15, v8
	ds_bpermute_b32 v15, v15, v9
	s_and_b32 exec_lo, exec_lo, vcc_lo
	s_cbranch_execz .LBB41_23
; %bb.19:
	s_wait_dscnt 0x6
	v_add_f64_e32 v[12:13], v[12:13], v[20:21]
	s_wait_dscnt 0x4
	v_add_f64_e32 v[10:11], v[10:11], v[18:19]
	;; [unrolled: 2-line block ×4, first 2 shown]
	s_load_b64 s[0:1], s[0:1], 0x38
	s_mov_b32 s2, exec_lo
	v_cmpx_eq_f64_e32 0, v[4:5]
	s_xor_b32 s2, exec_lo, s2
	s_cbranch_execz .LBB41_21
; %bb.20:
	v_dual_mul_f64 v[12:13], v[2:3], v[12:13] :: v_dual_lshlrev_b32 v4, 2, v6
	v_mul_f64_e32 v[14:15], v[2:3], v[10:11]
	v_mul_f64_e32 v[0:1], v[2:3], v[0:1]
	;; [unrolled: 1-line block ×3, first 2 shown]
                                        ; implicit-def: $vgpr6
                                        ; implicit-def: $vgpr10_vgpr11
                                        ; implicit-def: $vgpr8_vgpr9
	s_delay_alu instid0(VALU_DEP_4) | instskip(SKIP_1) | instid1(VALU_DEP_1)
	v_ashrrev_i32_e32 v5, 31, v4
	s_wait_kmcnt 0x0
	v_lshl_add_u64 v[4:5], v[4:5], 3, s[0:1]
	s_clause 0x1
	global_store_b128 v[4:5], v[12:15], off
	global_store_b128 v[4:5], v[0:3], off offset:16
                                        ; implicit-def: $vgpr2_vgpr3
                                        ; implicit-def: $vgpr12_vgpr13
                                        ; implicit-def: $vgpr4_vgpr5
                                        ; implicit-def: $vgpr0_vgpr1
.LBB41_21:
	s_wait_xcnt 0x0
	s_and_not1_saveexec_b32 s2, s2
	s_cbranch_execz .LBB41_23
; %bb.22:
	v_dual_mul_f64 v[22:23], v[2:3], v[12:13] :: v_dual_lshlrev_b32 v6, 2, v6
	v_mul_f64_e32 v[24:25], v[2:3], v[10:11]
	v_mul_f64_e32 v[0:1], v[2:3], v[0:1]
	s_delay_alu instid0(VALU_DEP_3) | instskip(SKIP_1) | instid1(VALU_DEP_1)
	v_dual_mul_f64 v[2:3], v[2:3], v[8:9] :: v_dual_ashrrev_i32 v7, 31, v6
	s_wait_kmcnt 0x0
	v_lshl_add_u64 v[6:7], v[6:7], 3, s[0:1]
	s_clause 0x1
	global_load_b128 v[14:17], v[6:7], off
	global_load_b128 v[18:21], v[6:7], off offset:16
	s_wait_loadcnt 0x1
	v_fmac_f64_e32 v[22:23], v[4:5], v[14:15]
	v_fmac_f64_e32 v[24:25], v[4:5], v[16:17]
	s_wait_loadcnt 0x0
	v_fmac_f64_e32 v[0:1], v[4:5], v[18:19]
	v_fmac_f64_e32 v[2:3], v[4:5], v[20:21]
	s_clause 0x1
	global_store_b128 v[6:7], v[22:25], off
	global_store_b128 v[6:7], v[0:3], off offset:16
.LBB41_23:
	s_endpgm
	.section	.rodata,"a",@progbits
	.p2align	6, 0x0
	.amdhsa_kernel _ZN9rocsparseL19gebsrmvn_4xn_kernelILj128ELj1ELj64EdEEvi20rocsparse_direction_NS_24const_host_device_scalarIT2_EEPKiS6_PKS3_S8_S4_PS3_21rocsparse_index_base_b
		.amdhsa_group_segment_fixed_size 0
		.amdhsa_private_segment_fixed_size 0
		.amdhsa_kernarg_size 72
		.amdhsa_user_sgpr_count 2
		.amdhsa_user_sgpr_dispatch_ptr 0
		.amdhsa_user_sgpr_queue_ptr 0
		.amdhsa_user_sgpr_kernarg_segment_ptr 1
		.amdhsa_user_sgpr_dispatch_id 0
		.amdhsa_user_sgpr_kernarg_preload_length 0
		.amdhsa_user_sgpr_kernarg_preload_offset 0
		.amdhsa_user_sgpr_private_segment_size 0
		.amdhsa_wavefront_size32 1
		.amdhsa_uses_dynamic_stack 0
		.amdhsa_enable_private_segment 0
		.amdhsa_system_sgpr_workgroup_id_x 1
		.amdhsa_system_sgpr_workgroup_id_y 0
		.amdhsa_system_sgpr_workgroup_id_z 0
		.amdhsa_system_sgpr_workgroup_info 0
		.amdhsa_system_vgpr_workitem_id 0
		.amdhsa_next_free_vgpr 32
		.amdhsa_next_free_sgpr 14
		.amdhsa_named_barrier_count 0
		.amdhsa_reserve_vcc 1
		.amdhsa_float_round_mode_32 0
		.amdhsa_float_round_mode_16_64 0
		.amdhsa_float_denorm_mode_32 3
		.amdhsa_float_denorm_mode_16_64 3
		.amdhsa_fp16_overflow 0
		.amdhsa_memory_ordered 1
		.amdhsa_forward_progress 1
		.amdhsa_inst_pref_size 13
		.amdhsa_round_robin_scheduling 0
		.amdhsa_exception_fp_ieee_invalid_op 0
		.amdhsa_exception_fp_denorm_src 0
		.amdhsa_exception_fp_ieee_div_zero 0
		.amdhsa_exception_fp_ieee_overflow 0
		.amdhsa_exception_fp_ieee_underflow 0
		.amdhsa_exception_fp_ieee_inexact 0
		.amdhsa_exception_int_div_zero 0
	.end_amdhsa_kernel
	.section	.text._ZN9rocsparseL19gebsrmvn_4xn_kernelILj128ELj1ELj64EdEEvi20rocsparse_direction_NS_24const_host_device_scalarIT2_EEPKiS6_PKS3_S8_S4_PS3_21rocsparse_index_base_b,"axG",@progbits,_ZN9rocsparseL19gebsrmvn_4xn_kernelILj128ELj1ELj64EdEEvi20rocsparse_direction_NS_24const_host_device_scalarIT2_EEPKiS6_PKS3_S8_S4_PS3_21rocsparse_index_base_b,comdat
.Lfunc_end41:
	.size	_ZN9rocsparseL19gebsrmvn_4xn_kernelILj128ELj1ELj64EdEEvi20rocsparse_direction_NS_24const_host_device_scalarIT2_EEPKiS6_PKS3_S8_S4_PS3_21rocsparse_index_base_b, .Lfunc_end41-_ZN9rocsparseL19gebsrmvn_4xn_kernelILj128ELj1ELj64EdEEvi20rocsparse_direction_NS_24const_host_device_scalarIT2_EEPKiS6_PKS3_S8_S4_PS3_21rocsparse_index_base_b
                                        ; -- End function
	.set _ZN9rocsparseL19gebsrmvn_4xn_kernelILj128ELj1ELj64EdEEvi20rocsparse_direction_NS_24const_host_device_scalarIT2_EEPKiS6_PKS3_S8_S4_PS3_21rocsparse_index_base_b.num_vgpr, 32
	.set _ZN9rocsparseL19gebsrmvn_4xn_kernelILj128ELj1ELj64EdEEvi20rocsparse_direction_NS_24const_host_device_scalarIT2_EEPKiS6_PKS3_S8_S4_PS3_21rocsparse_index_base_b.num_agpr, 0
	.set _ZN9rocsparseL19gebsrmvn_4xn_kernelILj128ELj1ELj64EdEEvi20rocsparse_direction_NS_24const_host_device_scalarIT2_EEPKiS6_PKS3_S8_S4_PS3_21rocsparse_index_base_b.numbered_sgpr, 14
	.set _ZN9rocsparseL19gebsrmvn_4xn_kernelILj128ELj1ELj64EdEEvi20rocsparse_direction_NS_24const_host_device_scalarIT2_EEPKiS6_PKS3_S8_S4_PS3_21rocsparse_index_base_b.num_named_barrier, 0
	.set _ZN9rocsparseL19gebsrmvn_4xn_kernelILj128ELj1ELj64EdEEvi20rocsparse_direction_NS_24const_host_device_scalarIT2_EEPKiS6_PKS3_S8_S4_PS3_21rocsparse_index_base_b.private_seg_size, 0
	.set _ZN9rocsparseL19gebsrmvn_4xn_kernelILj128ELj1ELj64EdEEvi20rocsparse_direction_NS_24const_host_device_scalarIT2_EEPKiS6_PKS3_S8_S4_PS3_21rocsparse_index_base_b.uses_vcc, 1
	.set _ZN9rocsparseL19gebsrmvn_4xn_kernelILj128ELj1ELj64EdEEvi20rocsparse_direction_NS_24const_host_device_scalarIT2_EEPKiS6_PKS3_S8_S4_PS3_21rocsparse_index_base_b.uses_flat_scratch, 0
	.set _ZN9rocsparseL19gebsrmvn_4xn_kernelILj128ELj1ELj64EdEEvi20rocsparse_direction_NS_24const_host_device_scalarIT2_EEPKiS6_PKS3_S8_S4_PS3_21rocsparse_index_base_b.has_dyn_sized_stack, 0
	.set _ZN9rocsparseL19gebsrmvn_4xn_kernelILj128ELj1ELj64EdEEvi20rocsparse_direction_NS_24const_host_device_scalarIT2_EEPKiS6_PKS3_S8_S4_PS3_21rocsparse_index_base_b.has_recursion, 0
	.set _ZN9rocsparseL19gebsrmvn_4xn_kernelILj128ELj1ELj64EdEEvi20rocsparse_direction_NS_24const_host_device_scalarIT2_EEPKiS6_PKS3_S8_S4_PS3_21rocsparse_index_base_b.has_indirect_call, 0
	.section	.AMDGPU.csdata,"",@progbits
; Kernel info:
; codeLenInByte = 1652
; TotalNumSgprs: 16
; NumVgprs: 32
; ScratchSize: 0
; MemoryBound: 0
; FloatMode: 240
; IeeeMode: 1
; LDSByteSize: 0 bytes/workgroup (compile time only)
; SGPRBlocks: 0
; VGPRBlocks: 1
; NumSGPRsForWavesPerEU: 16
; NumVGPRsForWavesPerEU: 32
; NamedBarCnt: 0
; Occupancy: 16
; WaveLimiterHint : 1
; COMPUTE_PGM_RSRC2:SCRATCH_EN: 0
; COMPUTE_PGM_RSRC2:USER_SGPR: 2
; COMPUTE_PGM_RSRC2:TRAP_HANDLER: 0
; COMPUTE_PGM_RSRC2:TGID_X_EN: 1
; COMPUTE_PGM_RSRC2:TGID_Y_EN: 0
; COMPUTE_PGM_RSRC2:TGID_Z_EN: 0
; COMPUTE_PGM_RSRC2:TIDIG_COMP_CNT: 0
	.section	.text._ZN9rocsparseL19gebsrmvn_4xn_kernelILj128ELj2ELj4EdEEvi20rocsparse_direction_NS_24const_host_device_scalarIT2_EEPKiS6_PKS3_S8_S4_PS3_21rocsparse_index_base_b,"axG",@progbits,_ZN9rocsparseL19gebsrmvn_4xn_kernelILj128ELj2ELj4EdEEvi20rocsparse_direction_NS_24const_host_device_scalarIT2_EEPKiS6_PKS3_S8_S4_PS3_21rocsparse_index_base_b,comdat
	.globl	_ZN9rocsparseL19gebsrmvn_4xn_kernelILj128ELj2ELj4EdEEvi20rocsparse_direction_NS_24const_host_device_scalarIT2_EEPKiS6_PKS3_S8_S4_PS3_21rocsparse_index_base_b ; -- Begin function _ZN9rocsparseL19gebsrmvn_4xn_kernelILj128ELj2ELj4EdEEvi20rocsparse_direction_NS_24const_host_device_scalarIT2_EEPKiS6_PKS3_S8_S4_PS3_21rocsparse_index_base_b
	.p2align	8
	.type	_ZN9rocsparseL19gebsrmvn_4xn_kernelILj128ELj2ELj4EdEEvi20rocsparse_direction_NS_24const_host_device_scalarIT2_EEPKiS6_PKS3_S8_S4_PS3_21rocsparse_index_base_b,@function
_ZN9rocsparseL19gebsrmvn_4xn_kernelILj128ELj2ELj4EdEEvi20rocsparse_direction_NS_24const_host_device_scalarIT2_EEPKiS6_PKS3_S8_S4_PS3_21rocsparse_index_base_b: ; @_ZN9rocsparseL19gebsrmvn_4xn_kernelILj128ELj2ELj4EdEEvi20rocsparse_direction_NS_24const_host_device_scalarIT2_EEPKiS6_PKS3_S8_S4_PS3_21rocsparse_index_base_b
; %bb.0:
	s_clause 0x2
	s_load_b64 s[12:13], s[0:1], 0x40
	s_load_b64 s[4:5], s[0:1], 0x8
	;; [unrolled: 1-line block ×3, first 2 shown]
	s_wait_kmcnt 0x0
	s_bitcmp1_b32 s13, 0
	v_mov_b64_e32 v[2:3], s[4:5]
	s_cselect_b32 s6, -1, 0
	s_delay_alu instid0(SALU_CYCLE_1)
	s_and_b32 vcc_lo, exec_lo, s6
	s_xor_b32 s6, s6, -1
	s_cbranch_vccnz .LBB42_2
; %bb.1:
	v_mov_b32_e32 v1, 0
	flat_load_b64 v[2:3], v1, s[4:5]
.LBB42_2:
	v_mov_b64_e32 v[4:5], s[2:3]
	s_and_not1_b32 vcc_lo, exec_lo, s6
	s_cbranch_vccnz .LBB42_4
; %bb.3:
	s_wait_xcnt 0x0
	v_mov_b32_e32 v1, 0
	flat_load_b64 v[4:5], v1, s[2:3]
.LBB42_4:
	s_wait_loadcnt_dscnt 0x0
	v_cmp_neq_f64_e32 vcc_lo, 0, v[2:3]
	s_delay_alu instid0(VALU_DEP_2) | instskip(SKIP_1) | instid1(SALU_CYCLE_1)
	v_cmp_neq_f64_e64 s2, 1.0, v[4:5]
	s_or_b32 s2, vcc_lo, s2
	s_and_saveexec_b32 s3, s2
	s_cbranch_execz .LBB42_23
; %bb.5:
	s_load_b64 s[2:3], s[0:1], 0x0
	s_bfe_u32 s4, ttmp6, 0x4000c
	s_and_b32 s5, ttmp6, 15
	s_add_co_i32 s4, s4, 1
	s_getreg_b32 s6, hwreg(HW_REG_IB_STS2, 6, 4)
	s_mul_i32 s4, ttmp9, s4
	v_lshrrev_b32_e32 v1, 2, v0
	s_add_co_i32 s5, s5, s4
	s_cmp_eq_u32 s6, 0
	s_cselect_b32 s4, ttmp9, s5
	s_delay_alu instid0(VALU_DEP_1) | instid1(SALU_CYCLE_1)
	v_lshl_or_b32 v6, s4, 5, v1
	s_wait_kmcnt 0x0
	s_delay_alu instid0(VALU_DEP_1)
	v_cmp_gt_i32_e32 vcc_lo, s2, v6
	s_and_b32 exec_lo, exec_lo, vcc_lo
	s_cbranch_execz .LBB42_23
; %bb.6:
	s_load_b256 s[4:11], s[0:1], 0x10
	v_ashrrev_i32_e32 v7, 31, v6
	s_cmp_lg_u32 s3, 0
	s_wait_kmcnt 0x0
	s_delay_alu instid0(VALU_DEP_1)
	v_lshl_add_u64 v[8:9], v[6:7], 2, s[4:5]
	v_and_b32_e32 v7, 3, v0
	global_load_b64 v[8:9], v[8:9], off
	s_wait_loadcnt 0x0
	v_subrev_nc_u32_e32 v0, s12, v8
	v_subrev_nc_u32_e32 v16, s12, v9
	s_delay_alu instid0(VALU_DEP_2) | instskip(NEXT) | instid1(VALU_DEP_1)
	v_add_nc_u32_e32 v17, v0, v7
	v_cmp_lt_i32_e64 s2, v17, v16
	s_cbranch_scc0 .LBB42_12
; %bb.7:
	v_mov_b64_e32 v[0:1], 0
	v_mov_b64_e32 v[8:9], 0
	v_mov_b64_e32 v[10:11], 0
	v_mov_b64_e32 v[12:13], 0
	s_and_saveexec_b32 s3, s2
	s_cbranch_execz .LBB42_11
; %bb.8:
	v_mov_b64_e32 v[0:1], 0
	v_mov_b64_e32 v[8:9], 0
	;; [unrolled: 1-line block ×4, first 2 shown]
	v_dual_mov_b32 v15, 0 :: v_dual_lshlrev_b32 v14, 3, v17
	v_mov_b32_e32 v18, v17
	s_mov_b32 s4, 0
.LBB42_9:                               ; =>This Inner Loop Header: Depth=1
	global_load_b32 v19, v18, s[6:7] scale_offset
	v_lshl_add_u64 v[40:41], v[14:15], 3, s[8:9]
	s_wait_xcnt 0x0
	v_add_nc_u32_e32 v18, 4, v18
	v_add_nc_u32_e32 v14, 32, v14
	global_load_b128 v[20:23], v[40:41], off offset:16
	v_cmp_ge_i32_e32 vcc_lo, v18, v16
	s_or_b32 s4, vcc_lo, s4
	s_wait_loadcnt 0x1
	v_subrev_nc_u32_e32 v19, s12, v19
	s_delay_alu instid0(VALU_DEP_1) | instskip(NEXT) | instid1(VALU_DEP_1)
	v_dual_mov_b32 v25, v15 :: v_dual_lshlrev_b32 v24, 1, v19
	v_lshl_add_u64 v[42:43], v[24:25], 3, s[10:11]
	global_load_b128 v[24:27], v[40:41], off
	global_load_b128 v[28:31], v[42:43], off
	s_clause 0x1
	global_load_b128 v[32:35], v[40:41], off offset:32
	global_load_b128 v[36:39], v[40:41], off offset:48
	s_wait_loadcnt 0x2
	v_fmac_f64_e32 v[0:1], v[24:25], v[28:29]
	v_fmac_f64_e32 v[12:13], v[26:27], v[28:29]
	;; [unrolled: 1-line block ×4, first 2 shown]
	s_wait_loadcnt 0x1
	s_delay_alu instid0(VALU_DEP_4) | instskip(NEXT) | instid1(VALU_DEP_4)
	v_fmac_f64_e32 v[0:1], v[32:33], v[30:31]
	v_fmac_f64_e32 v[12:13], v[34:35], v[30:31]
	s_wait_loadcnt 0x0
	s_delay_alu instid0(VALU_DEP_4) | instskip(NEXT) | instid1(VALU_DEP_4)
	v_fmac_f64_e32 v[10:11], v[36:37], v[30:31]
	v_fmac_f64_e32 v[8:9], v[38:39], v[30:31]
	s_and_not1_b32 exec_lo, exec_lo, s4
	s_cbranch_execnz .LBB42_9
; %bb.10:
	s_or_b32 exec_lo, exec_lo, s4
.LBB42_11:
	s_delay_alu instid0(SALU_CYCLE_1)
	s_or_b32 exec_lo, exec_lo, s3
	s_cbranch_execz .LBB42_13
	s_branch .LBB42_18
.LBB42_12:
                                        ; implicit-def: $vgpr0_vgpr1
                                        ; implicit-def: $vgpr8_vgpr9
                                        ; implicit-def: $vgpr10_vgpr11
                                        ; implicit-def: $vgpr12_vgpr13
.LBB42_13:
	v_mov_b64_e32 v[0:1], 0
	v_mov_b64_e32 v[8:9], 0
	;; [unrolled: 1-line block ×4, first 2 shown]
	s_and_saveexec_b32 s3, s2
	s_cbranch_execz .LBB42_17
; %bb.14:
	v_mov_b64_e32 v[0:1], 0
	v_mov_b64_e32 v[8:9], 0
	;; [unrolled: 1-line block ×4, first 2 shown]
	v_dual_mov_b32 v15, 0 :: v_dual_lshlrev_b32 v14, 3, v17
	s_mov_b32 s2, 0
.LBB42_15:                              ; =>This Inner Loop Header: Depth=1
	global_load_b32 v22, v17, s[6:7] scale_offset
	v_lshl_add_u64 v[38:39], v[14:15], 3, s[8:9]
	s_wait_xcnt 0x0
	v_dual_add_nc_u32 v17, 4, v17 :: v_dual_add_nc_u32 v14, 32, v14
	global_load_b128 v[18:21], v[38:39], off offset:48
	v_cmp_ge_i32_e32 vcc_lo, v17, v16
	s_or_b32 s2, vcc_lo, s2
	s_wait_loadcnt 0x1
	v_subrev_nc_u32_e32 v26, s12, v22
	v_mov_b32_e32 v31, v15
	global_load_b128 v[22:25], v[38:39], off offset:32
	v_lshlrev_b32_e32 v30, 1, v26
	global_load_b128 v[26:29], v[38:39], off offset:16
	v_lshl_add_u64 v[40:41], v[30:31], 3, s[10:11]
	global_load_b128 v[30:33], v[38:39], off
	global_load_b128 v[34:37], v[40:41], off
	s_wait_loadcnt 0x0
	v_fmac_f64_e32 v[0:1], v[30:31], v[34:35]
	v_fmac_f64_e32 v[12:13], v[26:27], v[34:35]
	;; [unrolled: 1-line block ×4, first 2 shown]
	s_delay_alu instid0(VALU_DEP_4) | instskip(NEXT) | instid1(VALU_DEP_4)
	v_fmac_f64_e32 v[0:1], v[32:33], v[36:37]
	v_fmac_f64_e32 v[12:13], v[28:29], v[36:37]
	s_delay_alu instid0(VALU_DEP_4) | instskip(NEXT) | instid1(VALU_DEP_4)
	v_fmac_f64_e32 v[10:11], v[24:25], v[36:37]
	v_fmac_f64_e32 v[8:9], v[20:21], v[36:37]
	s_and_not1_b32 exec_lo, exec_lo, s2
	s_cbranch_execnz .LBB42_15
; %bb.16:
	s_or_b32 exec_lo, exec_lo, s2
.LBB42_17:
	s_delay_alu instid0(SALU_CYCLE_1)
	s_or_b32 exec_lo, exec_lo, s3
.LBB42_18:
	v_mbcnt_lo_u32_b32 v24, -1, 0
	s_delay_alu instid0(VALU_DEP_1) | instskip(NEXT) | instid1(VALU_DEP_1)
	v_xor_b32_e32 v14, 2, v24
	v_cmp_gt_i32_e32 vcc_lo, 32, v14
	v_cndmask_b32_e32 v14, v24, v14, vcc_lo
	s_delay_alu instid0(VALU_DEP_1)
	v_lshlrev_b32_e32 v16, 2, v14
	ds_bpermute_b32 v14, v16, v0
	ds_bpermute_b32 v15, v16, v1
	ds_bpermute_b32 v18, v16, v12
	ds_bpermute_b32 v19, v16, v13
	ds_bpermute_b32 v20, v16, v10
	ds_bpermute_b32 v21, v16, v11
	ds_bpermute_b32 v22, v16, v8
	ds_bpermute_b32 v23, v16, v9
	s_wait_dscnt 0x6
	v_add_f64_e32 v[16:17], v[0:1], v[14:15]
	s_wait_dscnt 0x4
	v_add_f64_e32 v[14:15], v[12:13], v[18:19]
	s_wait_dscnt 0x2
	v_add_f64_e32 v[0:1], v[10:11], v[20:21]
	s_wait_dscnt 0x0
	v_dual_add_f64 v[8:9], v[8:9], v[22:23] :: v_dual_bitop2_b32 v10, 1, v24 bitop3:0x14
	s_delay_alu instid0(VALU_DEP_1) | instskip(SKIP_2) | instid1(VALU_DEP_2)
	v_cmp_gt_i32_e32 vcc_lo, 32, v10
	v_cndmask_b32_e32 v10, v24, v10, vcc_lo
	v_cmp_eq_u32_e32 vcc_lo, 3, v7
	v_lshlrev_b32_e32 v19, 2, v10
	ds_bpermute_b32 v12, v19, v16
	ds_bpermute_b32 v13, v19, v17
	ds_bpermute_b32 v10, v19, v14
	ds_bpermute_b32 v11, v19, v15
	ds_bpermute_b32 v20, v19, v0
	ds_bpermute_b32 v21, v19, v1
	ds_bpermute_b32 v18, v19, v8
	ds_bpermute_b32 v19, v19, v9
	s_and_b32 exec_lo, exec_lo, vcc_lo
	s_cbranch_execz .LBB42_23
; %bb.19:
	s_wait_dscnt 0x6
	v_add_f64_e32 v[12:13], v[16:17], v[12:13]
	s_wait_dscnt 0x4
	v_add_f64_e32 v[10:11], v[14:15], v[10:11]
	;; [unrolled: 2-line block ×4, first 2 shown]
	s_load_b64 s[0:1], s[0:1], 0x38
	s_mov_b32 s2, exec_lo
	v_cmpx_eq_f64_e32 0, v[4:5]
	s_xor_b32 s2, exec_lo, s2
	s_cbranch_execz .LBB42_21
; %bb.20:
	v_dual_mul_f64 v[12:13], v[2:3], v[12:13] :: v_dual_lshlrev_b32 v4, 2, v6
	v_mul_f64_e32 v[14:15], v[2:3], v[10:11]
	v_mul_f64_e32 v[0:1], v[2:3], v[0:1]
	;; [unrolled: 1-line block ×3, first 2 shown]
                                        ; implicit-def: $vgpr6
                                        ; implicit-def: $vgpr10_vgpr11
                                        ; implicit-def: $vgpr8_vgpr9
	s_delay_alu instid0(VALU_DEP_4) | instskip(SKIP_1) | instid1(VALU_DEP_1)
	v_ashrrev_i32_e32 v5, 31, v4
	s_wait_kmcnt 0x0
	v_lshl_add_u64 v[4:5], v[4:5], 3, s[0:1]
	s_clause 0x1
	global_store_b128 v[4:5], v[12:15], off
	global_store_b128 v[4:5], v[0:3], off offset:16
                                        ; implicit-def: $vgpr2_vgpr3
                                        ; implicit-def: $vgpr12_vgpr13
                                        ; implicit-def: $vgpr4_vgpr5
                                        ; implicit-def: $vgpr0_vgpr1
.LBB42_21:
	s_wait_xcnt 0x0
	s_and_not1_saveexec_b32 s2, s2
	s_cbranch_execz .LBB42_23
; %bb.22:
	v_dual_mul_f64 v[22:23], v[2:3], v[12:13] :: v_dual_lshlrev_b32 v6, 2, v6
	v_mul_f64_e32 v[24:25], v[2:3], v[10:11]
	v_mul_f64_e32 v[0:1], v[2:3], v[0:1]
	s_delay_alu instid0(VALU_DEP_3) | instskip(SKIP_1) | instid1(VALU_DEP_1)
	v_dual_mul_f64 v[2:3], v[2:3], v[8:9] :: v_dual_ashrrev_i32 v7, 31, v6
	s_wait_kmcnt 0x0
	v_lshl_add_u64 v[6:7], v[6:7], 3, s[0:1]
	s_clause 0x1
	global_load_b128 v[14:17], v[6:7], off
	global_load_b128 v[18:21], v[6:7], off offset:16
	s_wait_loadcnt 0x1
	v_fmac_f64_e32 v[22:23], v[4:5], v[14:15]
	v_fmac_f64_e32 v[24:25], v[4:5], v[16:17]
	s_wait_loadcnt 0x0
	v_fmac_f64_e32 v[0:1], v[4:5], v[18:19]
	v_fmac_f64_e32 v[2:3], v[4:5], v[20:21]
	s_clause 0x1
	global_store_b128 v[6:7], v[22:25], off
	global_store_b128 v[6:7], v[0:3], off offset:16
.LBB42_23:
	s_endpgm
	.section	.rodata,"a",@progbits
	.p2align	6, 0x0
	.amdhsa_kernel _ZN9rocsparseL19gebsrmvn_4xn_kernelILj128ELj2ELj4EdEEvi20rocsparse_direction_NS_24const_host_device_scalarIT2_EEPKiS6_PKS3_S8_S4_PS3_21rocsparse_index_base_b
		.amdhsa_group_segment_fixed_size 0
		.amdhsa_private_segment_fixed_size 0
		.amdhsa_kernarg_size 72
		.amdhsa_user_sgpr_count 2
		.amdhsa_user_sgpr_dispatch_ptr 0
		.amdhsa_user_sgpr_queue_ptr 0
		.amdhsa_user_sgpr_kernarg_segment_ptr 1
		.amdhsa_user_sgpr_dispatch_id 0
		.amdhsa_user_sgpr_kernarg_preload_length 0
		.amdhsa_user_sgpr_kernarg_preload_offset 0
		.amdhsa_user_sgpr_private_segment_size 0
		.amdhsa_wavefront_size32 1
		.amdhsa_uses_dynamic_stack 0
		.amdhsa_enable_private_segment 0
		.amdhsa_system_sgpr_workgroup_id_x 1
		.amdhsa_system_sgpr_workgroup_id_y 0
		.amdhsa_system_sgpr_workgroup_id_z 0
		.amdhsa_system_sgpr_workgroup_info 0
		.amdhsa_system_vgpr_workitem_id 0
		.amdhsa_next_free_vgpr 44
		.amdhsa_next_free_sgpr 14
		.amdhsa_named_barrier_count 0
		.amdhsa_reserve_vcc 1
		.amdhsa_float_round_mode_32 0
		.amdhsa_float_round_mode_16_64 0
		.amdhsa_float_denorm_mode_32 3
		.amdhsa_float_denorm_mode_16_64 3
		.amdhsa_fp16_overflow 0
		.amdhsa_memory_ordered 1
		.amdhsa_forward_progress 1
		.amdhsa_inst_pref_size 11
		.amdhsa_round_robin_scheduling 0
		.amdhsa_exception_fp_ieee_invalid_op 0
		.amdhsa_exception_fp_denorm_src 0
		.amdhsa_exception_fp_ieee_div_zero 0
		.amdhsa_exception_fp_ieee_overflow 0
		.amdhsa_exception_fp_ieee_underflow 0
		.amdhsa_exception_fp_ieee_inexact 0
		.amdhsa_exception_int_div_zero 0
	.end_amdhsa_kernel
	.section	.text._ZN9rocsparseL19gebsrmvn_4xn_kernelILj128ELj2ELj4EdEEvi20rocsparse_direction_NS_24const_host_device_scalarIT2_EEPKiS6_PKS3_S8_S4_PS3_21rocsparse_index_base_b,"axG",@progbits,_ZN9rocsparseL19gebsrmvn_4xn_kernelILj128ELj2ELj4EdEEvi20rocsparse_direction_NS_24const_host_device_scalarIT2_EEPKiS6_PKS3_S8_S4_PS3_21rocsparse_index_base_b,comdat
.Lfunc_end42:
	.size	_ZN9rocsparseL19gebsrmvn_4xn_kernelILj128ELj2ELj4EdEEvi20rocsparse_direction_NS_24const_host_device_scalarIT2_EEPKiS6_PKS3_S8_S4_PS3_21rocsparse_index_base_b, .Lfunc_end42-_ZN9rocsparseL19gebsrmvn_4xn_kernelILj128ELj2ELj4EdEEvi20rocsparse_direction_NS_24const_host_device_scalarIT2_EEPKiS6_PKS3_S8_S4_PS3_21rocsparse_index_base_b
                                        ; -- End function
	.set _ZN9rocsparseL19gebsrmvn_4xn_kernelILj128ELj2ELj4EdEEvi20rocsparse_direction_NS_24const_host_device_scalarIT2_EEPKiS6_PKS3_S8_S4_PS3_21rocsparse_index_base_b.num_vgpr, 44
	.set _ZN9rocsparseL19gebsrmvn_4xn_kernelILj128ELj2ELj4EdEEvi20rocsparse_direction_NS_24const_host_device_scalarIT2_EEPKiS6_PKS3_S8_S4_PS3_21rocsparse_index_base_b.num_agpr, 0
	.set _ZN9rocsparseL19gebsrmvn_4xn_kernelILj128ELj2ELj4EdEEvi20rocsparse_direction_NS_24const_host_device_scalarIT2_EEPKiS6_PKS3_S8_S4_PS3_21rocsparse_index_base_b.numbered_sgpr, 14
	.set _ZN9rocsparseL19gebsrmvn_4xn_kernelILj128ELj2ELj4EdEEvi20rocsparse_direction_NS_24const_host_device_scalarIT2_EEPKiS6_PKS3_S8_S4_PS3_21rocsparse_index_base_b.num_named_barrier, 0
	.set _ZN9rocsparseL19gebsrmvn_4xn_kernelILj128ELj2ELj4EdEEvi20rocsparse_direction_NS_24const_host_device_scalarIT2_EEPKiS6_PKS3_S8_S4_PS3_21rocsparse_index_base_b.private_seg_size, 0
	.set _ZN9rocsparseL19gebsrmvn_4xn_kernelILj128ELj2ELj4EdEEvi20rocsparse_direction_NS_24const_host_device_scalarIT2_EEPKiS6_PKS3_S8_S4_PS3_21rocsparse_index_base_b.uses_vcc, 1
	.set _ZN9rocsparseL19gebsrmvn_4xn_kernelILj128ELj2ELj4EdEEvi20rocsparse_direction_NS_24const_host_device_scalarIT2_EEPKiS6_PKS3_S8_S4_PS3_21rocsparse_index_base_b.uses_flat_scratch, 0
	.set _ZN9rocsparseL19gebsrmvn_4xn_kernelILj128ELj2ELj4EdEEvi20rocsparse_direction_NS_24const_host_device_scalarIT2_EEPKiS6_PKS3_S8_S4_PS3_21rocsparse_index_base_b.has_dyn_sized_stack, 0
	.set _ZN9rocsparseL19gebsrmvn_4xn_kernelILj128ELj2ELj4EdEEvi20rocsparse_direction_NS_24const_host_device_scalarIT2_EEPKiS6_PKS3_S8_S4_PS3_21rocsparse_index_base_b.has_recursion, 0
	.set _ZN9rocsparseL19gebsrmvn_4xn_kernelILj128ELj2ELj4EdEEvi20rocsparse_direction_NS_24const_host_device_scalarIT2_EEPKiS6_PKS3_S8_S4_PS3_21rocsparse_index_base_b.has_indirect_call, 0
	.section	.AMDGPU.csdata,"",@progbits
; Kernel info:
; codeLenInByte = 1312
; TotalNumSgprs: 16
; NumVgprs: 44
; ScratchSize: 0
; MemoryBound: 0
; FloatMode: 240
; IeeeMode: 1
; LDSByteSize: 0 bytes/workgroup (compile time only)
; SGPRBlocks: 0
; VGPRBlocks: 2
; NumSGPRsForWavesPerEU: 16
; NumVGPRsForWavesPerEU: 44
; NamedBarCnt: 0
; Occupancy: 16
; WaveLimiterHint : 1
; COMPUTE_PGM_RSRC2:SCRATCH_EN: 0
; COMPUTE_PGM_RSRC2:USER_SGPR: 2
; COMPUTE_PGM_RSRC2:TRAP_HANDLER: 0
; COMPUTE_PGM_RSRC2:TGID_X_EN: 1
; COMPUTE_PGM_RSRC2:TGID_Y_EN: 0
; COMPUTE_PGM_RSRC2:TGID_Z_EN: 0
; COMPUTE_PGM_RSRC2:TIDIG_COMP_CNT: 0
	.section	.text._ZN9rocsparseL19gebsrmvn_4xn_kernelILj128ELj2ELj8EdEEvi20rocsparse_direction_NS_24const_host_device_scalarIT2_EEPKiS6_PKS3_S8_S4_PS3_21rocsparse_index_base_b,"axG",@progbits,_ZN9rocsparseL19gebsrmvn_4xn_kernelILj128ELj2ELj8EdEEvi20rocsparse_direction_NS_24const_host_device_scalarIT2_EEPKiS6_PKS3_S8_S4_PS3_21rocsparse_index_base_b,comdat
	.globl	_ZN9rocsparseL19gebsrmvn_4xn_kernelILj128ELj2ELj8EdEEvi20rocsparse_direction_NS_24const_host_device_scalarIT2_EEPKiS6_PKS3_S8_S4_PS3_21rocsparse_index_base_b ; -- Begin function _ZN9rocsparseL19gebsrmvn_4xn_kernelILj128ELj2ELj8EdEEvi20rocsparse_direction_NS_24const_host_device_scalarIT2_EEPKiS6_PKS3_S8_S4_PS3_21rocsparse_index_base_b
	.p2align	8
	.type	_ZN9rocsparseL19gebsrmvn_4xn_kernelILj128ELj2ELj8EdEEvi20rocsparse_direction_NS_24const_host_device_scalarIT2_EEPKiS6_PKS3_S8_S4_PS3_21rocsparse_index_base_b,@function
_ZN9rocsparseL19gebsrmvn_4xn_kernelILj128ELj2ELj8EdEEvi20rocsparse_direction_NS_24const_host_device_scalarIT2_EEPKiS6_PKS3_S8_S4_PS3_21rocsparse_index_base_b: ; @_ZN9rocsparseL19gebsrmvn_4xn_kernelILj128ELj2ELj8EdEEvi20rocsparse_direction_NS_24const_host_device_scalarIT2_EEPKiS6_PKS3_S8_S4_PS3_21rocsparse_index_base_b
; %bb.0:
	s_clause 0x2
	s_load_b64 s[12:13], s[0:1], 0x40
	s_load_b64 s[4:5], s[0:1], 0x8
	;; [unrolled: 1-line block ×3, first 2 shown]
	s_wait_kmcnt 0x0
	s_bitcmp1_b32 s13, 0
	v_mov_b64_e32 v[2:3], s[4:5]
	s_cselect_b32 s6, -1, 0
	s_delay_alu instid0(SALU_CYCLE_1)
	s_and_b32 vcc_lo, exec_lo, s6
	s_xor_b32 s6, s6, -1
	s_cbranch_vccnz .LBB43_2
; %bb.1:
	v_mov_b32_e32 v1, 0
	flat_load_b64 v[2:3], v1, s[4:5]
.LBB43_2:
	v_mov_b64_e32 v[4:5], s[2:3]
	s_and_not1_b32 vcc_lo, exec_lo, s6
	s_cbranch_vccnz .LBB43_4
; %bb.3:
	s_wait_xcnt 0x0
	v_mov_b32_e32 v1, 0
	flat_load_b64 v[4:5], v1, s[2:3]
.LBB43_4:
	s_wait_loadcnt_dscnt 0x0
	v_cmp_neq_f64_e32 vcc_lo, 0, v[2:3]
	s_delay_alu instid0(VALU_DEP_2) | instskip(SKIP_1) | instid1(SALU_CYCLE_1)
	v_cmp_neq_f64_e64 s2, 1.0, v[4:5]
	s_or_b32 s2, vcc_lo, s2
	s_and_saveexec_b32 s3, s2
	s_cbranch_execz .LBB43_23
; %bb.5:
	s_load_b64 s[2:3], s[0:1], 0x0
	s_bfe_u32 s4, ttmp6, 0x4000c
	s_and_b32 s5, ttmp6, 15
	s_add_co_i32 s4, s4, 1
	s_getreg_b32 s6, hwreg(HW_REG_IB_STS2, 6, 4)
	s_mul_i32 s4, ttmp9, s4
	v_lshrrev_b32_e32 v1, 3, v0
	s_add_co_i32 s5, s5, s4
	s_cmp_eq_u32 s6, 0
	s_cselect_b32 s4, ttmp9, s5
	s_delay_alu instid0(VALU_DEP_1) | instid1(SALU_CYCLE_1)
	v_lshl_or_b32 v6, s4, 4, v1
	s_wait_kmcnt 0x0
	s_delay_alu instid0(VALU_DEP_1)
	v_cmp_gt_i32_e32 vcc_lo, s2, v6
	s_and_b32 exec_lo, exec_lo, vcc_lo
	s_cbranch_execz .LBB43_23
; %bb.6:
	s_load_b256 s[4:11], s[0:1], 0x10
	v_ashrrev_i32_e32 v7, 31, v6
	s_cmp_lg_u32 s3, 0
	s_wait_kmcnt 0x0
	s_delay_alu instid0(VALU_DEP_1)
	v_lshl_add_u64 v[8:9], v[6:7], 2, s[4:5]
	v_and_b32_e32 v7, 7, v0
	global_load_b64 v[8:9], v[8:9], off
	s_wait_loadcnt 0x0
	v_subrev_nc_u32_e32 v0, s12, v8
	v_subrev_nc_u32_e32 v16, s12, v9
	s_delay_alu instid0(VALU_DEP_2) | instskip(NEXT) | instid1(VALU_DEP_1)
	v_add_nc_u32_e32 v17, v0, v7
	v_cmp_lt_i32_e64 s2, v17, v16
	s_cbranch_scc0 .LBB43_12
; %bb.7:
	v_mov_b64_e32 v[0:1], 0
	v_mov_b64_e32 v[8:9], 0
	;; [unrolled: 1-line block ×4, first 2 shown]
	s_and_saveexec_b32 s3, s2
	s_cbranch_execz .LBB43_11
; %bb.8:
	v_mov_b64_e32 v[0:1], 0
	v_mov_b64_e32 v[8:9], 0
	;; [unrolled: 1-line block ×4, first 2 shown]
	v_dual_mov_b32 v15, 0 :: v_dual_lshlrev_b32 v14, 3, v17
	v_mov_b32_e32 v18, v17
	s_mov_b32 s4, 0
.LBB43_9:                               ; =>This Inner Loop Header: Depth=1
	global_load_b32 v19, v18, s[6:7] scale_offset
	v_lshl_add_u64 v[40:41], v[14:15], 3, s[8:9]
	s_wait_xcnt 0x0
	v_add_nc_u32_e32 v18, 8, v18
	v_add_nc_u32_e32 v14, 64, v14
	global_load_b128 v[20:23], v[40:41], off offset:16
	v_cmp_ge_i32_e32 vcc_lo, v18, v16
	s_or_b32 s4, vcc_lo, s4
	s_wait_loadcnt 0x1
	v_subrev_nc_u32_e32 v19, s12, v19
	s_delay_alu instid0(VALU_DEP_1) | instskip(NEXT) | instid1(VALU_DEP_1)
	v_dual_mov_b32 v25, v15 :: v_dual_lshlrev_b32 v24, 1, v19
	v_lshl_add_u64 v[42:43], v[24:25], 3, s[10:11]
	global_load_b128 v[24:27], v[40:41], off
	global_load_b128 v[28:31], v[42:43], off
	s_clause 0x1
	global_load_b128 v[32:35], v[40:41], off offset:32
	global_load_b128 v[36:39], v[40:41], off offset:48
	s_wait_loadcnt 0x2
	v_fmac_f64_e32 v[0:1], v[24:25], v[28:29]
	v_fmac_f64_e32 v[12:13], v[26:27], v[28:29]
	;; [unrolled: 1-line block ×4, first 2 shown]
	s_wait_loadcnt 0x1
	s_delay_alu instid0(VALU_DEP_4) | instskip(NEXT) | instid1(VALU_DEP_4)
	v_fmac_f64_e32 v[0:1], v[32:33], v[30:31]
	v_fmac_f64_e32 v[12:13], v[34:35], v[30:31]
	s_wait_loadcnt 0x0
	s_delay_alu instid0(VALU_DEP_4) | instskip(NEXT) | instid1(VALU_DEP_4)
	v_fmac_f64_e32 v[10:11], v[36:37], v[30:31]
	v_fmac_f64_e32 v[8:9], v[38:39], v[30:31]
	s_and_not1_b32 exec_lo, exec_lo, s4
	s_cbranch_execnz .LBB43_9
; %bb.10:
	s_or_b32 exec_lo, exec_lo, s4
.LBB43_11:
	s_delay_alu instid0(SALU_CYCLE_1)
	s_or_b32 exec_lo, exec_lo, s3
	s_cbranch_execz .LBB43_13
	s_branch .LBB43_18
.LBB43_12:
                                        ; implicit-def: $vgpr0_vgpr1
                                        ; implicit-def: $vgpr8_vgpr9
                                        ; implicit-def: $vgpr10_vgpr11
                                        ; implicit-def: $vgpr12_vgpr13
.LBB43_13:
	v_mov_b64_e32 v[0:1], 0
	v_mov_b64_e32 v[8:9], 0
	;; [unrolled: 1-line block ×4, first 2 shown]
	s_and_saveexec_b32 s3, s2
	s_cbranch_execz .LBB43_17
; %bb.14:
	v_mov_b64_e32 v[0:1], 0
	v_mov_b64_e32 v[8:9], 0
	;; [unrolled: 1-line block ×4, first 2 shown]
	v_dual_mov_b32 v15, 0 :: v_dual_lshlrev_b32 v14, 3, v17
	s_mov_b32 s2, 0
.LBB43_15:                              ; =>This Inner Loop Header: Depth=1
	global_load_b32 v22, v17, s[6:7] scale_offset
	v_lshl_add_u64 v[38:39], v[14:15], 3, s[8:9]
	s_wait_xcnt 0x0
	v_dual_add_nc_u32 v17, 8, v17 :: v_dual_add_nc_u32 v14, 64, v14
	global_load_b128 v[18:21], v[38:39], off offset:48
	v_cmp_ge_i32_e32 vcc_lo, v17, v16
	s_or_b32 s2, vcc_lo, s2
	s_wait_loadcnt 0x1
	v_subrev_nc_u32_e32 v26, s12, v22
	v_mov_b32_e32 v31, v15
	global_load_b128 v[22:25], v[38:39], off offset:32
	v_lshlrev_b32_e32 v30, 1, v26
	global_load_b128 v[26:29], v[38:39], off offset:16
	v_lshl_add_u64 v[40:41], v[30:31], 3, s[10:11]
	global_load_b128 v[30:33], v[38:39], off
	global_load_b128 v[34:37], v[40:41], off
	s_wait_loadcnt 0x0
	v_fmac_f64_e32 v[0:1], v[30:31], v[34:35]
	v_fmac_f64_e32 v[12:13], v[26:27], v[34:35]
	;; [unrolled: 1-line block ×4, first 2 shown]
	s_delay_alu instid0(VALU_DEP_4) | instskip(NEXT) | instid1(VALU_DEP_4)
	v_fmac_f64_e32 v[0:1], v[32:33], v[36:37]
	v_fmac_f64_e32 v[12:13], v[28:29], v[36:37]
	s_delay_alu instid0(VALU_DEP_4) | instskip(NEXT) | instid1(VALU_DEP_4)
	v_fmac_f64_e32 v[10:11], v[24:25], v[36:37]
	v_fmac_f64_e32 v[8:9], v[20:21], v[36:37]
	s_and_not1_b32 exec_lo, exec_lo, s2
	s_cbranch_execnz .LBB43_15
; %bb.16:
	s_or_b32 exec_lo, exec_lo, s2
.LBB43_17:
	s_delay_alu instid0(SALU_CYCLE_1)
	s_or_b32 exec_lo, exec_lo, s3
.LBB43_18:
	v_mbcnt_lo_u32_b32 v24, -1, 0
	s_delay_alu instid0(VALU_DEP_1) | instskip(NEXT) | instid1(VALU_DEP_1)
	v_xor_b32_e32 v14, 4, v24
	v_cmp_gt_i32_e32 vcc_lo, 32, v14
	v_cndmask_b32_e32 v14, v24, v14, vcc_lo
	s_delay_alu instid0(VALU_DEP_1)
	v_lshlrev_b32_e32 v21, 2, v14
	ds_bpermute_b32 v14, v21, v0
	ds_bpermute_b32 v15, v21, v1
	;; [unrolled: 1-line block ×4, first 2 shown]
	s_wait_dscnt 0x2
	v_add_f64_e32 v[0:1], v[0:1], v[14:15]
	s_wait_dscnt 0x0
	v_add_f64_e32 v[14:15], v[12:13], v[16:17]
	ds_bpermute_b32 v18, v21, v10
	ds_bpermute_b32 v19, v21, v11
	;; [unrolled: 1-line block ×4, first 2 shown]
	s_wait_dscnt 0x2
	v_dual_add_f64 v[16:17], v[10:11], v[18:19] :: v_dual_bitop2_b32 v10, 2, v24 bitop3:0x14
	s_delay_alu instid0(VALU_DEP_1) | instskip(SKIP_2) | instid1(VALU_DEP_1)
	v_cmp_gt_i32_e32 vcc_lo, 32, v10
	v_cndmask_b32_e32 v10, v24, v10, vcc_lo
	s_wait_dscnt 0x0
	v_dual_add_f64 v[8:9], v[8:9], v[20:21] :: v_dual_lshlrev_b32 v12, 2, v10
	ds_bpermute_b32 v10, v12, v0
	ds_bpermute_b32 v11, v12, v1
	;; [unrolled: 1-line block ×8, first 2 shown]
	s_wait_dscnt 0x6
	v_add_f64_e32 v[12:13], v[0:1], v[10:11]
	s_wait_dscnt 0x4
	v_dual_add_f64 v[10:11], v[14:15], v[18:19] :: v_dual_bitop2_b32 v14, 1, v24 bitop3:0x14
	s_delay_alu instid0(VALU_DEP_1) | instskip(SKIP_4) | instid1(VALU_DEP_3)
	v_cmp_gt_i32_e32 vcc_lo, 32, v14
	v_cndmask_b32_e32 v14, v24, v14, vcc_lo
	s_wait_dscnt 0x2
	v_add_f64_e32 v[0:1], v[16:17], v[20:21]
	v_cmp_eq_u32_e32 vcc_lo, 7, v7
	v_lshlrev_b32_e32 v15, 2, v14
	s_wait_dscnt 0x0
	v_add_f64_e32 v[8:9], v[8:9], v[22:23]
	ds_bpermute_b32 v20, v15, v12
	ds_bpermute_b32 v21, v15, v13
	;; [unrolled: 1-line block ×8, first 2 shown]
	s_and_b32 exec_lo, exec_lo, vcc_lo
	s_cbranch_execz .LBB43_23
; %bb.19:
	s_wait_dscnt 0x6
	v_add_f64_e32 v[12:13], v[12:13], v[20:21]
	s_wait_dscnt 0x4
	v_add_f64_e32 v[10:11], v[10:11], v[18:19]
	;; [unrolled: 2-line block ×4, first 2 shown]
	s_load_b64 s[0:1], s[0:1], 0x38
	s_mov_b32 s2, exec_lo
	v_cmpx_eq_f64_e32 0, v[4:5]
	s_xor_b32 s2, exec_lo, s2
	s_cbranch_execz .LBB43_21
; %bb.20:
	v_dual_mul_f64 v[12:13], v[2:3], v[12:13] :: v_dual_lshlrev_b32 v4, 2, v6
	v_mul_f64_e32 v[14:15], v[2:3], v[10:11]
	v_mul_f64_e32 v[0:1], v[2:3], v[0:1]
	;; [unrolled: 1-line block ×3, first 2 shown]
                                        ; implicit-def: $vgpr6
                                        ; implicit-def: $vgpr10_vgpr11
                                        ; implicit-def: $vgpr8_vgpr9
	s_delay_alu instid0(VALU_DEP_4) | instskip(SKIP_1) | instid1(VALU_DEP_1)
	v_ashrrev_i32_e32 v5, 31, v4
	s_wait_kmcnt 0x0
	v_lshl_add_u64 v[4:5], v[4:5], 3, s[0:1]
	s_clause 0x1
	global_store_b128 v[4:5], v[12:15], off
	global_store_b128 v[4:5], v[0:3], off offset:16
                                        ; implicit-def: $vgpr2_vgpr3
                                        ; implicit-def: $vgpr12_vgpr13
                                        ; implicit-def: $vgpr4_vgpr5
                                        ; implicit-def: $vgpr0_vgpr1
.LBB43_21:
	s_wait_xcnt 0x0
	s_and_not1_saveexec_b32 s2, s2
	s_cbranch_execz .LBB43_23
; %bb.22:
	v_dual_mul_f64 v[22:23], v[2:3], v[12:13] :: v_dual_lshlrev_b32 v6, 2, v6
	v_mul_f64_e32 v[24:25], v[2:3], v[10:11]
	v_mul_f64_e32 v[0:1], v[2:3], v[0:1]
	s_delay_alu instid0(VALU_DEP_3) | instskip(SKIP_1) | instid1(VALU_DEP_1)
	v_dual_mul_f64 v[2:3], v[2:3], v[8:9] :: v_dual_ashrrev_i32 v7, 31, v6
	s_wait_kmcnt 0x0
	v_lshl_add_u64 v[6:7], v[6:7], 3, s[0:1]
	s_clause 0x1
	global_load_b128 v[14:17], v[6:7], off
	global_load_b128 v[18:21], v[6:7], off offset:16
	s_wait_loadcnt 0x1
	v_fmac_f64_e32 v[22:23], v[4:5], v[14:15]
	v_fmac_f64_e32 v[24:25], v[4:5], v[16:17]
	s_wait_loadcnt 0x0
	v_fmac_f64_e32 v[0:1], v[4:5], v[18:19]
	v_fmac_f64_e32 v[2:3], v[4:5], v[20:21]
	s_clause 0x1
	global_store_b128 v[6:7], v[22:25], off
	global_store_b128 v[6:7], v[0:3], off offset:16
.LBB43_23:
	s_endpgm
	.section	.rodata,"a",@progbits
	.p2align	6, 0x0
	.amdhsa_kernel _ZN9rocsparseL19gebsrmvn_4xn_kernelILj128ELj2ELj8EdEEvi20rocsparse_direction_NS_24const_host_device_scalarIT2_EEPKiS6_PKS3_S8_S4_PS3_21rocsparse_index_base_b
		.amdhsa_group_segment_fixed_size 0
		.amdhsa_private_segment_fixed_size 0
		.amdhsa_kernarg_size 72
		.amdhsa_user_sgpr_count 2
		.amdhsa_user_sgpr_dispatch_ptr 0
		.amdhsa_user_sgpr_queue_ptr 0
		.amdhsa_user_sgpr_kernarg_segment_ptr 1
		.amdhsa_user_sgpr_dispatch_id 0
		.amdhsa_user_sgpr_kernarg_preload_length 0
		.amdhsa_user_sgpr_kernarg_preload_offset 0
		.amdhsa_user_sgpr_private_segment_size 0
		.amdhsa_wavefront_size32 1
		.amdhsa_uses_dynamic_stack 0
		.amdhsa_enable_private_segment 0
		.amdhsa_system_sgpr_workgroup_id_x 1
		.amdhsa_system_sgpr_workgroup_id_y 0
		.amdhsa_system_sgpr_workgroup_id_z 0
		.amdhsa_system_sgpr_workgroup_info 0
		.amdhsa_system_vgpr_workitem_id 0
		.amdhsa_next_free_vgpr 44
		.amdhsa_next_free_sgpr 14
		.amdhsa_named_barrier_count 0
		.amdhsa_reserve_vcc 1
		.amdhsa_float_round_mode_32 0
		.amdhsa_float_round_mode_16_64 0
		.amdhsa_float_denorm_mode_32 3
		.amdhsa_float_denorm_mode_16_64 3
		.amdhsa_fp16_overflow 0
		.amdhsa_memory_ordered 1
		.amdhsa_forward_progress 1
		.amdhsa_inst_pref_size 12
		.amdhsa_round_robin_scheduling 0
		.amdhsa_exception_fp_ieee_invalid_op 0
		.amdhsa_exception_fp_denorm_src 0
		.amdhsa_exception_fp_ieee_div_zero 0
		.amdhsa_exception_fp_ieee_overflow 0
		.amdhsa_exception_fp_ieee_underflow 0
		.amdhsa_exception_fp_ieee_inexact 0
		.amdhsa_exception_int_div_zero 0
	.end_amdhsa_kernel
	.section	.text._ZN9rocsparseL19gebsrmvn_4xn_kernelILj128ELj2ELj8EdEEvi20rocsparse_direction_NS_24const_host_device_scalarIT2_EEPKiS6_PKS3_S8_S4_PS3_21rocsparse_index_base_b,"axG",@progbits,_ZN9rocsparseL19gebsrmvn_4xn_kernelILj128ELj2ELj8EdEEvi20rocsparse_direction_NS_24const_host_device_scalarIT2_EEPKiS6_PKS3_S8_S4_PS3_21rocsparse_index_base_b,comdat
.Lfunc_end43:
	.size	_ZN9rocsparseL19gebsrmvn_4xn_kernelILj128ELj2ELj8EdEEvi20rocsparse_direction_NS_24const_host_device_scalarIT2_EEPKiS6_PKS3_S8_S4_PS3_21rocsparse_index_base_b, .Lfunc_end43-_ZN9rocsparseL19gebsrmvn_4xn_kernelILj128ELj2ELj8EdEEvi20rocsparse_direction_NS_24const_host_device_scalarIT2_EEPKiS6_PKS3_S8_S4_PS3_21rocsparse_index_base_b
                                        ; -- End function
	.set _ZN9rocsparseL19gebsrmvn_4xn_kernelILj128ELj2ELj8EdEEvi20rocsparse_direction_NS_24const_host_device_scalarIT2_EEPKiS6_PKS3_S8_S4_PS3_21rocsparse_index_base_b.num_vgpr, 44
	.set _ZN9rocsparseL19gebsrmvn_4xn_kernelILj128ELj2ELj8EdEEvi20rocsparse_direction_NS_24const_host_device_scalarIT2_EEPKiS6_PKS3_S8_S4_PS3_21rocsparse_index_base_b.num_agpr, 0
	.set _ZN9rocsparseL19gebsrmvn_4xn_kernelILj128ELj2ELj8EdEEvi20rocsparse_direction_NS_24const_host_device_scalarIT2_EEPKiS6_PKS3_S8_S4_PS3_21rocsparse_index_base_b.numbered_sgpr, 14
	.set _ZN9rocsparseL19gebsrmvn_4xn_kernelILj128ELj2ELj8EdEEvi20rocsparse_direction_NS_24const_host_device_scalarIT2_EEPKiS6_PKS3_S8_S4_PS3_21rocsparse_index_base_b.num_named_barrier, 0
	.set _ZN9rocsparseL19gebsrmvn_4xn_kernelILj128ELj2ELj8EdEEvi20rocsparse_direction_NS_24const_host_device_scalarIT2_EEPKiS6_PKS3_S8_S4_PS3_21rocsparse_index_base_b.private_seg_size, 0
	.set _ZN9rocsparseL19gebsrmvn_4xn_kernelILj128ELj2ELj8EdEEvi20rocsparse_direction_NS_24const_host_device_scalarIT2_EEPKiS6_PKS3_S8_S4_PS3_21rocsparse_index_base_b.uses_vcc, 1
	.set _ZN9rocsparseL19gebsrmvn_4xn_kernelILj128ELj2ELj8EdEEvi20rocsparse_direction_NS_24const_host_device_scalarIT2_EEPKiS6_PKS3_S8_S4_PS3_21rocsparse_index_base_b.uses_flat_scratch, 0
	.set _ZN9rocsparseL19gebsrmvn_4xn_kernelILj128ELj2ELj8EdEEvi20rocsparse_direction_NS_24const_host_device_scalarIT2_EEPKiS6_PKS3_S8_S4_PS3_21rocsparse_index_base_b.has_dyn_sized_stack, 0
	.set _ZN9rocsparseL19gebsrmvn_4xn_kernelILj128ELj2ELj8EdEEvi20rocsparse_direction_NS_24const_host_device_scalarIT2_EEPKiS6_PKS3_S8_S4_PS3_21rocsparse_index_base_b.has_recursion, 0
	.set _ZN9rocsparseL19gebsrmvn_4xn_kernelILj128ELj2ELj8EdEEvi20rocsparse_direction_NS_24const_host_device_scalarIT2_EEPKiS6_PKS3_S8_S4_PS3_21rocsparse_index_base_b.has_indirect_call, 0
	.section	.AMDGPU.csdata,"",@progbits
; Kernel info:
; codeLenInByte = 1436
; TotalNumSgprs: 16
; NumVgprs: 44
; ScratchSize: 0
; MemoryBound: 0
; FloatMode: 240
; IeeeMode: 1
; LDSByteSize: 0 bytes/workgroup (compile time only)
; SGPRBlocks: 0
; VGPRBlocks: 2
; NumSGPRsForWavesPerEU: 16
; NumVGPRsForWavesPerEU: 44
; NamedBarCnt: 0
; Occupancy: 16
; WaveLimiterHint : 1
; COMPUTE_PGM_RSRC2:SCRATCH_EN: 0
; COMPUTE_PGM_RSRC2:USER_SGPR: 2
; COMPUTE_PGM_RSRC2:TRAP_HANDLER: 0
; COMPUTE_PGM_RSRC2:TGID_X_EN: 1
; COMPUTE_PGM_RSRC2:TGID_Y_EN: 0
; COMPUTE_PGM_RSRC2:TGID_Z_EN: 0
; COMPUTE_PGM_RSRC2:TIDIG_COMP_CNT: 0
	.section	.text._ZN9rocsparseL19gebsrmvn_4xn_kernelILj128ELj2ELj16EdEEvi20rocsparse_direction_NS_24const_host_device_scalarIT2_EEPKiS6_PKS3_S8_S4_PS3_21rocsparse_index_base_b,"axG",@progbits,_ZN9rocsparseL19gebsrmvn_4xn_kernelILj128ELj2ELj16EdEEvi20rocsparse_direction_NS_24const_host_device_scalarIT2_EEPKiS6_PKS3_S8_S4_PS3_21rocsparse_index_base_b,comdat
	.globl	_ZN9rocsparseL19gebsrmvn_4xn_kernelILj128ELj2ELj16EdEEvi20rocsparse_direction_NS_24const_host_device_scalarIT2_EEPKiS6_PKS3_S8_S4_PS3_21rocsparse_index_base_b ; -- Begin function _ZN9rocsparseL19gebsrmvn_4xn_kernelILj128ELj2ELj16EdEEvi20rocsparse_direction_NS_24const_host_device_scalarIT2_EEPKiS6_PKS3_S8_S4_PS3_21rocsparse_index_base_b
	.p2align	8
	.type	_ZN9rocsparseL19gebsrmvn_4xn_kernelILj128ELj2ELj16EdEEvi20rocsparse_direction_NS_24const_host_device_scalarIT2_EEPKiS6_PKS3_S8_S4_PS3_21rocsparse_index_base_b,@function
_ZN9rocsparseL19gebsrmvn_4xn_kernelILj128ELj2ELj16EdEEvi20rocsparse_direction_NS_24const_host_device_scalarIT2_EEPKiS6_PKS3_S8_S4_PS3_21rocsparse_index_base_b: ; @_ZN9rocsparseL19gebsrmvn_4xn_kernelILj128ELj2ELj16EdEEvi20rocsparse_direction_NS_24const_host_device_scalarIT2_EEPKiS6_PKS3_S8_S4_PS3_21rocsparse_index_base_b
; %bb.0:
	s_clause 0x2
	s_load_b64 s[12:13], s[0:1], 0x40
	s_load_b64 s[4:5], s[0:1], 0x8
	;; [unrolled: 1-line block ×3, first 2 shown]
	s_wait_kmcnt 0x0
	s_bitcmp1_b32 s13, 0
	v_mov_b64_e32 v[2:3], s[4:5]
	s_cselect_b32 s6, -1, 0
	s_delay_alu instid0(SALU_CYCLE_1)
	s_and_b32 vcc_lo, exec_lo, s6
	s_xor_b32 s6, s6, -1
	s_cbranch_vccnz .LBB44_2
; %bb.1:
	v_mov_b32_e32 v1, 0
	flat_load_b64 v[2:3], v1, s[4:5]
.LBB44_2:
	v_mov_b64_e32 v[4:5], s[2:3]
	s_and_not1_b32 vcc_lo, exec_lo, s6
	s_cbranch_vccnz .LBB44_4
; %bb.3:
	s_wait_xcnt 0x0
	v_mov_b32_e32 v1, 0
	flat_load_b64 v[4:5], v1, s[2:3]
.LBB44_4:
	s_wait_loadcnt_dscnt 0x0
	v_cmp_neq_f64_e32 vcc_lo, 0, v[2:3]
	s_delay_alu instid0(VALU_DEP_2) | instskip(SKIP_1) | instid1(SALU_CYCLE_1)
	v_cmp_neq_f64_e64 s2, 1.0, v[4:5]
	s_or_b32 s2, vcc_lo, s2
	s_and_saveexec_b32 s3, s2
	s_cbranch_execz .LBB44_23
; %bb.5:
	s_load_b64 s[2:3], s[0:1], 0x0
	s_bfe_u32 s4, ttmp6, 0x4000c
	s_and_b32 s5, ttmp6, 15
	s_add_co_i32 s4, s4, 1
	s_getreg_b32 s6, hwreg(HW_REG_IB_STS2, 6, 4)
	s_mul_i32 s4, ttmp9, s4
	v_lshrrev_b32_e32 v1, 4, v0
	s_add_co_i32 s5, s5, s4
	s_cmp_eq_u32 s6, 0
	s_cselect_b32 s4, ttmp9, s5
	s_delay_alu instid0(VALU_DEP_1) | instid1(SALU_CYCLE_1)
	v_lshl_or_b32 v6, s4, 3, v1
	s_wait_kmcnt 0x0
	s_delay_alu instid0(VALU_DEP_1)
	v_cmp_gt_i32_e32 vcc_lo, s2, v6
	s_and_b32 exec_lo, exec_lo, vcc_lo
	s_cbranch_execz .LBB44_23
; %bb.6:
	s_load_b256 s[4:11], s[0:1], 0x10
	v_ashrrev_i32_e32 v7, 31, v6
	s_cmp_lg_u32 s3, 0
	s_wait_kmcnt 0x0
	s_delay_alu instid0(VALU_DEP_1)
	v_lshl_add_u64 v[8:9], v[6:7], 2, s[4:5]
	v_and_b32_e32 v7, 15, v0
	global_load_b64 v[8:9], v[8:9], off
	s_wait_loadcnt 0x0
	v_subrev_nc_u32_e32 v0, s12, v8
	v_subrev_nc_u32_e32 v16, s12, v9
	s_delay_alu instid0(VALU_DEP_2) | instskip(NEXT) | instid1(VALU_DEP_1)
	v_add_nc_u32_e32 v17, v0, v7
	v_cmp_lt_i32_e64 s2, v17, v16
	s_cbranch_scc0 .LBB44_12
; %bb.7:
	v_mov_b64_e32 v[0:1], 0
	v_mov_b64_e32 v[8:9], 0
	;; [unrolled: 1-line block ×4, first 2 shown]
	s_and_saveexec_b32 s3, s2
	s_cbranch_execz .LBB44_11
; %bb.8:
	v_mov_b64_e32 v[0:1], 0
	v_mov_b64_e32 v[8:9], 0
	;; [unrolled: 1-line block ×4, first 2 shown]
	v_dual_mov_b32 v15, 0 :: v_dual_lshlrev_b32 v14, 3, v17
	v_mov_b32_e32 v18, v17
	s_mov_b32 s4, 0
.LBB44_9:                               ; =>This Inner Loop Header: Depth=1
	global_load_b32 v19, v18, s[6:7] scale_offset
	v_lshl_add_u64 v[40:41], v[14:15], 3, s[8:9]
	s_wait_xcnt 0x0
	v_add_nc_u32_e32 v18, 16, v18
	v_add_nc_u32_e32 v14, 0x80, v14
	global_load_b128 v[20:23], v[40:41], off offset:16
	v_cmp_ge_i32_e32 vcc_lo, v18, v16
	s_or_b32 s4, vcc_lo, s4
	s_wait_loadcnt 0x1
	v_subrev_nc_u32_e32 v19, s12, v19
	s_delay_alu instid0(VALU_DEP_1) | instskip(NEXT) | instid1(VALU_DEP_1)
	v_dual_mov_b32 v25, v15 :: v_dual_lshlrev_b32 v24, 1, v19
	v_lshl_add_u64 v[42:43], v[24:25], 3, s[10:11]
	global_load_b128 v[24:27], v[40:41], off
	global_load_b128 v[28:31], v[42:43], off
	s_clause 0x1
	global_load_b128 v[32:35], v[40:41], off offset:32
	global_load_b128 v[36:39], v[40:41], off offset:48
	s_wait_loadcnt 0x2
	v_fmac_f64_e32 v[0:1], v[24:25], v[28:29]
	v_fmac_f64_e32 v[12:13], v[26:27], v[28:29]
	;; [unrolled: 1-line block ×4, first 2 shown]
	s_wait_loadcnt 0x1
	s_delay_alu instid0(VALU_DEP_4) | instskip(NEXT) | instid1(VALU_DEP_4)
	v_fmac_f64_e32 v[0:1], v[32:33], v[30:31]
	v_fmac_f64_e32 v[12:13], v[34:35], v[30:31]
	s_wait_loadcnt 0x0
	s_delay_alu instid0(VALU_DEP_4) | instskip(NEXT) | instid1(VALU_DEP_4)
	v_fmac_f64_e32 v[10:11], v[36:37], v[30:31]
	v_fmac_f64_e32 v[8:9], v[38:39], v[30:31]
	s_and_not1_b32 exec_lo, exec_lo, s4
	s_cbranch_execnz .LBB44_9
; %bb.10:
	s_or_b32 exec_lo, exec_lo, s4
.LBB44_11:
	s_delay_alu instid0(SALU_CYCLE_1)
	s_or_b32 exec_lo, exec_lo, s3
	s_cbranch_execz .LBB44_13
	s_branch .LBB44_18
.LBB44_12:
                                        ; implicit-def: $vgpr0_vgpr1
                                        ; implicit-def: $vgpr8_vgpr9
                                        ; implicit-def: $vgpr10_vgpr11
                                        ; implicit-def: $vgpr12_vgpr13
.LBB44_13:
	v_mov_b64_e32 v[0:1], 0
	v_mov_b64_e32 v[8:9], 0
	;; [unrolled: 1-line block ×4, first 2 shown]
	s_and_saveexec_b32 s3, s2
	s_cbranch_execz .LBB44_17
; %bb.14:
	v_mov_b64_e32 v[0:1], 0
	v_mov_b64_e32 v[8:9], 0
	;; [unrolled: 1-line block ×4, first 2 shown]
	v_dual_mov_b32 v15, 0 :: v_dual_lshlrev_b32 v14, 3, v17
	s_mov_b32 s2, 0
.LBB44_15:                              ; =>This Inner Loop Header: Depth=1
	global_load_b32 v22, v17, s[6:7] scale_offset
	v_lshl_add_u64 v[38:39], v[14:15], 3, s[8:9]
	s_wait_xcnt 0x0
	v_add_nc_u32_e32 v17, 16, v17
	v_add_nc_u32_e32 v14, 0x80, v14
	global_load_b128 v[18:21], v[38:39], off offset:48
	v_cmp_ge_i32_e32 vcc_lo, v17, v16
	s_or_b32 s2, vcc_lo, s2
	s_wait_loadcnt 0x1
	v_subrev_nc_u32_e32 v26, s12, v22
	v_mov_b32_e32 v31, v15
	global_load_b128 v[22:25], v[38:39], off offset:32
	v_lshlrev_b32_e32 v30, 1, v26
	global_load_b128 v[26:29], v[38:39], off offset:16
	v_lshl_add_u64 v[40:41], v[30:31], 3, s[10:11]
	global_load_b128 v[30:33], v[38:39], off
	global_load_b128 v[34:37], v[40:41], off
	s_wait_loadcnt 0x0
	v_fmac_f64_e32 v[0:1], v[30:31], v[34:35]
	v_fmac_f64_e32 v[12:13], v[26:27], v[34:35]
	;; [unrolled: 1-line block ×4, first 2 shown]
	s_delay_alu instid0(VALU_DEP_4) | instskip(NEXT) | instid1(VALU_DEP_4)
	v_fmac_f64_e32 v[0:1], v[32:33], v[36:37]
	v_fmac_f64_e32 v[12:13], v[28:29], v[36:37]
	s_delay_alu instid0(VALU_DEP_4) | instskip(NEXT) | instid1(VALU_DEP_4)
	v_fmac_f64_e32 v[10:11], v[24:25], v[36:37]
	v_fmac_f64_e32 v[8:9], v[20:21], v[36:37]
	s_and_not1_b32 exec_lo, exec_lo, s2
	s_cbranch_execnz .LBB44_15
; %bb.16:
	s_or_b32 exec_lo, exec_lo, s2
.LBB44_17:
	s_delay_alu instid0(SALU_CYCLE_1)
	s_or_b32 exec_lo, exec_lo, s3
.LBB44_18:
	v_mbcnt_lo_u32_b32 v24, -1, 0
	s_delay_alu instid0(VALU_DEP_1) | instskip(NEXT) | instid1(VALU_DEP_1)
	v_xor_b32_e32 v14, 8, v24
	v_cmp_gt_i32_e32 vcc_lo, 32, v14
	v_cndmask_b32_e32 v14, v24, v14, vcc_lo
	s_delay_alu instid0(VALU_DEP_1)
	v_lshlrev_b32_e32 v21, 2, v14
	ds_bpermute_b32 v16, v21, v12
	ds_bpermute_b32 v17, v21, v13
	s_wait_dscnt 0x0
	v_add_f64_e32 v[12:13], v[12:13], v[16:17]
	ds_bpermute_b32 v14, v21, v0
	ds_bpermute_b32 v15, v21, v1
	;; [unrolled: 1-line block ×6, first 2 shown]
	s_wait_dscnt 0x4
	v_dual_add_f64 v[0:1], v[0:1], v[14:15] :: v_dual_bitop2_b32 v14, 4, v24 bitop3:0x14
	s_wait_dscnt 0x2
	v_add_f64_e32 v[10:11], v[10:11], v[18:19]
	s_delay_alu instid0(VALU_DEP_2) | instskip(SKIP_2) | instid1(VALU_DEP_1)
	v_cmp_gt_i32_e32 vcc_lo, 32, v14
	v_cndmask_b32_e32 v14, v24, v14, vcc_lo
	s_wait_dscnt 0x0
	v_dual_add_f64 v[8:9], v[8:9], v[20:21] :: v_dual_lshlrev_b32 v21, 2, v14
	ds_bpermute_b32 v16, v21, v12
	ds_bpermute_b32 v17, v21, v13
	;; [unrolled: 1-line block ×8, first 2 shown]
	s_wait_dscnt 0x4
	v_add_f64_e32 v[0:1], v[0:1], v[14:15]
	v_add_f64_e32 v[14:15], v[12:13], v[16:17]
	s_wait_dscnt 0x2
	v_dual_add_f64 v[16:17], v[10:11], v[18:19] :: v_dual_bitop2_b32 v10, 2, v24 bitop3:0x14
	s_delay_alu instid0(VALU_DEP_1) | instskip(SKIP_3) | instid1(VALU_DEP_1)
	v_cmp_gt_i32_e32 vcc_lo, 32, v10
	s_wait_dscnt 0x0
	v_add_f64_e32 v[8:9], v[8:9], v[20:21]
	v_cndmask_b32_e32 v10, v24, v10, vcc_lo
	v_lshlrev_b32_e32 v12, 2, v10
	ds_bpermute_b32 v10, v12, v0
	ds_bpermute_b32 v11, v12, v1
	;; [unrolled: 1-line block ×8, first 2 shown]
	s_wait_dscnt 0x6
	v_add_f64_e32 v[12:13], v[0:1], v[10:11]
	s_wait_dscnt 0x4
	v_dual_add_f64 v[10:11], v[14:15], v[18:19] :: v_dual_bitop2_b32 v14, 1, v24 bitop3:0x14
	s_wait_dscnt 0x2
	v_add_f64_e32 v[0:1], v[16:17], v[20:21]
	s_delay_alu instid0(VALU_DEP_2) | instskip(SKIP_2) | instid1(VALU_DEP_2)
	v_cmp_gt_i32_e32 vcc_lo, 32, v14
	v_cndmask_b32_e32 v14, v24, v14, vcc_lo
	v_cmp_eq_u32_e32 vcc_lo, 15, v7
	v_lshlrev_b32_e32 v15, 2, v14
	s_wait_dscnt 0x0
	v_add_f64_e32 v[8:9], v[8:9], v[22:23]
	ds_bpermute_b32 v20, v15, v12
	ds_bpermute_b32 v21, v15, v13
	;; [unrolled: 1-line block ×8, first 2 shown]
	s_and_b32 exec_lo, exec_lo, vcc_lo
	s_cbranch_execz .LBB44_23
; %bb.19:
	s_wait_dscnt 0x6
	v_add_f64_e32 v[12:13], v[12:13], v[20:21]
	s_wait_dscnt 0x4
	v_add_f64_e32 v[10:11], v[10:11], v[18:19]
	;; [unrolled: 2-line block ×4, first 2 shown]
	s_load_b64 s[0:1], s[0:1], 0x38
	s_mov_b32 s2, exec_lo
	v_cmpx_eq_f64_e32 0, v[4:5]
	s_xor_b32 s2, exec_lo, s2
	s_cbranch_execz .LBB44_21
; %bb.20:
	v_dual_mul_f64 v[12:13], v[2:3], v[12:13] :: v_dual_lshlrev_b32 v4, 2, v6
	v_mul_f64_e32 v[14:15], v[2:3], v[10:11]
	v_mul_f64_e32 v[0:1], v[2:3], v[0:1]
	;; [unrolled: 1-line block ×3, first 2 shown]
                                        ; implicit-def: $vgpr6
                                        ; implicit-def: $vgpr10_vgpr11
                                        ; implicit-def: $vgpr8_vgpr9
	s_delay_alu instid0(VALU_DEP_4) | instskip(SKIP_1) | instid1(VALU_DEP_1)
	v_ashrrev_i32_e32 v5, 31, v4
	s_wait_kmcnt 0x0
	v_lshl_add_u64 v[4:5], v[4:5], 3, s[0:1]
	s_clause 0x1
	global_store_b128 v[4:5], v[12:15], off
	global_store_b128 v[4:5], v[0:3], off offset:16
                                        ; implicit-def: $vgpr2_vgpr3
                                        ; implicit-def: $vgpr12_vgpr13
                                        ; implicit-def: $vgpr4_vgpr5
                                        ; implicit-def: $vgpr0_vgpr1
.LBB44_21:
	s_wait_xcnt 0x0
	s_and_not1_saveexec_b32 s2, s2
	s_cbranch_execz .LBB44_23
; %bb.22:
	v_dual_mul_f64 v[22:23], v[2:3], v[12:13] :: v_dual_lshlrev_b32 v6, 2, v6
	v_mul_f64_e32 v[24:25], v[2:3], v[10:11]
	v_mul_f64_e32 v[0:1], v[2:3], v[0:1]
	s_delay_alu instid0(VALU_DEP_3) | instskip(SKIP_1) | instid1(VALU_DEP_1)
	v_dual_mul_f64 v[2:3], v[2:3], v[8:9] :: v_dual_ashrrev_i32 v7, 31, v6
	s_wait_kmcnt 0x0
	v_lshl_add_u64 v[6:7], v[6:7], 3, s[0:1]
	s_clause 0x1
	global_load_b128 v[14:17], v[6:7], off
	global_load_b128 v[18:21], v[6:7], off offset:16
	s_wait_loadcnt 0x1
	v_fmac_f64_e32 v[22:23], v[4:5], v[14:15]
	v_fmac_f64_e32 v[24:25], v[4:5], v[16:17]
	s_wait_loadcnt 0x0
	v_fmac_f64_e32 v[0:1], v[4:5], v[18:19]
	v_fmac_f64_e32 v[2:3], v[4:5], v[20:21]
	s_clause 0x1
	global_store_b128 v[6:7], v[22:25], off
	global_store_b128 v[6:7], v[0:3], off offset:16
.LBB44_23:
	s_endpgm
	.section	.rodata,"a",@progbits
	.p2align	6, 0x0
	.amdhsa_kernel _ZN9rocsparseL19gebsrmvn_4xn_kernelILj128ELj2ELj16EdEEvi20rocsparse_direction_NS_24const_host_device_scalarIT2_EEPKiS6_PKS3_S8_S4_PS3_21rocsparse_index_base_b
		.amdhsa_group_segment_fixed_size 0
		.amdhsa_private_segment_fixed_size 0
		.amdhsa_kernarg_size 72
		.amdhsa_user_sgpr_count 2
		.amdhsa_user_sgpr_dispatch_ptr 0
		.amdhsa_user_sgpr_queue_ptr 0
		.amdhsa_user_sgpr_kernarg_segment_ptr 1
		.amdhsa_user_sgpr_dispatch_id 0
		.amdhsa_user_sgpr_kernarg_preload_length 0
		.amdhsa_user_sgpr_kernarg_preload_offset 0
		.amdhsa_user_sgpr_private_segment_size 0
		.amdhsa_wavefront_size32 1
		.amdhsa_uses_dynamic_stack 0
		.amdhsa_enable_private_segment 0
		.amdhsa_system_sgpr_workgroup_id_x 1
		.amdhsa_system_sgpr_workgroup_id_y 0
		.amdhsa_system_sgpr_workgroup_id_z 0
		.amdhsa_system_sgpr_workgroup_info 0
		.amdhsa_system_vgpr_workitem_id 0
		.amdhsa_next_free_vgpr 44
		.amdhsa_next_free_sgpr 14
		.amdhsa_named_barrier_count 0
		.amdhsa_reserve_vcc 1
		.amdhsa_float_round_mode_32 0
		.amdhsa_float_round_mode_16_64 0
		.amdhsa_float_denorm_mode_32 3
		.amdhsa_float_denorm_mode_16_64 3
		.amdhsa_fp16_overflow 0
		.amdhsa_memory_ordered 1
		.amdhsa_forward_progress 1
		.amdhsa_inst_pref_size 13
		.amdhsa_round_robin_scheduling 0
		.amdhsa_exception_fp_ieee_invalid_op 0
		.amdhsa_exception_fp_denorm_src 0
		.amdhsa_exception_fp_ieee_div_zero 0
		.amdhsa_exception_fp_ieee_overflow 0
		.amdhsa_exception_fp_ieee_underflow 0
		.amdhsa_exception_fp_ieee_inexact 0
		.amdhsa_exception_int_div_zero 0
	.end_amdhsa_kernel
	.section	.text._ZN9rocsparseL19gebsrmvn_4xn_kernelILj128ELj2ELj16EdEEvi20rocsparse_direction_NS_24const_host_device_scalarIT2_EEPKiS6_PKS3_S8_S4_PS3_21rocsparse_index_base_b,"axG",@progbits,_ZN9rocsparseL19gebsrmvn_4xn_kernelILj128ELj2ELj16EdEEvi20rocsparse_direction_NS_24const_host_device_scalarIT2_EEPKiS6_PKS3_S8_S4_PS3_21rocsparse_index_base_b,comdat
.Lfunc_end44:
	.size	_ZN9rocsparseL19gebsrmvn_4xn_kernelILj128ELj2ELj16EdEEvi20rocsparse_direction_NS_24const_host_device_scalarIT2_EEPKiS6_PKS3_S8_S4_PS3_21rocsparse_index_base_b, .Lfunc_end44-_ZN9rocsparseL19gebsrmvn_4xn_kernelILj128ELj2ELj16EdEEvi20rocsparse_direction_NS_24const_host_device_scalarIT2_EEPKiS6_PKS3_S8_S4_PS3_21rocsparse_index_base_b
                                        ; -- End function
	.set _ZN9rocsparseL19gebsrmvn_4xn_kernelILj128ELj2ELj16EdEEvi20rocsparse_direction_NS_24const_host_device_scalarIT2_EEPKiS6_PKS3_S8_S4_PS3_21rocsparse_index_base_b.num_vgpr, 44
	.set _ZN9rocsparseL19gebsrmvn_4xn_kernelILj128ELj2ELj16EdEEvi20rocsparse_direction_NS_24const_host_device_scalarIT2_EEPKiS6_PKS3_S8_S4_PS3_21rocsparse_index_base_b.num_agpr, 0
	.set _ZN9rocsparseL19gebsrmvn_4xn_kernelILj128ELj2ELj16EdEEvi20rocsparse_direction_NS_24const_host_device_scalarIT2_EEPKiS6_PKS3_S8_S4_PS3_21rocsparse_index_base_b.numbered_sgpr, 14
	.set _ZN9rocsparseL19gebsrmvn_4xn_kernelILj128ELj2ELj16EdEEvi20rocsparse_direction_NS_24const_host_device_scalarIT2_EEPKiS6_PKS3_S8_S4_PS3_21rocsparse_index_base_b.num_named_barrier, 0
	.set _ZN9rocsparseL19gebsrmvn_4xn_kernelILj128ELj2ELj16EdEEvi20rocsparse_direction_NS_24const_host_device_scalarIT2_EEPKiS6_PKS3_S8_S4_PS3_21rocsparse_index_base_b.private_seg_size, 0
	.set _ZN9rocsparseL19gebsrmvn_4xn_kernelILj128ELj2ELj16EdEEvi20rocsparse_direction_NS_24const_host_device_scalarIT2_EEPKiS6_PKS3_S8_S4_PS3_21rocsparse_index_base_b.uses_vcc, 1
	.set _ZN9rocsparseL19gebsrmvn_4xn_kernelILj128ELj2ELj16EdEEvi20rocsparse_direction_NS_24const_host_device_scalarIT2_EEPKiS6_PKS3_S8_S4_PS3_21rocsparse_index_base_b.uses_flat_scratch, 0
	.set _ZN9rocsparseL19gebsrmvn_4xn_kernelILj128ELj2ELj16EdEEvi20rocsparse_direction_NS_24const_host_device_scalarIT2_EEPKiS6_PKS3_S8_S4_PS3_21rocsparse_index_base_b.has_dyn_sized_stack, 0
	.set _ZN9rocsparseL19gebsrmvn_4xn_kernelILj128ELj2ELj16EdEEvi20rocsparse_direction_NS_24const_host_device_scalarIT2_EEPKiS6_PKS3_S8_S4_PS3_21rocsparse_index_base_b.has_recursion, 0
	.set _ZN9rocsparseL19gebsrmvn_4xn_kernelILj128ELj2ELj16EdEEvi20rocsparse_direction_NS_24const_host_device_scalarIT2_EEPKiS6_PKS3_S8_S4_PS3_21rocsparse_index_base_b.has_indirect_call, 0
	.section	.AMDGPU.csdata,"",@progbits
; Kernel info:
; codeLenInByte = 1556
; TotalNumSgprs: 16
; NumVgprs: 44
; ScratchSize: 0
; MemoryBound: 0
; FloatMode: 240
; IeeeMode: 1
; LDSByteSize: 0 bytes/workgroup (compile time only)
; SGPRBlocks: 0
; VGPRBlocks: 2
; NumSGPRsForWavesPerEU: 16
; NumVGPRsForWavesPerEU: 44
; NamedBarCnt: 0
; Occupancy: 16
; WaveLimiterHint : 1
; COMPUTE_PGM_RSRC2:SCRATCH_EN: 0
; COMPUTE_PGM_RSRC2:USER_SGPR: 2
; COMPUTE_PGM_RSRC2:TRAP_HANDLER: 0
; COMPUTE_PGM_RSRC2:TGID_X_EN: 1
; COMPUTE_PGM_RSRC2:TGID_Y_EN: 0
; COMPUTE_PGM_RSRC2:TGID_Z_EN: 0
; COMPUTE_PGM_RSRC2:TIDIG_COMP_CNT: 0
	.section	.text._ZN9rocsparseL19gebsrmvn_4xn_kernelILj128ELj2ELj32EdEEvi20rocsparse_direction_NS_24const_host_device_scalarIT2_EEPKiS6_PKS3_S8_S4_PS3_21rocsparse_index_base_b,"axG",@progbits,_ZN9rocsparseL19gebsrmvn_4xn_kernelILj128ELj2ELj32EdEEvi20rocsparse_direction_NS_24const_host_device_scalarIT2_EEPKiS6_PKS3_S8_S4_PS3_21rocsparse_index_base_b,comdat
	.globl	_ZN9rocsparseL19gebsrmvn_4xn_kernelILj128ELj2ELj32EdEEvi20rocsparse_direction_NS_24const_host_device_scalarIT2_EEPKiS6_PKS3_S8_S4_PS3_21rocsparse_index_base_b ; -- Begin function _ZN9rocsparseL19gebsrmvn_4xn_kernelILj128ELj2ELj32EdEEvi20rocsparse_direction_NS_24const_host_device_scalarIT2_EEPKiS6_PKS3_S8_S4_PS3_21rocsparse_index_base_b
	.p2align	8
	.type	_ZN9rocsparseL19gebsrmvn_4xn_kernelILj128ELj2ELj32EdEEvi20rocsparse_direction_NS_24const_host_device_scalarIT2_EEPKiS6_PKS3_S8_S4_PS3_21rocsparse_index_base_b,@function
_ZN9rocsparseL19gebsrmvn_4xn_kernelILj128ELj2ELj32EdEEvi20rocsparse_direction_NS_24const_host_device_scalarIT2_EEPKiS6_PKS3_S8_S4_PS3_21rocsparse_index_base_b: ; @_ZN9rocsparseL19gebsrmvn_4xn_kernelILj128ELj2ELj32EdEEvi20rocsparse_direction_NS_24const_host_device_scalarIT2_EEPKiS6_PKS3_S8_S4_PS3_21rocsparse_index_base_b
; %bb.0:
	s_clause 0x2
	s_load_b64 s[12:13], s[0:1], 0x40
	s_load_b64 s[4:5], s[0:1], 0x8
	;; [unrolled: 1-line block ×3, first 2 shown]
	s_wait_kmcnt 0x0
	s_bitcmp1_b32 s13, 0
	v_mov_b64_e32 v[2:3], s[4:5]
	s_cselect_b32 s6, -1, 0
	s_delay_alu instid0(SALU_CYCLE_1)
	s_and_b32 vcc_lo, exec_lo, s6
	s_xor_b32 s6, s6, -1
	s_cbranch_vccnz .LBB45_2
; %bb.1:
	v_mov_b32_e32 v1, 0
	flat_load_b64 v[2:3], v1, s[4:5]
.LBB45_2:
	v_mov_b64_e32 v[4:5], s[2:3]
	s_and_not1_b32 vcc_lo, exec_lo, s6
	s_cbranch_vccnz .LBB45_4
; %bb.3:
	s_wait_xcnt 0x0
	v_mov_b32_e32 v1, 0
	flat_load_b64 v[4:5], v1, s[2:3]
.LBB45_4:
	s_wait_loadcnt_dscnt 0x0
	v_cmp_neq_f64_e32 vcc_lo, 0, v[2:3]
	s_delay_alu instid0(VALU_DEP_2) | instskip(SKIP_1) | instid1(SALU_CYCLE_1)
	v_cmp_neq_f64_e64 s2, 1.0, v[4:5]
	s_or_b32 s2, vcc_lo, s2
	s_and_saveexec_b32 s3, s2
	s_cbranch_execz .LBB45_23
; %bb.5:
	s_load_b64 s[2:3], s[0:1], 0x0
	s_bfe_u32 s4, ttmp6, 0x4000c
	s_and_b32 s5, ttmp6, 15
	s_add_co_i32 s4, s4, 1
	s_getreg_b32 s6, hwreg(HW_REG_IB_STS2, 6, 4)
	s_mul_i32 s4, ttmp9, s4
	v_lshrrev_b32_e32 v1, 5, v0
	s_add_co_i32 s5, s5, s4
	s_cmp_eq_u32 s6, 0
	s_cselect_b32 s4, ttmp9, s5
	s_delay_alu instid0(VALU_DEP_1) | instid1(SALU_CYCLE_1)
	v_lshl_or_b32 v6, s4, 2, v1
	s_wait_kmcnt 0x0
	s_delay_alu instid0(VALU_DEP_1)
	v_cmp_gt_i32_e32 vcc_lo, s2, v6
	s_and_b32 exec_lo, exec_lo, vcc_lo
	s_cbranch_execz .LBB45_23
; %bb.6:
	s_load_b256 s[4:11], s[0:1], 0x10
	v_ashrrev_i32_e32 v7, 31, v6
	s_cmp_lg_u32 s3, 0
	s_wait_kmcnt 0x0
	s_delay_alu instid0(VALU_DEP_1)
	v_lshl_add_u64 v[8:9], v[6:7], 2, s[4:5]
	v_and_b32_e32 v7, 31, v0
	global_load_b64 v[8:9], v[8:9], off
	s_wait_loadcnt 0x0
	v_subrev_nc_u32_e32 v0, s12, v8
	v_subrev_nc_u32_e32 v16, s12, v9
	s_delay_alu instid0(VALU_DEP_2) | instskip(NEXT) | instid1(VALU_DEP_1)
	v_add_nc_u32_e32 v17, v0, v7
	v_cmp_lt_i32_e64 s2, v17, v16
	s_cbranch_scc0 .LBB45_12
; %bb.7:
	v_mov_b64_e32 v[0:1], 0
	v_mov_b64_e32 v[8:9], 0
	;; [unrolled: 1-line block ×4, first 2 shown]
	s_and_saveexec_b32 s3, s2
	s_cbranch_execz .LBB45_11
; %bb.8:
	v_mov_b64_e32 v[0:1], 0
	v_mov_b64_e32 v[8:9], 0
	;; [unrolled: 1-line block ×4, first 2 shown]
	v_dual_mov_b32 v15, 0 :: v_dual_lshlrev_b32 v14, 3, v17
	v_mov_b32_e32 v18, v17
	s_mov_b32 s4, 0
.LBB45_9:                               ; =>This Inner Loop Header: Depth=1
	global_load_b32 v19, v18, s[6:7] scale_offset
	v_lshl_add_u64 v[40:41], v[14:15], 3, s[8:9]
	s_wait_xcnt 0x0
	v_add_nc_u32_e32 v18, 32, v18
	v_add_nc_u32_e32 v14, 0x100, v14
	global_load_b128 v[20:23], v[40:41], off offset:16
	v_cmp_ge_i32_e32 vcc_lo, v18, v16
	s_or_b32 s4, vcc_lo, s4
	s_wait_loadcnt 0x1
	v_subrev_nc_u32_e32 v19, s12, v19
	s_delay_alu instid0(VALU_DEP_1) | instskip(NEXT) | instid1(VALU_DEP_1)
	v_dual_mov_b32 v25, v15 :: v_dual_lshlrev_b32 v24, 1, v19
	v_lshl_add_u64 v[42:43], v[24:25], 3, s[10:11]
	global_load_b128 v[24:27], v[40:41], off
	global_load_b128 v[28:31], v[42:43], off
	s_clause 0x1
	global_load_b128 v[32:35], v[40:41], off offset:32
	global_load_b128 v[36:39], v[40:41], off offset:48
	s_wait_loadcnt 0x2
	v_fmac_f64_e32 v[0:1], v[24:25], v[28:29]
	v_fmac_f64_e32 v[12:13], v[26:27], v[28:29]
	;; [unrolled: 1-line block ×4, first 2 shown]
	s_wait_loadcnt 0x1
	s_delay_alu instid0(VALU_DEP_4) | instskip(NEXT) | instid1(VALU_DEP_4)
	v_fmac_f64_e32 v[0:1], v[32:33], v[30:31]
	v_fmac_f64_e32 v[12:13], v[34:35], v[30:31]
	s_wait_loadcnt 0x0
	s_delay_alu instid0(VALU_DEP_4) | instskip(NEXT) | instid1(VALU_DEP_4)
	v_fmac_f64_e32 v[10:11], v[36:37], v[30:31]
	v_fmac_f64_e32 v[8:9], v[38:39], v[30:31]
	s_and_not1_b32 exec_lo, exec_lo, s4
	s_cbranch_execnz .LBB45_9
; %bb.10:
	s_or_b32 exec_lo, exec_lo, s4
.LBB45_11:
	s_delay_alu instid0(SALU_CYCLE_1)
	s_or_b32 exec_lo, exec_lo, s3
	s_cbranch_execz .LBB45_13
	s_branch .LBB45_18
.LBB45_12:
                                        ; implicit-def: $vgpr0_vgpr1
                                        ; implicit-def: $vgpr8_vgpr9
                                        ; implicit-def: $vgpr10_vgpr11
                                        ; implicit-def: $vgpr12_vgpr13
.LBB45_13:
	v_mov_b64_e32 v[0:1], 0
	v_mov_b64_e32 v[8:9], 0
	;; [unrolled: 1-line block ×4, first 2 shown]
	s_and_saveexec_b32 s3, s2
	s_cbranch_execz .LBB45_17
; %bb.14:
	v_mov_b64_e32 v[0:1], 0
	v_mov_b64_e32 v[8:9], 0
	;; [unrolled: 1-line block ×4, first 2 shown]
	v_dual_mov_b32 v15, 0 :: v_dual_lshlrev_b32 v14, 3, v17
	s_mov_b32 s2, 0
.LBB45_15:                              ; =>This Inner Loop Header: Depth=1
	global_load_b32 v22, v17, s[6:7] scale_offset
	v_lshl_add_u64 v[38:39], v[14:15], 3, s[8:9]
	s_wait_xcnt 0x0
	v_add_nc_u32_e32 v17, 32, v17
	v_add_nc_u32_e32 v14, 0x100, v14
	global_load_b128 v[18:21], v[38:39], off offset:48
	v_cmp_ge_i32_e32 vcc_lo, v17, v16
	s_or_b32 s2, vcc_lo, s2
	s_wait_loadcnt 0x1
	v_subrev_nc_u32_e32 v26, s12, v22
	v_mov_b32_e32 v31, v15
	global_load_b128 v[22:25], v[38:39], off offset:32
	v_lshlrev_b32_e32 v30, 1, v26
	global_load_b128 v[26:29], v[38:39], off offset:16
	v_lshl_add_u64 v[40:41], v[30:31], 3, s[10:11]
	global_load_b128 v[30:33], v[38:39], off
	global_load_b128 v[34:37], v[40:41], off
	s_wait_loadcnt 0x0
	v_fmac_f64_e32 v[0:1], v[30:31], v[34:35]
	v_fmac_f64_e32 v[12:13], v[26:27], v[34:35]
	;; [unrolled: 1-line block ×4, first 2 shown]
	s_delay_alu instid0(VALU_DEP_4) | instskip(NEXT) | instid1(VALU_DEP_4)
	v_fmac_f64_e32 v[0:1], v[32:33], v[36:37]
	v_fmac_f64_e32 v[12:13], v[28:29], v[36:37]
	s_delay_alu instid0(VALU_DEP_4) | instskip(NEXT) | instid1(VALU_DEP_4)
	v_fmac_f64_e32 v[10:11], v[24:25], v[36:37]
	v_fmac_f64_e32 v[8:9], v[20:21], v[36:37]
	s_and_not1_b32 exec_lo, exec_lo, s2
	s_cbranch_execnz .LBB45_15
; %bb.16:
	s_or_b32 exec_lo, exec_lo, s2
.LBB45_17:
	s_delay_alu instid0(SALU_CYCLE_1)
	s_or_b32 exec_lo, exec_lo, s3
.LBB45_18:
	v_mbcnt_lo_u32_b32 v24, -1, 0
	s_delay_alu instid0(VALU_DEP_1) | instskip(NEXT) | instid1(VALU_DEP_1)
	v_xor_b32_e32 v14, 16, v24
	v_cmp_gt_i32_e32 vcc_lo, 32, v14
	v_cndmask_b32_e32 v14, v24, v14, vcc_lo
	s_delay_alu instid0(VALU_DEP_1)
	v_lshlrev_b32_e32 v21, 2, v14
	ds_bpermute_b32 v16, v21, v12
	ds_bpermute_b32 v17, v21, v13
	s_wait_dscnt 0x0
	v_add_f64_e32 v[12:13], v[12:13], v[16:17]
	ds_bpermute_b32 v14, v21, v0
	ds_bpermute_b32 v15, v21, v1
	;; [unrolled: 1-line block ×6, first 2 shown]
	s_wait_dscnt 0x4
	v_dual_add_f64 v[0:1], v[0:1], v[14:15] :: v_dual_bitop2_b32 v14, 8, v24 bitop3:0x14
	s_wait_dscnt 0x2
	v_add_f64_e32 v[10:11], v[10:11], v[18:19]
	s_delay_alu instid0(VALU_DEP_2) | instskip(SKIP_2) | instid1(VALU_DEP_1)
	v_cmp_gt_i32_e32 vcc_lo, 32, v14
	v_cndmask_b32_e32 v14, v24, v14, vcc_lo
	s_wait_dscnt 0x0
	v_dual_add_f64 v[8:9], v[8:9], v[20:21] :: v_dual_lshlrev_b32 v21, 2, v14
	ds_bpermute_b32 v16, v21, v12
	ds_bpermute_b32 v17, v21, v13
	;; [unrolled: 1-line block ×8, first 2 shown]
	s_wait_dscnt 0x4
	v_dual_add_f64 v[0:1], v[0:1], v[14:15] :: v_dual_bitop2_b32 v14, 4, v24 bitop3:0x14
	s_wait_dscnt 0x2
	v_add_f64_e32 v[10:11], v[10:11], v[18:19]
	s_delay_alu instid0(VALU_DEP_2) | instskip(SKIP_3) | instid1(VALU_DEP_2)
	v_cmp_gt_i32_e32 vcc_lo, 32, v14
	v_cndmask_b32_e32 v14, v24, v14, vcc_lo
	v_add_f64_e32 v[12:13], v[12:13], v[16:17]
	s_wait_dscnt 0x0
	v_dual_add_f64 v[8:9], v[8:9], v[20:21] :: v_dual_lshlrev_b32 v21, 2, v14
	ds_bpermute_b32 v14, v21, v0
	ds_bpermute_b32 v15, v21, v1
	;; [unrolled: 1-line block ×6, first 2 shown]
	s_wait_dscnt 0x4
	v_add_f64_e32 v[0:1], v[0:1], v[14:15]
	s_wait_dscnt 0x0
	v_add_f64_e32 v[14:15], v[12:13], v[16:17]
	v_dual_add_f64 v[16:17], v[10:11], v[18:19] :: v_dual_bitop2_b32 v10, 2, v24 bitop3:0x14
	s_delay_alu instid0(VALU_DEP_1) | instskip(SKIP_1) | instid1(VALU_DEP_1)
	v_cmp_gt_i32_e32 vcc_lo, 32, v10
	v_cndmask_b32_e32 v10, v24, v10, vcc_lo
	v_lshlrev_b32_e32 v12, 2, v10
	ds_bpermute_b32 v20, v21, v8
	ds_bpermute_b32 v21, v21, v9
	ds_bpermute_b32 v10, v12, v0
	ds_bpermute_b32 v11, v12, v1
	ds_bpermute_b32 v18, v12, v14
	ds_bpermute_b32 v19, v12, v15
	s_wait_dscnt 0x4
	v_add_f64_e32 v[8:9], v[8:9], v[20:21]
	ds_bpermute_b32 v20, v12, v16
	ds_bpermute_b32 v21, v12, v17
	;; [unrolled: 1-line block ×4, first 2 shown]
	s_wait_dscnt 0x6
	v_add_f64_e32 v[12:13], v[0:1], v[10:11]
	s_wait_dscnt 0x4
	v_dual_add_f64 v[10:11], v[14:15], v[18:19] :: v_dual_bitop2_b32 v14, 1, v24 bitop3:0x14
	s_wait_dscnt 0x2
	v_add_f64_e32 v[0:1], v[16:17], v[20:21]
	s_delay_alu instid0(VALU_DEP_2) | instskip(SKIP_2) | instid1(VALU_DEP_2)
	v_cmp_gt_i32_e32 vcc_lo, 32, v14
	v_cndmask_b32_e32 v14, v24, v14, vcc_lo
	v_cmp_eq_u32_e32 vcc_lo, 31, v7
	v_lshlrev_b32_e32 v15, 2, v14
	s_wait_dscnt 0x0
	v_add_f64_e32 v[8:9], v[8:9], v[22:23]
	ds_bpermute_b32 v20, v15, v12
	ds_bpermute_b32 v21, v15, v13
	;; [unrolled: 1-line block ×8, first 2 shown]
	s_and_b32 exec_lo, exec_lo, vcc_lo
	s_cbranch_execz .LBB45_23
; %bb.19:
	s_wait_dscnt 0x6
	v_add_f64_e32 v[12:13], v[12:13], v[20:21]
	s_wait_dscnt 0x4
	v_add_f64_e32 v[10:11], v[10:11], v[18:19]
	;; [unrolled: 2-line block ×4, first 2 shown]
	s_load_b64 s[0:1], s[0:1], 0x38
	s_mov_b32 s2, exec_lo
	v_cmpx_eq_f64_e32 0, v[4:5]
	s_xor_b32 s2, exec_lo, s2
	s_cbranch_execz .LBB45_21
; %bb.20:
	v_dual_mul_f64 v[12:13], v[2:3], v[12:13] :: v_dual_lshlrev_b32 v4, 2, v6
	v_mul_f64_e32 v[14:15], v[2:3], v[10:11]
	v_mul_f64_e32 v[0:1], v[2:3], v[0:1]
	;; [unrolled: 1-line block ×3, first 2 shown]
                                        ; implicit-def: $vgpr6
                                        ; implicit-def: $vgpr10_vgpr11
                                        ; implicit-def: $vgpr8_vgpr9
	s_delay_alu instid0(VALU_DEP_4) | instskip(SKIP_1) | instid1(VALU_DEP_1)
	v_ashrrev_i32_e32 v5, 31, v4
	s_wait_kmcnt 0x0
	v_lshl_add_u64 v[4:5], v[4:5], 3, s[0:1]
	s_clause 0x1
	global_store_b128 v[4:5], v[12:15], off
	global_store_b128 v[4:5], v[0:3], off offset:16
                                        ; implicit-def: $vgpr2_vgpr3
                                        ; implicit-def: $vgpr12_vgpr13
                                        ; implicit-def: $vgpr4_vgpr5
                                        ; implicit-def: $vgpr0_vgpr1
.LBB45_21:
	s_wait_xcnt 0x0
	s_and_not1_saveexec_b32 s2, s2
	s_cbranch_execz .LBB45_23
; %bb.22:
	v_dual_mul_f64 v[22:23], v[2:3], v[12:13] :: v_dual_lshlrev_b32 v6, 2, v6
	v_mul_f64_e32 v[24:25], v[2:3], v[10:11]
	v_mul_f64_e32 v[0:1], v[2:3], v[0:1]
	s_delay_alu instid0(VALU_DEP_3) | instskip(SKIP_1) | instid1(VALU_DEP_1)
	v_dual_mul_f64 v[2:3], v[2:3], v[8:9] :: v_dual_ashrrev_i32 v7, 31, v6
	s_wait_kmcnt 0x0
	v_lshl_add_u64 v[6:7], v[6:7], 3, s[0:1]
	s_clause 0x1
	global_load_b128 v[14:17], v[6:7], off
	global_load_b128 v[18:21], v[6:7], off offset:16
	s_wait_loadcnt 0x1
	v_fmac_f64_e32 v[22:23], v[4:5], v[14:15]
	v_fmac_f64_e32 v[24:25], v[4:5], v[16:17]
	s_wait_loadcnt 0x0
	v_fmac_f64_e32 v[0:1], v[4:5], v[18:19]
	v_fmac_f64_e32 v[2:3], v[4:5], v[20:21]
	s_clause 0x1
	global_store_b128 v[6:7], v[22:25], off
	global_store_b128 v[6:7], v[0:3], off offset:16
.LBB45_23:
	s_endpgm
	.section	.rodata,"a",@progbits
	.p2align	6, 0x0
	.amdhsa_kernel _ZN9rocsparseL19gebsrmvn_4xn_kernelILj128ELj2ELj32EdEEvi20rocsparse_direction_NS_24const_host_device_scalarIT2_EEPKiS6_PKS3_S8_S4_PS3_21rocsparse_index_base_b
		.amdhsa_group_segment_fixed_size 0
		.amdhsa_private_segment_fixed_size 0
		.amdhsa_kernarg_size 72
		.amdhsa_user_sgpr_count 2
		.amdhsa_user_sgpr_dispatch_ptr 0
		.amdhsa_user_sgpr_queue_ptr 0
		.amdhsa_user_sgpr_kernarg_segment_ptr 1
		.amdhsa_user_sgpr_dispatch_id 0
		.amdhsa_user_sgpr_kernarg_preload_length 0
		.amdhsa_user_sgpr_kernarg_preload_offset 0
		.amdhsa_user_sgpr_private_segment_size 0
		.amdhsa_wavefront_size32 1
		.amdhsa_uses_dynamic_stack 0
		.amdhsa_enable_private_segment 0
		.amdhsa_system_sgpr_workgroup_id_x 1
		.amdhsa_system_sgpr_workgroup_id_y 0
		.amdhsa_system_sgpr_workgroup_id_z 0
		.amdhsa_system_sgpr_workgroup_info 0
		.amdhsa_system_vgpr_workitem_id 0
		.amdhsa_next_free_vgpr 44
		.amdhsa_next_free_sgpr 14
		.amdhsa_named_barrier_count 0
		.amdhsa_reserve_vcc 1
		.amdhsa_float_round_mode_32 0
		.amdhsa_float_round_mode_16_64 0
		.amdhsa_float_denorm_mode_32 3
		.amdhsa_float_denorm_mode_16_64 3
		.amdhsa_fp16_overflow 0
		.amdhsa_memory_ordered 1
		.amdhsa_forward_progress 1
		.amdhsa_inst_pref_size 14
		.amdhsa_round_robin_scheduling 0
		.amdhsa_exception_fp_ieee_invalid_op 0
		.amdhsa_exception_fp_denorm_src 0
		.amdhsa_exception_fp_ieee_div_zero 0
		.amdhsa_exception_fp_ieee_overflow 0
		.amdhsa_exception_fp_ieee_underflow 0
		.amdhsa_exception_fp_ieee_inexact 0
		.amdhsa_exception_int_div_zero 0
	.end_amdhsa_kernel
	.section	.text._ZN9rocsparseL19gebsrmvn_4xn_kernelILj128ELj2ELj32EdEEvi20rocsparse_direction_NS_24const_host_device_scalarIT2_EEPKiS6_PKS3_S8_S4_PS3_21rocsparse_index_base_b,"axG",@progbits,_ZN9rocsparseL19gebsrmvn_4xn_kernelILj128ELj2ELj32EdEEvi20rocsparse_direction_NS_24const_host_device_scalarIT2_EEPKiS6_PKS3_S8_S4_PS3_21rocsparse_index_base_b,comdat
.Lfunc_end45:
	.size	_ZN9rocsparseL19gebsrmvn_4xn_kernelILj128ELj2ELj32EdEEvi20rocsparse_direction_NS_24const_host_device_scalarIT2_EEPKiS6_PKS3_S8_S4_PS3_21rocsparse_index_base_b, .Lfunc_end45-_ZN9rocsparseL19gebsrmvn_4xn_kernelILj128ELj2ELj32EdEEvi20rocsparse_direction_NS_24const_host_device_scalarIT2_EEPKiS6_PKS3_S8_S4_PS3_21rocsparse_index_base_b
                                        ; -- End function
	.set _ZN9rocsparseL19gebsrmvn_4xn_kernelILj128ELj2ELj32EdEEvi20rocsparse_direction_NS_24const_host_device_scalarIT2_EEPKiS6_PKS3_S8_S4_PS3_21rocsparse_index_base_b.num_vgpr, 44
	.set _ZN9rocsparseL19gebsrmvn_4xn_kernelILj128ELj2ELj32EdEEvi20rocsparse_direction_NS_24const_host_device_scalarIT2_EEPKiS6_PKS3_S8_S4_PS3_21rocsparse_index_base_b.num_agpr, 0
	.set _ZN9rocsparseL19gebsrmvn_4xn_kernelILj128ELj2ELj32EdEEvi20rocsparse_direction_NS_24const_host_device_scalarIT2_EEPKiS6_PKS3_S8_S4_PS3_21rocsparse_index_base_b.numbered_sgpr, 14
	.set _ZN9rocsparseL19gebsrmvn_4xn_kernelILj128ELj2ELj32EdEEvi20rocsparse_direction_NS_24const_host_device_scalarIT2_EEPKiS6_PKS3_S8_S4_PS3_21rocsparse_index_base_b.num_named_barrier, 0
	.set _ZN9rocsparseL19gebsrmvn_4xn_kernelILj128ELj2ELj32EdEEvi20rocsparse_direction_NS_24const_host_device_scalarIT2_EEPKiS6_PKS3_S8_S4_PS3_21rocsparse_index_base_b.private_seg_size, 0
	.set _ZN9rocsparseL19gebsrmvn_4xn_kernelILj128ELj2ELj32EdEEvi20rocsparse_direction_NS_24const_host_device_scalarIT2_EEPKiS6_PKS3_S8_S4_PS3_21rocsparse_index_base_b.uses_vcc, 1
	.set _ZN9rocsparseL19gebsrmvn_4xn_kernelILj128ELj2ELj32EdEEvi20rocsparse_direction_NS_24const_host_device_scalarIT2_EEPKiS6_PKS3_S8_S4_PS3_21rocsparse_index_base_b.uses_flat_scratch, 0
	.set _ZN9rocsparseL19gebsrmvn_4xn_kernelILj128ELj2ELj32EdEEvi20rocsparse_direction_NS_24const_host_device_scalarIT2_EEPKiS6_PKS3_S8_S4_PS3_21rocsparse_index_base_b.has_dyn_sized_stack, 0
	.set _ZN9rocsparseL19gebsrmvn_4xn_kernelILj128ELj2ELj32EdEEvi20rocsparse_direction_NS_24const_host_device_scalarIT2_EEPKiS6_PKS3_S8_S4_PS3_21rocsparse_index_base_b.has_recursion, 0
	.set _ZN9rocsparseL19gebsrmvn_4xn_kernelILj128ELj2ELj32EdEEvi20rocsparse_direction_NS_24const_host_device_scalarIT2_EEPKiS6_PKS3_S8_S4_PS3_21rocsparse_index_base_b.has_indirect_call, 0
	.section	.AMDGPU.csdata,"",@progbits
; Kernel info:
; codeLenInByte = 1676
; TotalNumSgprs: 16
; NumVgprs: 44
; ScratchSize: 0
; MemoryBound: 0
; FloatMode: 240
; IeeeMode: 1
; LDSByteSize: 0 bytes/workgroup (compile time only)
; SGPRBlocks: 0
; VGPRBlocks: 2
; NumSGPRsForWavesPerEU: 16
; NumVGPRsForWavesPerEU: 44
; NamedBarCnt: 0
; Occupancy: 16
; WaveLimiterHint : 1
; COMPUTE_PGM_RSRC2:SCRATCH_EN: 0
; COMPUTE_PGM_RSRC2:USER_SGPR: 2
; COMPUTE_PGM_RSRC2:TRAP_HANDLER: 0
; COMPUTE_PGM_RSRC2:TGID_X_EN: 1
; COMPUTE_PGM_RSRC2:TGID_Y_EN: 0
; COMPUTE_PGM_RSRC2:TGID_Z_EN: 0
; COMPUTE_PGM_RSRC2:TIDIG_COMP_CNT: 0
	.section	.text._ZN9rocsparseL19gebsrmvn_4xn_kernelILj128ELj2ELj64EdEEvi20rocsparse_direction_NS_24const_host_device_scalarIT2_EEPKiS6_PKS3_S8_S4_PS3_21rocsparse_index_base_b,"axG",@progbits,_ZN9rocsparseL19gebsrmvn_4xn_kernelILj128ELj2ELj64EdEEvi20rocsparse_direction_NS_24const_host_device_scalarIT2_EEPKiS6_PKS3_S8_S4_PS3_21rocsparse_index_base_b,comdat
	.globl	_ZN9rocsparseL19gebsrmvn_4xn_kernelILj128ELj2ELj64EdEEvi20rocsparse_direction_NS_24const_host_device_scalarIT2_EEPKiS6_PKS3_S8_S4_PS3_21rocsparse_index_base_b ; -- Begin function _ZN9rocsparseL19gebsrmvn_4xn_kernelILj128ELj2ELj64EdEEvi20rocsparse_direction_NS_24const_host_device_scalarIT2_EEPKiS6_PKS3_S8_S4_PS3_21rocsparse_index_base_b
	.p2align	8
	.type	_ZN9rocsparseL19gebsrmvn_4xn_kernelILj128ELj2ELj64EdEEvi20rocsparse_direction_NS_24const_host_device_scalarIT2_EEPKiS6_PKS3_S8_S4_PS3_21rocsparse_index_base_b,@function
_ZN9rocsparseL19gebsrmvn_4xn_kernelILj128ELj2ELj64EdEEvi20rocsparse_direction_NS_24const_host_device_scalarIT2_EEPKiS6_PKS3_S8_S4_PS3_21rocsparse_index_base_b: ; @_ZN9rocsparseL19gebsrmvn_4xn_kernelILj128ELj2ELj64EdEEvi20rocsparse_direction_NS_24const_host_device_scalarIT2_EEPKiS6_PKS3_S8_S4_PS3_21rocsparse_index_base_b
; %bb.0:
	s_clause 0x2
	s_load_b64 s[12:13], s[0:1], 0x40
	s_load_b64 s[4:5], s[0:1], 0x8
	;; [unrolled: 1-line block ×3, first 2 shown]
	s_wait_kmcnt 0x0
	s_bitcmp1_b32 s13, 0
	v_mov_b64_e32 v[2:3], s[4:5]
	s_cselect_b32 s6, -1, 0
	s_delay_alu instid0(SALU_CYCLE_1)
	s_and_b32 vcc_lo, exec_lo, s6
	s_xor_b32 s6, s6, -1
	s_cbranch_vccnz .LBB46_2
; %bb.1:
	v_mov_b32_e32 v1, 0
	flat_load_b64 v[2:3], v1, s[4:5]
.LBB46_2:
	v_mov_b64_e32 v[4:5], s[2:3]
	s_and_not1_b32 vcc_lo, exec_lo, s6
	s_cbranch_vccnz .LBB46_4
; %bb.3:
	s_wait_xcnt 0x0
	v_mov_b32_e32 v1, 0
	flat_load_b64 v[4:5], v1, s[2:3]
.LBB46_4:
	s_wait_loadcnt_dscnt 0x0
	v_cmp_neq_f64_e32 vcc_lo, 0, v[2:3]
	s_delay_alu instid0(VALU_DEP_2) | instskip(SKIP_1) | instid1(SALU_CYCLE_1)
	v_cmp_neq_f64_e64 s2, 1.0, v[4:5]
	s_or_b32 s2, vcc_lo, s2
	s_and_saveexec_b32 s3, s2
	s_cbranch_execz .LBB46_23
; %bb.5:
	s_load_b64 s[2:3], s[0:1], 0x0
	s_bfe_u32 s4, ttmp6, 0x4000c
	s_and_b32 s5, ttmp6, 15
	s_add_co_i32 s4, s4, 1
	s_getreg_b32 s6, hwreg(HW_REG_IB_STS2, 6, 4)
	s_mul_i32 s4, ttmp9, s4
	v_lshrrev_b32_e32 v1, 6, v0
	s_add_co_i32 s5, s5, s4
	s_cmp_eq_u32 s6, 0
	s_cselect_b32 s4, ttmp9, s5
	s_delay_alu instid0(VALU_DEP_1) | instid1(SALU_CYCLE_1)
	v_lshl_or_b32 v6, s4, 1, v1
	s_wait_kmcnt 0x0
	s_delay_alu instid0(VALU_DEP_1)
	v_cmp_gt_i32_e32 vcc_lo, s2, v6
	s_and_b32 exec_lo, exec_lo, vcc_lo
	s_cbranch_execz .LBB46_23
; %bb.6:
	s_load_b256 s[4:11], s[0:1], 0x10
	v_ashrrev_i32_e32 v7, 31, v6
	s_cmp_lg_u32 s3, 0
	s_wait_kmcnt 0x0
	s_delay_alu instid0(VALU_DEP_1)
	v_lshl_add_u64 v[8:9], v[6:7], 2, s[4:5]
	v_and_b32_e32 v7, 63, v0
	global_load_b64 v[8:9], v[8:9], off
	s_wait_loadcnt 0x0
	v_subrev_nc_u32_e32 v0, s12, v8
	v_subrev_nc_u32_e32 v16, s12, v9
	s_delay_alu instid0(VALU_DEP_2) | instskip(NEXT) | instid1(VALU_DEP_1)
	v_add_nc_u32_e32 v17, v0, v7
	v_cmp_lt_i32_e64 s2, v17, v16
	s_cbranch_scc0 .LBB46_12
; %bb.7:
	v_mov_b64_e32 v[0:1], 0
	v_mov_b64_e32 v[8:9], 0
	;; [unrolled: 1-line block ×4, first 2 shown]
	s_and_saveexec_b32 s3, s2
	s_cbranch_execz .LBB46_11
; %bb.8:
	v_mov_b64_e32 v[0:1], 0
	v_mov_b64_e32 v[8:9], 0
	;; [unrolled: 1-line block ×4, first 2 shown]
	v_dual_mov_b32 v15, 0 :: v_dual_lshlrev_b32 v14, 3, v17
	v_mov_b32_e32 v18, v17
	s_mov_b32 s4, 0
.LBB46_9:                               ; =>This Inner Loop Header: Depth=1
	global_load_b32 v19, v18, s[6:7] scale_offset
	v_lshl_add_u64 v[40:41], v[14:15], 3, s[8:9]
	s_wait_xcnt 0x0
	v_add_nc_u32_e32 v18, 64, v18
	v_add_nc_u32_e32 v14, 0x200, v14
	global_load_b128 v[20:23], v[40:41], off offset:16
	v_cmp_ge_i32_e32 vcc_lo, v18, v16
	s_or_b32 s4, vcc_lo, s4
	s_wait_loadcnt 0x1
	v_subrev_nc_u32_e32 v19, s12, v19
	s_delay_alu instid0(VALU_DEP_1) | instskip(NEXT) | instid1(VALU_DEP_1)
	v_dual_mov_b32 v25, v15 :: v_dual_lshlrev_b32 v24, 1, v19
	v_lshl_add_u64 v[42:43], v[24:25], 3, s[10:11]
	global_load_b128 v[24:27], v[40:41], off
	global_load_b128 v[28:31], v[42:43], off
	s_clause 0x1
	global_load_b128 v[32:35], v[40:41], off offset:32
	global_load_b128 v[36:39], v[40:41], off offset:48
	s_wait_loadcnt 0x2
	v_fmac_f64_e32 v[0:1], v[24:25], v[28:29]
	v_fmac_f64_e32 v[12:13], v[26:27], v[28:29]
	;; [unrolled: 1-line block ×4, first 2 shown]
	s_wait_loadcnt 0x1
	s_delay_alu instid0(VALU_DEP_4) | instskip(NEXT) | instid1(VALU_DEP_4)
	v_fmac_f64_e32 v[0:1], v[32:33], v[30:31]
	v_fmac_f64_e32 v[12:13], v[34:35], v[30:31]
	s_wait_loadcnt 0x0
	s_delay_alu instid0(VALU_DEP_4) | instskip(NEXT) | instid1(VALU_DEP_4)
	v_fmac_f64_e32 v[10:11], v[36:37], v[30:31]
	v_fmac_f64_e32 v[8:9], v[38:39], v[30:31]
	s_and_not1_b32 exec_lo, exec_lo, s4
	s_cbranch_execnz .LBB46_9
; %bb.10:
	s_or_b32 exec_lo, exec_lo, s4
.LBB46_11:
	s_delay_alu instid0(SALU_CYCLE_1)
	s_or_b32 exec_lo, exec_lo, s3
	s_cbranch_execz .LBB46_13
	s_branch .LBB46_18
.LBB46_12:
                                        ; implicit-def: $vgpr0_vgpr1
                                        ; implicit-def: $vgpr8_vgpr9
                                        ; implicit-def: $vgpr10_vgpr11
                                        ; implicit-def: $vgpr12_vgpr13
.LBB46_13:
	v_mov_b64_e32 v[0:1], 0
	v_mov_b64_e32 v[8:9], 0
	;; [unrolled: 1-line block ×4, first 2 shown]
	s_and_saveexec_b32 s3, s2
	s_cbranch_execz .LBB46_17
; %bb.14:
	v_mov_b64_e32 v[0:1], 0
	v_mov_b64_e32 v[8:9], 0
	;; [unrolled: 1-line block ×4, first 2 shown]
	v_dual_mov_b32 v15, 0 :: v_dual_lshlrev_b32 v14, 3, v17
	s_mov_b32 s2, 0
.LBB46_15:                              ; =>This Inner Loop Header: Depth=1
	global_load_b32 v22, v17, s[6:7] scale_offset
	v_lshl_add_u64 v[38:39], v[14:15], 3, s[8:9]
	s_wait_xcnt 0x0
	v_add_nc_u32_e32 v17, 64, v17
	v_add_nc_u32_e32 v14, 0x200, v14
	global_load_b128 v[18:21], v[38:39], off offset:48
	v_cmp_ge_i32_e32 vcc_lo, v17, v16
	s_or_b32 s2, vcc_lo, s2
	s_wait_loadcnt 0x1
	v_subrev_nc_u32_e32 v26, s12, v22
	v_mov_b32_e32 v31, v15
	global_load_b128 v[22:25], v[38:39], off offset:32
	v_lshlrev_b32_e32 v30, 1, v26
	global_load_b128 v[26:29], v[38:39], off offset:16
	v_lshl_add_u64 v[40:41], v[30:31], 3, s[10:11]
	global_load_b128 v[30:33], v[38:39], off
	global_load_b128 v[34:37], v[40:41], off
	s_wait_loadcnt 0x0
	v_fmac_f64_e32 v[0:1], v[30:31], v[34:35]
	v_fmac_f64_e32 v[12:13], v[26:27], v[34:35]
	;; [unrolled: 1-line block ×4, first 2 shown]
	s_delay_alu instid0(VALU_DEP_4) | instskip(NEXT) | instid1(VALU_DEP_4)
	v_fmac_f64_e32 v[0:1], v[32:33], v[36:37]
	v_fmac_f64_e32 v[12:13], v[28:29], v[36:37]
	s_delay_alu instid0(VALU_DEP_4) | instskip(NEXT) | instid1(VALU_DEP_4)
	v_fmac_f64_e32 v[10:11], v[24:25], v[36:37]
	v_fmac_f64_e32 v[8:9], v[20:21], v[36:37]
	s_and_not1_b32 exec_lo, exec_lo, s2
	s_cbranch_execnz .LBB46_15
; %bb.16:
	s_or_b32 exec_lo, exec_lo, s2
.LBB46_17:
	s_delay_alu instid0(SALU_CYCLE_1)
	s_or_b32 exec_lo, exec_lo, s3
.LBB46_18:
	v_mbcnt_lo_u32_b32 v24, -1, 0
	s_delay_alu instid0(VALU_DEP_1) | instskip(NEXT) | instid1(VALU_DEP_1)
	v_or_b32_e32 v14, 32, v24
	v_cmp_gt_i32_e32 vcc_lo, 32, v14
	v_cndmask_b32_e32 v14, v24, v14, vcc_lo
	s_delay_alu instid0(VALU_DEP_1)
	v_lshlrev_b32_e32 v21, 2, v14
	ds_bpermute_b32 v16, v21, v12
	ds_bpermute_b32 v17, v21, v13
	s_wait_dscnt 0x0
	v_add_f64_e32 v[12:13], v[12:13], v[16:17]
	ds_bpermute_b32 v14, v21, v0
	ds_bpermute_b32 v15, v21, v1
	;; [unrolled: 1-line block ×6, first 2 shown]
	s_wait_dscnt 0x4
	v_dual_add_f64 v[0:1], v[0:1], v[14:15] :: v_dual_bitop2_b32 v14, 16, v24 bitop3:0x14
	s_wait_dscnt 0x2
	v_add_f64_e32 v[10:11], v[10:11], v[18:19]
	s_delay_alu instid0(VALU_DEP_2) | instskip(SKIP_2) | instid1(VALU_DEP_1)
	v_cmp_gt_i32_e32 vcc_lo, 32, v14
	v_cndmask_b32_e32 v14, v24, v14, vcc_lo
	s_wait_dscnt 0x0
	v_dual_add_f64 v[8:9], v[8:9], v[20:21] :: v_dual_lshlrev_b32 v21, 2, v14
	ds_bpermute_b32 v16, v21, v12
	ds_bpermute_b32 v17, v21, v13
	;; [unrolled: 1-line block ×8, first 2 shown]
	s_wait_dscnt 0x4
	v_dual_add_f64 v[0:1], v[0:1], v[14:15] :: v_dual_bitop2_b32 v14, 8, v24 bitop3:0x14
	s_wait_dscnt 0x2
	v_add_f64_e32 v[10:11], v[10:11], v[18:19]
	s_delay_alu instid0(VALU_DEP_2) | instskip(SKIP_3) | instid1(VALU_DEP_2)
	v_cmp_gt_i32_e32 vcc_lo, 32, v14
	v_cndmask_b32_e32 v14, v24, v14, vcc_lo
	v_add_f64_e32 v[12:13], v[12:13], v[16:17]
	s_wait_dscnt 0x0
	v_dual_add_f64 v[8:9], v[8:9], v[20:21] :: v_dual_lshlrev_b32 v21, 2, v14
	ds_bpermute_b32 v14, v21, v0
	ds_bpermute_b32 v15, v21, v1
	;; [unrolled: 1-line block ×5, first 2 shown]
	s_wait_dscnt 0x3
	v_dual_add_f64 v[0:1], v[0:1], v[14:15] :: v_dual_bitop2_b32 v14, 4, v24 bitop3:0x14
	ds_bpermute_b32 v18, v21, v10
	ds_bpermute_b32 v19, v21, v11
	;; [unrolled: 1-line block ×3, first 2 shown]
	v_cmp_gt_i32_e32 vcc_lo, 32, v14
	v_cndmask_b32_e32 v14, v24, v14, vcc_lo
	s_wait_dscnt 0x4
	v_add_f64_e32 v[12:13], v[12:13], v[16:17]
	s_wait_dscnt 0x1
	v_add_f64_e32 v[10:11], v[10:11], v[18:19]
	s_wait_dscnt 0x0
	v_dual_add_f64 v[8:9], v[8:9], v[20:21] :: v_dual_lshlrev_b32 v21, 2, v14
	ds_bpermute_b32 v14, v21, v0
	ds_bpermute_b32 v15, v21, v1
	;; [unrolled: 1-line block ×4, first 2 shown]
	s_wait_dscnt 0x2
	v_add_f64_e32 v[0:1], v[0:1], v[14:15]
	ds_bpermute_b32 v18, v21, v10
	ds_bpermute_b32 v19, v21, v11
	s_wait_dscnt 0x2
	v_add_f64_e32 v[14:15], v[12:13], v[16:17]
	s_wait_dscnt 0x0
	v_dual_add_f64 v[16:17], v[10:11], v[18:19] :: v_dual_bitop2_b32 v10, 2, v24 bitop3:0x14
	s_delay_alu instid0(VALU_DEP_1) | instskip(SKIP_1) | instid1(VALU_DEP_1)
	v_cmp_gt_i32_e32 vcc_lo, 32, v10
	v_cndmask_b32_e32 v10, v24, v10, vcc_lo
	v_lshlrev_b32_e32 v12, 2, v10
	ds_bpermute_b32 v20, v21, v8
	ds_bpermute_b32 v21, v21, v9
	;; [unrolled: 1-line block ×6, first 2 shown]
	s_wait_dscnt 0x4
	v_add_f64_e32 v[8:9], v[8:9], v[20:21]
	ds_bpermute_b32 v20, v12, v16
	ds_bpermute_b32 v21, v12, v17
	;; [unrolled: 1-line block ×4, first 2 shown]
	s_wait_dscnt 0x6
	v_add_f64_e32 v[12:13], v[0:1], v[10:11]
	s_wait_dscnt 0x4
	v_add_f64_e32 v[10:11], v[14:15], v[18:19]
	;; [unrolled: 2-line block ×3, first 2 shown]
	v_xor_b32_e32 v14, 1, v24
	s_delay_alu instid0(VALU_DEP_1) | instskip(SKIP_2) | instid1(VALU_DEP_2)
	v_cmp_gt_i32_e32 vcc_lo, 32, v14
	v_cndmask_b32_e32 v14, v24, v14, vcc_lo
	v_cmp_eq_u32_e32 vcc_lo, 63, v7
	v_lshlrev_b32_e32 v15, 2, v14
	s_wait_dscnt 0x0
	v_add_f64_e32 v[8:9], v[8:9], v[22:23]
	ds_bpermute_b32 v20, v15, v12
	ds_bpermute_b32 v21, v15, v13
	;; [unrolled: 1-line block ×8, first 2 shown]
	s_and_b32 exec_lo, exec_lo, vcc_lo
	s_cbranch_execz .LBB46_23
; %bb.19:
	s_wait_dscnt 0x6
	v_add_f64_e32 v[12:13], v[12:13], v[20:21]
	s_wait_dscnt 0x4
	v_add_f64_e32 v[10:11], v[10:11], v[18:19]
	;; [unrolled: 2-line block ×4, first 2 shown]
	s_load_b64 s[0:1], s[0:1], 0x38
	s_mov_b32 s2, exec_lo
	v_cmpx_eq_f64_e32 0, v[4:5]
	s_xor_b32 s2, exec_lo, s2
	s_cbranch_execz .LBB46_21
; %bb.20:
	v_dual_mul_f64 v[12:13], v[2:3], v[12:13] :: v_dual_lshlrev_b32 v4, 2, v6
	v_mul_f64_e32 v[14:15], v[2:3], v[10:11]
	v_mul_f64_e32 v[0:1], v[2:3], v[0:1]
	;; [unrolled: 1-line block ×3, first 2 shown]
                                        ; implicit-def: $vgpr6
                                        ; implicit-def: $vgpr10_vgpr11
                                        ; implicit-def: $vgpr8_vgpr9
	s_delay_alu instid0(VALU_DEP_4) | instskip(SKIP_1) | instid1(VALU_DEP_1)
	v_ashrrev_i32_e32 v5, 31, v4
	s_wait_kmcnt 0x0
	v_lshl_add_u64 v[4:5], v[4:5], 3, s[0:1]
	s_clause 0x1
	global_store_b128 v[4:5], v[12:15], off
	global_store_b128 v[4:5], v[0:3], off offset:16
                                        ; implicit-def: $vgpr2_vgpr3
                                        ; implicit-def: $vgpr12_vgpr13
                                        ; implicit-def: $vgpr4_vgpr5
                                        ; implicit-def: $vgpr0_vgpr1
.LBB46_21:
	s_wait_xcnt 0x0
	s_and_not1_saveexec_b32 s2, s2
	s_cbranch_execz .LBB46_23
; %bb.22:
	v_dual_mul_f64 v[22:23], v[2:3], v[12:13] :: v_dual_lshlrev_b32 v6, 2, v6
	v_mul_f64_e32 v[24:25], v[2:3], v[10:11]
	v_mul_f64_e32 v[0:1], v[2:3], v[0:1]
	s_delay_alu instid0(VALU_DEP_3) | instskip(SKIP_1) | instid1(VALU_DEP_1)
	v_dual_mul_f64 v[2:3], v[2:3], v[8:9] :: v_dual_ashrrev_i32 v7, 31, v6
	s_wait_kmcnt 0x0
	v_lshl_add_u64 v[6:7], v[6:7], 3, s[0:1]
	s_clause 0x1
	global_load_b128 v[14:17], v[6:7], off
	global_load_b128 v[18:21], v[6:7], off offset:16
	s_wait_loadcnt 0x1
	v_fmac_f64_e32 v[22:23], v[4:5], v[14:15]
	v_fmac_f64_e32 v[24:25], v[4:5], v[16:17]
	s_wait_loadcnt 0x0
	v_fmac_f64_e32 v[0:1], v[4:5], v[18:19]
	v_fmac_f64_e32 v[2:3], v[4:5], v[20:21]
	s_clause 0x1
	global_store_b128 v[6:7], v[22:25], off
	global_store_b128 v[6:7], v[0:3], off offset:16
.LBB46_23:
	s_endpgm
	.section	.rodata,"a",@progbits
	.p2align	6, 0x0
	.amdhsa_kernel _ZN9rocsparseL19gebsrmvn_4xn_kernelILj128ELj2ELj64EdEEvi20rocsparse_direction_NS_24const_host_device_scalarIT2_EEPKiS6_PKS3_S8_S4_PS3_21rocsparse_index_base_b
		.amdhsa_group_segment_fixed_size 0
		.amdhsa_private_segment_fixed_size 0
		.amdhsa_kernarg_size 72
		.amdhsa_user_sgpr_count 2
		.amdhsa_user_sgpr_dispatch_ptr 0
		.amdhsa_user_sgpr_queue_ptr 0
		.amdhsa_user_sgpr_kernarg_segment_ptr 1
		.amdhsa_user_sgpr_dispatch_id 0
		.amdhsa_user_sgpr_kernarg_preload_length 0
		.amdhsa_user_sgpr_kernarg_preload_offset 0
		.amdhsa_user_sgpr_private_segment_size 0
		.amdhsa_wavefront_size32 1
		.amdhsa_uses_dynamic_stack 0
		.amdhsa_enable_private_segment 0
		.amdhsa_system_sgpr_workgroup_id_x 1
		.amdhsa_system_sgpr_workgroup_id_y 0
		.amdhsa_system_sgpr_workgroup_id_z 0
		.amdhsa_system_sgpr_workgroup_info 0
		.amdhsa_system_vgpr_workitem_id 0
		.amdhsa_next_free_vgpr 44
		.amdhsa_next_free_sgpr 14
		.amdhsa_named_barrier_count 0
		.amdhsa_reserve_vcc 1
		.amdhsa_float_round_mode_32 0
		.amdhsa_float_round_mode_16_64 0
		.amdhsa_float_denorm_mode_32 3
		.amdhsa_float_denorm_mode_16_64 3
		.amdhsa_fp16_overflow 0
		.amdhsa_memory_ordered 1
		.amdhsa_forward_progress 1
		.amdhsa_inst_pref_size 15
		.amdhsa_round_robin_scheduling 0
		.amdhsa_exception_fp_ieee_invalid_op 0
		.amdhsa_exception_fp_denorm_src 0
		.amdhsa_exception_fp_ieee_div_zero 0
		.amdhsa_exception_fp_ieee_overflow 0
		.amdhsa_exception_fp_ieee_underflow 0
		.amdhsa_exception_fp_ieee_inexact 0
		.amdhsa_exception_int_div_zero 0
	.end_amdhsa_kernel
	.section	.text._ZN9rocsparseL19gebsrmvn_4xn_kernelILj128ELj2ELj64EdEEvi20rocsparse_direction_NS_24const_host_device_scalarIT2_EEPKiS6_PKS3_S8_S4_PS3_21rocsparse_index_base_b,"axG",@progbits,_ZN9rocsparseL19gebsrmvn_4xn_kernelILj128ELj2ELj64EdEEvi20rocsparse_direction_NS_24const_host_device_scalarIT2_EEPKiS6_PKS3_S8_S4_PS3_21rocsparse_index_base_b,comdat
.Lfunc_end46:
	.size	_ZN9rocsparseL19gebsrmvn_4xn_kernelILj128ELj2ELj64EdEEvi20rocsparse_direction_NS_24const_host_device_scalarIT2_EEPKiS6_PKS3_S8_S4_PS3_21rocsparse_index_base_b, .Lfunc_end46-_ZN9rocsparseL19gebsrmvn_4xn_kernelILj128ELj2ELj64EdEEvi20rocsparse_direction_NS_24const_host_device_scalarIT2_EEPKiS6_PKS3_S8_S4_PS3_21rocsparse_index_base_b
                                        ; -- End function
	.set _ZN9rocsparseL19gebsrmvn_4xn_kernelILj128ELj2ELj64EdEEvi20rocsparse_direction_NS_24const_host_device_scalarIT2_EEPKiS6_PKS3_S8_S4_PS3_21rocsparse_index_base_b.num_vgpr, 44
	.set _ZN9rocsparseL19gebsrmvn_4xn_kernelILj128ELj2ELj64EdEEvi20rocsparse_direction_NS_24const_host_device_scalarIT2_EEPKiS6_PKS3_S8_S4_PS3_21rocsparse_index_base_b.num_agpr, 0
	.set _ZN9rocsparseL19gebsrmvn_4xn_kernelILj128ELj2ELj64EdEEvi20rocsparse_direction_NS_24const_host_device_scalarIT2_EEPKiS6_PKS3_S8_S4_PS3_21rocsparse_index_base_b.numbered_sgpr, 14
	.set _ZN9rocsparseL19gebsrmvn_4xn_kernelILj128ELj2ELj64EdEEvi20rocsparse_direction_NS_24const_host_device_scalarIT2_EEPKiS6_PKS3_S8_S4_PS3_21rocsparse_index_base_b.num_named_barrier, 0
	.set _ZN9rocsparseL19gebsrmvn_4xn_kernelILj128ELj2ELj64EdEEvi20rocsparse_direction_NS_24const_host_device_scalarIT2_EEPKiS6_PKS3_S8_S4_PS3_21rocsparse_index_base_b.private_seg_size, 0
	.set _ZN9rocsparseL19gebsrmvn_4xn_kernelILj128ELj2ELj64EdEEvi20rocsparse_direction_NS_24const_host_device_scalarIT2_EEPKiS6_PKS3_S8_S4_PS3_21rocsparse_index_base_b.uses_vcc, 1
	.set _ZN9rocsparseL19gebsrmvn_4xn_kernelILj128ELj2ELj64EdEEvi20rocsparse_direction_NS_24const_host_device_scalarIT2_EEPKiS6_PKS3_S8_S4_PS3_21rocsparse_index_base_b.uses_flat_scratch, 0
	.set _ZN9rocsparseL19gebsrmvn_4xn_kernelILj128ELj2ELj64EdEEvi20rocsparse_direction_NS_24const_host_device_scalarIT2_EEPKiS6_PKS3_S8_S4_PS3_21rocsparse_index_base_b.has_dyn_sized_stack, 0
	.set _ZN9rocsparseL19gebsrmvn_4xn_kernelILj128ELj2ELj64EdEEvi20rocsparse_direction_NS_24const_host_device_scalarIT2_EEPKiS6_PKS3_S8_S4_PS3_21rocsparse_index_base_b.has_recursion, 0
	.set _ZN9rocsparseL19gebsrmvn_4xn_kernelILj128ELj2ELj64EdEEvi20rocsparse_direction_NS_24const_host_device_scalarIT2_EEPKiS6_PKS3_S8_S4_PS3_21rocsparse_index_base_b.has_indirect_call, 0
	.section	.AMDGPU.csdata,"",@progbits
; Kernel info:
; codeLenInByte = 1796
; TotalNumSgprs: 16
; NumVgprs: 44
; ScratchSize: 0
; MemoryBound: 0
; FloatMode: 240
; IeeeMode: 1
; LDSByteSize: 0 bytes/workgroup (compile time only)
; SGPRBlocks: 0
; VGPRBlocks: 2
; NumSGPRsForWavesPerEU: 16
; NumVGPRsForWavesPerEU: 44
; NamedBarCnt: 0
; Occupancy: 16
; WaveLimiterHint : 1
; COMPUTE_PGM_RSRC2:SCRATCH_EN: 0
; COMPUTE_PGM_RSRC2:USER_SGPR: 2
; COMPUTE_PGM_RSRC2:TRAP_HANDLER: 0
; COMPUTE_PGM_RSRC2:TGID_X_EN: 1
; COMPUTE_PGM_RSRC2:TGID_Y_EN: 0
; COMPUTE_PGM_RSRC2:TGID_Z_EN: 0
; COMPUTE_PGM_RSRC2:TIDIG_COMP_CNT: 0
	.section	.text._ZN9rocsparseL19gebsrmvn_4xn_kernelILj128ELj3ELj4EdEEvi20rocsparse_direction_NS_24const_host_device_scalarIT2_EEPKiS6_PKS3_S8_S4_PS3_21rocsparse_index_base_b,"axG",@progbits,_ZN9rocsparseL19gebsrmvn_4xn_kernelILj128ELj3ELj4EdEEvi20rocsparse_direction_NS_24const_host_device_scalarIT2_EEPKiS6_PKS3_S8_S4_PS3_21rocsparse_index_base_b,comdat
	.globl	_ZN9rocsparseL19gebsrmvn_4xn_kernelILj128ELj3ELj4EdEEvi20rocsparse_direction_NS_24const_host_device_scalarIT2_EEPKiS6_PKS3_S8_S4_PS3_21rocsparse_index_base_b ; -- Begin function _ZN9rocsparseL19gebsrmvn_4xn_kernelILj128ELj3ELj4EdEEvi20rocsparse_direction_NS_24const_host_device_scalarIT2_EEPKiS6_PKS3_S8_S4_PS3_21rocsparse_index_base_b
	.p2align	8
	.type	_ZN9rocsparseL19gebsrmvn_4xn_kernelILj128ELj3ELj4EdEEvi20rocsparse_direction_NS_24const_host_device_scalarIT2_EEPKiS6_PKS3_S8_S4_PS3_21rocsparse_index_base_b,@function
_ZN9rocsparseL19gebsrmvn_4xn_kernelILj128ELj3ELj4EdEEvi20rocsparse_direction_NS_24const_host_device_scalarIT2_EEPKiS6_PKS3_S8_S4_PS3_21rocsparse_index_base_b: ; @_ZN9rocsparseL19gebsrmvn_4xn_kernelILj128ELj3ELj4EdEEvi20rocsparse_direction_NS_24const_host_device_scalarIT2_EEPKiS6_PKS3_S8_S4_PS3_21rocsparse_index_base_b
; %bb.0:
	s_clause 0x2
	s_load_b64 s[12:13], s[0:1], 0x40
	s_load_b64 s[4:5], s[0:1], 0x8
	;; [unrolled: 1-line block ×3, first 2 shown]
	s_wait_kmcnt 0x0
	s_bitcmp1_b32 s13, 0
	v_mov_b64_e32 v[2:3], s[4:5]
	s_cselect_b32 s6, -1, 0
	s_delay_alu instid0(SALU_CYCLE_1)
	s_and_b32 vcc_lo, exec_lo, s6
	s_xor_b32 s6, s6, -1
	s_cbranch_vccnz .LBB47_2
; %bb.1:
	v_mov_b32_e32 v1, 0
	flat_load_b64 v[2:3], v1, s[4:5]
.LBB47_2:
	v_mov_b64_e32 v[4:5], s[2:3]
	s_and_not1_b32 vcc_lo, exec_lo, s6
	s_cbranch_vccnz .LBB47_4
; %bb.3:
	s_wait_xcnt 0x0
	v_mov_b32_e32 v1, 0
	flat_load_b64 v[4:5], v1, s[2:3]
.LBB47_4:
	s_wait_loadcnt_dscnt 0x0
	v_cmp_neq_f64_e32 vcc_lo, 0, v[2:3]
	s_delay_alu instid0(VALU_DEP_2) | instskip(SKIP_1) | instid1(SALU_CYCLE_1)
	v_cmp_neq_f64_e64 s2, 1.0, v[4:5]
	s_or_b32 s2, vcc_lo, s2
	s_and_saveexec_b32 s3, s2
	s_cbranch_execz .LBB47_23
; %bb.5:
	s_load_b64 s[2:3], s[0:1], 0x0
	s_bfe_u32 s4, ttmp6, 0x4000c
	s_and_b32 s5, ttmp6, 15
	s_add_co_i32 s4, s4, 1
	s_getreg_b32 s6, hwreg(HW_REG_IB_STS2, 6, 4)
	s_mul_i32 s4, ttmp9, s4
	v_lshrrev_b32_e32 v1, 2, v0
	s_add_co_i32 s5, s5, s4
	s_cmp_eq_u32 s6, 0
	s_cselect_b32 s4, ttmp9, s5
	s_delay_alu instid0(VALU_DEP_1) | instid1(SALU_CYCLE_1)
	v_lshl_or_b32 v6, s4, 5, v1
	s_wait_kmcnt 0x0
	s_delay_alu instid0(VALU_DEP_1)
	v_cmp_gt_i32_e32 vcc_lo, s2, v6
	s_and_b32 exec_lo, exec_lo, vcc_lo
	s_cbranch_execz .LBB47_23
; %bb.6:
	s_load_b256 s[4:11], s[0:1], 0x10
	v_ashrrev_i32_e32 v7, 31, v6
	s_cmp_lg_u32 s3, 0
	s_wait_kmcnt 0x0
	s_delay_alu instid0(VALU_DEP_1)
	v_lshl_add_u64 v[8:9], v[6:7], 2, s[4:5]
	v_and_b32_e32 v7, 3, v0
	global_load_b64 v[8:9], v[8:9], off
	s_wait_loadcnt 0x0
	v_subrev_nc_u32_e32 v0, s12, v8
	v_subrev_nc_u32_e32 v16, s12, v9
	s_delay_alu instid0(VALU_DEP_2) | instskip(NEXT) | instid1(VALU_DEP_1)
	v_add_nc_u32_e32 v17, v0, v7
	v_cmp_lt_i32_e64 s2, v17, v16
	s_cbranch_scc0 .LBB47_12
; %bb.7:
	v_mov_b64_e32 v[0:1], 0
	v_mov_b64_e32 v[8:9], 0
	;; [unrolled: 1-line block ×4, first 2 shown]
	s_and_saveexec_b32 s3, s2
	s_cbranch_execz .LBB47_11
; %bb.8:
	v_mul_lo_u32 v14, v17, 12
	v_mov_b64_e32 v[0:1], 0
	v_mov_b64_e32 v[8:9], 0
	;; [unrolled: 1-line block ×4, first 2 shown]
	v_dual_mov_b32 v15, 0 :: v_dual_mov_b32 v18, v17
	s_mov_b32 s4, 0
.LBB47_9:                               ; =>This Inner Loop Header: Depth=1
	global_load_b32 v19, v18, s[6:7] scale_offset
	v_lshl_add_u64 v[28:29], v[14:15], 3, s[8:9]
	s_wait_xcnt 0x0
	v_add_nc_u32_e32 v18, 4, v18
	global_load_b128 v[20:23], v[28:29], off offset:16
	v_cmp_ge_i32_e32 vcc_lo, v18, v16
	s_or_b32 s4, vcc_lo, s4
	s_wait_loadcnt 0x1
	v_subrev_nc_u32_e32 v19, s12, v19
	s_delay_alu instid0(VALU_DEP_1)
	v_lshl_add_u32 v19, v19, 1, v19
	global_load_b128 v[24:27], v[28:29], off
	global_load_b64 v[44:45], v19, s[10:11] scale_offset
	s_wait_xcnt 0x1
	v_dual_mov_b32 v29, v15 :: v_dual_add_nc_u32 v28, 4, v14
	s_wait_xcnt 0x0
	v_dual_add_nc_u32 v38, 1, v19 :: v_dual_add_nc_u32 v19, 2, v19
	s_delay_alu instid0(VALU_DEP_2)
	v_lshl_add_u64 v[36:37], v[28:29], 3, s[8:9]
	s_clause 0x1
	global_load_b128 v[28:31], v[36:37], off offset:16
	global_load_b128 v[32:35], v[36:37], off
	global_load_b64 v[46:47], v38, s[10:11] scale_offset
	s_wait_xcnt 0x1
	v_dual_mov_b32 v37, v15 :: v_dual_add_nc_u32 v36, 8, v14
	v_add_nc_u32_e32 v14, 48, v14
	s_delay_alu instid0(VALU_DEP_2)
	v_lshl_add_u64 v[48:49], v[36:37], 3, s[8:9]
	s_clause 0x1
	global_load_b128 v[36:39], v[48:49], off offset:16
	global_load_b128 v[40:43], v[48:49], off
	global_load_b64 v[50:51], v19, s[10:11] scale_offset
	s_wait_loadcnt 0x6
	v_fmac_f64_e32 v[0:1], v[24:25], v[44:45]
	v_fmac_f64_e32 v[12:13], v[26:27], v[44:45]
	;; [unrolled: 1-line block ×4, first 2 shown]
	s_wait_loadcnt 0x3
	s_delay_alu instid0(VALU_DEP_4) | instskip(NEXT) | instid1(VALU_DEP_4)
	v_fmac_f64_e32 v[0:1], v[32:33], v[46:47]
	v_fmac_f64_e32 v[12:13], v[34:35], v[46:47]
	s_delay_alu instid0(VALU_DEP_4) | instskip(NEXT) | instid1(VALU_DEP_4)
	v_fmac_f64_e32 v[10:11], v[28:29], v[46:47]
	v_fmac_f64_e32 v[8:9], v[30:31], v[46:47]
	s_wait_loadcnt 0x0
	s_delay_alu instid0(VALU_DEP_4) | instskip(NEXT) | instid1(VALU_DEP_4)
	v_fmac_f64_e32 v[0:1], v[40:41], v[50:51]
	v_fmac_f64_e32 v[12:13], v[42:43], v[50:51]
	s_delay_alu instid0(VALU_DEP_4) | instskip(NEXT) | instid1(VALU_DEP_4)
	v_fmac_f64_e32 v[10:11], v[36:37], v[50:51]
	v_fmac_f64_e32 v[8:9], v[38:39], v[50:51]
	s_and_not1_b32 exec_lo, exec_lo, s4
	s_cbranch_execnz .LBB47_9
; %bb.10:
	s_or_b32 exec_lo, exec_lo, s4
.LBB47_11:
	s_delay_alu instid0(SALU_CYCLE_1)
	s_or_b32 exec_lo, exec_lo, s3
	s_cbranch_execz .LBB47_13
	s_branch .LBB47_18
.LBB47_12:
                                        ; implicit-def: $vgpr0_vgpr1
                                        ; implicit-def: $vgpr8_vgpr9
                                        ; implicit-def: $vgpr10_vgpr11
                                        ; implicit-def: $vgpr12_vgpr13
.LBB47_13:
	v_mov_b64_e32 v[0:1], 0
	v_mov_b64_e32 v[8:9], 0
	;; [unrolled: 1-line block ×4, first 2 shown]
	s_and_saveexec_b32 s3, s2
	s_cbranch_execz .LBB47_17
; %bb.14:
	v_mad_u32 v18, v17, 12, 11
	v_mov_b64_e32 v[0:1], 0
	v_mov_b64_e32 v[8:9], 0
	;; [unrolled: 1-line block ×4, first 2 shown]
	v_mov_b32_e32 v15, 0
	s_mov_b32 s2, 0
.LBB47_15:                              ; =>This Inner Loop Header: Depth=1
	global_load_b32 v19, v17, s[6:7] scale_offset
	v_dual_add_nc_u32 v14, -11, v18 :: v_dual_add_nc_u32 v20, -5, v18
	v_dual_add_nc_u32 v21, -2, v18 :: v_dual_add_nc_u32 v38, -4, v18
	v_add_nc_u32_e32 v42, -1, v18
	s_delay_alu instid0(VALU_DEP_3)
	v_lshl_add_u64 v[28:29], v[14:15], 3, s[8:9]
	s_wait_xcnt 0x0
	v_dual_add_nc_u32 v17, 4, v17 :: v_dual_add_nc_u32 v46, -3, v18
	s_wait_loadcnt 0x0
	v_subrev_nc_u32_e32 v14, s12, v19
	v_add_nc_u32_e32 v19, -7, v18
	s_clause 0x2
	global_load_b64 v[30:31], v20, s[8:9] scale_offset
	global_load_b64 v[32:33], v21, s[8:9] scale_offset
	global_load_b128 v[20:23], v[28:29], off offset:16
	v_lshl_add_u32 v14, v14, 1, v14
	global_load_b128 v[24:27], v[28:29], off
	global_load_b64 v[34:35], v14, s[10:11] scale_offset
	s_clause 0x1
	global_load_b64 v[28:29], v19, s[8:9] scale_offset
	global_load_b64 v[36:37], v38, s[8:9] scale_offset
	s_wait_xcnt 0x1
	v_dual_add_nc_u32 v19, 1, v14 :: v_dual_add_nc_u32 v14, 2, v14
	global_load_b64 v[38:39], v42, s[8:9] scale_offset
	global_load_b64 v[40:41], v19, s[10:11] scale_offset
	s_wait_xcnt 0x0
	v_add_nc_u32_e32 v19, -6, v18
	s_clause 0x2
	global_load_b64 v[42:43], v19, s[8:9] scale_offset
	global_load_b64 v[44:45], v46, s[8:9] scale_offset
	;; [unrolled: 1-line block ×4, first 2 shown]
	s_wait_xcnt 0x1
	v_add_nc_u32_e32 v18, 48, v18
	v_cmp_ge_i32_e32 vcc_lo, v17, v16
	s_or_b32 s2, vcc_lo, s2
	s_wait_loadcnt 0x8
	v_fmac_f64_e32 v[0:1], v[24:25], v[34:35]
	v_fmac_f64_e32 v[12:13], v[22:23], v[34:35]
	;; [unrolled: 1-line block ×4, first 2 shown]
	s_wait_loadcnt 0x4
	s_delay_alu instid0(VALU_DEP_4) | instskip(NEXT) | instid1(VALU_DEP_4)
	v_fmac_f64_e32 v[0:1], v[26:27], v[40:41]
	v_fmac_f64_e32 v[12:13], v[28:29], v[40:41]
	s_delay_alu instid0(VALU_DEP_4) | instskip(NEXT) | instid1(VALU_DEP_4)
	v_fmac_f64_e32 v[10:11], v[36:37], v[40:41]
	v_fmac_f64_e32 v[8:9], v[38:39], v[40:41]
	s_wait_loadcnt 0x0
	s_delay_alu instid0(VALU_DEP_4) | instskip(NEXT) | instid1(VALU_DEP_4)
	v_fmac_f64_e32 v[0:1], v[20:21], v[48:49]
	v_fmac_f64_e32 v[12:13], v[42:43], v[48:49]
	s_delay_alu instid0(VALU_DEP_4) | instskip(NEXT) | instid1(VALU_DEP_4)
	v_fmac_f64_e32 v[10:11], v[44:45], v[48:49]
	v_fmac_f64_e32 v[8:9], v[46:47], v[48:49]
	s_and_not1_b32 exec_lo, exec_lo, s2
	s_cbranch_execnz .LBB47_15
; %bb.16:
	s_or_b32 exec_lo, exec_lo, s2
.LBB47_17:
	s_delay_alu instid0(SALU_CYCLE_1)
	s_or_b32 exec_lo, exec_lo, s3
.LBB47_18:
	v_mbcnt_lo_u32_b32 v24, -1, 0
	s_delay_alu instid0(VALU_DEP_1) | instskip(NEXT) | instid1(VALU_DEP_1)
	v_xor_b32_e32 v14, 2, v24
	v_cmp_gt_i32_e32 vcc_lo, 32, v14
	v_cndmask_b32_e32 v14, v24, v14, vcc_lo
	s_delay_alu instid0(VALU_DEP_1)
	v_lshlrev_b32_e32 v16, 2, v14
	ds_bpermute_b32 v14, v16, v0
	ds_bpermute_b32 v15, v16, v1
	;; [unrolled: 1-line block ×8, first 2 shown]
	s_wait_dscnt 0x6
	v_add_f64_e32 v[16:17], v[0:1], v[14:15]
	s_wait_dscnt 0x4
	v_add_f64_e32 v[14:15], v[12:13], v[18:19]
	;; [unrolled: 2-line block ×3, first 2 shown]
	s_wait_dscnt 0x0
	v_dual_add_f64 v[8:9], v[8:9], v[22:23] :: v_dual_bitop2_b32 v10, 1, v24 bitop3:0x14
	s_delay_alu instid0(VALU_DEP_1) | instskip(SKIP_2) | instid1(VALU_DEP_2)
	v_cmp_gt_i32_e32 vcc_lo, 32, v10
	v_cndmask_b32_e32 v10, v24, v10, vcc_lo
	v_cmp_eq_u32_e32 vcc_lo, 3, v7
	v_lshlrev_b32_e32 v19, 2, v10
	ds_bpermute_b32 v12, v19, v16
	ds_bpermute_b32 v13, v19, v17
	ds_bpermute_b32 v10, v19, v14
	ds_bpermute_b32 v11, v19, v15
	ds_bpermute_b32 v20, v19, v0
	ds_bpermute_b32 v21, v19, v1
	ds_bpermute_b32 v18, v19, v8
	ds_bpermute_b32 v19, v19, v9
	s_and_b32 exec_lo, exec_lo, vcc_lo
	s_cbranch_execz .LBB47_23
; %bb.19:
	s_wait_dscnt 0x6
	v_add_f64_e32 v[12:13], v[16:17], v[12:13]
	s_wait_dscnt 0x4
	v_add_f64_e32 v[10:11], v[14:15], v[10:11]
	;; [unrolled: 2-line block ×4, first 2 shown]
	s_load_b64 s[0:1], s[0:1], 0x38
	s_mov_b32 s2, exec_lo
	v_cmpx_eq_f64_e32 0, v[4:5]
	s_xor_b32 s2, exec_lo, s2
	s_cbranch_execz .LBB47_21
; %bb.20:
	v_dual_mul_f64 v[12:13], v[2:3], v[12:13] :: v_dual_lshlrev_b32 v4, 2, v6
	v_mul_f64_e32 v[14:15], v[2:3], v[10:11]
	v_mul_f64_e32 v[0:1], v[2:3], v[0:1]
	;; [unrolled: 1-line block ×3, first 2 shown]
                                        ; implicit-def: $vgpr6
                                        ; implicit-def: $vgpr10_vgpr11
                                        ; implicit-def: $vgpr8_vgpr9
	s_delay_alu instid0(VALU_DEP_4) | instskip(SKIP_1) | instid1(VALU_DEP_1)
	v_ashrrev_i32_e32 v5, 31, v4
	s_wait_kmcnt 0x0
	v_lshl_add_u64 v[4:5], v[4:5], 3, s[0:1]
	s_clause 0x1
	global_store_b128 v[4:5], v[12:15], off
	global_store_b128 v[4:5], v[0:3], off offset:16
                                        ; implicit-def: $vgpr2_vgpr3
                                        ; implicit-def: $vgpr12_vgpr13
                                        ; implicit-def: $vgpr4_vgpr5
                                        ; implicit-def: $vgpr0_vgpr1
.LBB47_21:
	s_wait_xcnt 0x0
	s_and_not1_saveexec_b32 s2, s2
	s_cbranch_execz .LBB47_23
; %bb.22:
	v_dual_mul_f64 v[22:23], v[2:3], v[12:13] :: v_dual_lshlrev_b32 v6, 2, v6
	v_mul_f64_e32 v[24:25], v[2:3], v[10:11]
	v_mul_f64_e32 v[0:1], v[2:3], v[0:1]
	s_delay_alu instid0(VALU_DEP_3) | instskip(SKIP_1) | instid1(VALU_DEP_1)
	v_dual_mul_f64 v[2:3], v[2:3], v[8:9] :: v_dual_ashrrev_i32 v7, 31, v6
	s_wait_kmcnt 0x0
	v_lshl_add_u64 v[6:7], v[6:7], 3, s[0:1]
	s_clause 0x1
	global_load_b128 v[14:17], v[6:7], off
	global_load_b128 v[18:21], v[6:7], off offset:16
	s_wait_loadcnt 0x1
	v_fmac_f64_e32 v[22:23], v[4:5], v[14:15]
	v_fmac_f64_e32 v[24:25], v[4:5], v[16:17]
	s_wait_loadcnt 0x0
	v_fmac_f64_e32 v[0:1], v[4:5], v[18:19]
	v_fmac_f64_e32 v[2:3], v[4:5], v[20:21]
	s_clause 0x1
	global_store_b128 v[6:7], v[22:25], off
	global_store_b128 v[6:7], v[0:3], off offset:16
.LBB47_23:
	s_endpgm
	.section	.rodata,"a",@progbits
	.p2align	6, 0x0
	.amdhsa_kernel _ZN9rocsparseL19gebsrmvn_4xn_kernelILj128ELj3ELj4EdEEvi20rocsparse_direction_NS_24const_host_device_scalarIT2_EEPKiS6_PKS3_S8_S4_PS3_21rocsparse_index_base_b
		.amdhsa_group_segment_fixed_size 0
		.amdhsa_private_segment_fixed_size 0
		.amdhsa_kernarg_size 72
		.amdhsa_user_sgpr_count 2
		.amdhsa_user_sgpr_dispatch_ptr 0
		.amdhsa_user_sgpr_queue_ptr 0
		.amdhsa_user_sgpr_kernarg_segment_ptr 1
		.amdhsa_user_sgpr_dispatch_id 0
		.amdhsa_user_sgpr_kernarg_preload_length 0
		.amdhsa_user_sgpr_kernarg_preload_offset 0
		.amdhsa_user_sgpr_private_segment_size 0
		.amdhsa_wavefront_size32 1
		.amdhsa_uses_dynamic_stack 0
		.amdhsa_enable_private_segment 0
		.amdhsa_system_sgpr_workgroup_id_x 1
		.amdhsa_system_sgpr_workgroup_id_y 0
		.amdhsa_system_sgpr_workgroup_id_z 0
		.amdhsa_system_sgpr_workgroup_info 0
		.amdhsa_system_vgpr_workitem_id 0
		.amdhsa_next_free_vgpr 52
		.amdhsa_next_free_sgpr 14
		.amdhsa_named_barrier_count 0
		.amdhsa_reserve_vcc 1
		.amdhsa_float_round_mode_32 0
		.amdhsa_float_round_mode_16_64 0
		.amdhsa_float_denorm_mode_32 3
		.amdhsa_float_denorm_mode_16_64 3
		.amdhsa_fp16_overflow 0
		.amdhsa_memory_ordered 1
		.amdhsa_forward_progress 1
		.amdhsa_inst_pref_size 13
		.amdhsa_round_robin_scheduling 0
		.amdhsa_exception_fp_ieee_invalid_op 0
		.amdhsa_exception_fp_denorm_src 0
		.amdhsa_exception_fp_ieee_div_zero 0
		.amdhsa_exception_fp_ieee_overflow 0
		.amdhsa_exception_fp_ieee_underflow 0
		.amdhsa_exception_fp_ieee_inexact 0
		.amdhsa_exception_int_div_zero 0
	.end_amdhsa_kernel
	.section	.text._ZN9rocsparseL19gebsrmvn_4xn_kernelILj128ELj3ELj4EdEEvi20rocsparse_direction_NS_24const_host_device_scalarIT2_EEPKiS6_PKS3_S8_S4_PS3_21rocsparse_index_base_b,"axG",@progbits,_ZN9rocsparseL19gebsrmvn_4xn_kernelILj128ELj3ELj4EdEEvi20rocsparse_direction_NS_24const_host_device_scalarIT2_EEPKiS6_PKS3_S8_S4_PS3_21rocsparse_index_base_b,comdat
.Lfunc_end47:
	.size	_ZN9rocsparseL19gebsrmvn_4xn_kernelILj128ELj3ELj4EdEEvi20rocsparse_direction_NS_24const_host_device_scalarIT2_EEPKiS6_PKS3_S8_S4_PS3_21rocsparse_index_base_b, .Lfunc_end47-_ZN9rocsparseL19gebsrmvn_4xn_kernelILj128ELj3ELj4EdEEvi20rocsparse_direction_NS_24const_host_device_scalarIT2_EEPKiS6_PKS3_S8_S4_PS3_21rocsparse_index_base_b
                                        ; -- End function
	.set _ZN9rocsparseL19gebsrmvn_4xn_kernelILj128ELj3ELj4EdEEvi20rocsparse_direction_NS_24const_host_device_scalarIT2_EEPKiS6_PKS3_S8_S4_PS3_21rocsparse_index_base_b.num_vgpr, 52
	.set _ZN9rocsparseL19gebsrmvn_4xn_kernelILj128ELj3ELj4EdEEvi20rocsparse_direction_NS_24const_host_device_scalarIT2_EEPKiS6_PKS3_S8_S4_PS3_21rocsparse_index_base_b.num_agpr, 0
	.set _ZN9rocsparseL19gebsrmvn_4xn_kernelILj128ELj3ELj4EdEEvi20rocsparse_direction_NS_24const_host_device_scalarIT2_EEPKiS6_PKS3_S8_S4_PS3_21rocsparse_index_base_b.numbered_sgpr, 14
	.set _ZN9rocsparseL19gebsrmvn_4xn_kernelILj128ELj3ELj4EdEEvi20rocsparse_direction_NS_24const_host_device_scalarIT2_EEPKiS6_PKS3_S8_S4_PS3_21rocsparse_index_base_b.num_named_barrier, 0
	.set _ZN9rocsparseL19gebsrmvn_4xn_kernelILj128ELj3ELj4EdEEvi20rocsparse_direction_NS_24const_host_device_scalarIT2_EEPKiS6_PKS3_S8_S4_PS3_21rocsparse_index_base_b.private_seg_size, 0
	.set _ZN9rocsparseL19gebsrmvn_4xn_kernelILj128ELj3ELj4EdEEvi20rocsparse_direction_NS_24const_host_device_scalarIT2_EEPKiS6_PKS3_S8_S4_PS3_21rocsparse_index_base_b.uses_vcc, 1
	.set _ZN9rocsparseL19gebsrmvn_4xn_kernelILj128ELj3ELj4EdEEvi20rocsparse_direction_NS_24const_host_device_scalarIT2_EEPKiS6_PKS3_S8_S4_PS3_21rocsparse_index_base_b.uses_flat_scratch, 0
	.set _ZN9rocsparseL19gebsrmvn_4xn_kernelILj128ELj3ELj4EdEEvi20rocsparse_direction_NS_24const_host_device_scalarIT2_EEPKiS6_PKS3_S8_S4_PS3_21rocsparse_index_base_b.has_dyn_sized_stack, 0
	.set _ZN9rocsparseL19gebsrmvn_4xn_kernelILj128ELj3ELj4EdEEvi20rocsparse_direction_NS_24const_host_device_scalarIT2_EEPKiS6_PKS3_S8_S4_PS3_21rocsparse_index_base_b.has_recursion, 0
	.set _ZN9rocsparseL19gebsrmvn_4xn_kernelILj128ELj3ELj4EdEEvi20rocsparse_direction_NS_24const_host_device_scalarIT2_EEPKiS6_PKS3_S8_S4_PS3_21rocsparse_index_base_b.has_indirect_call, 0
	.section	.AMDGPU.csdata,"",@progbits
; Kernel info:
; codeLenInByte = 1652
; TotalNumSgprs: 16
; NumVgprs: 52
; ScratchSize: 0
; MemoryBound: 0
; FloatMode: 240
; IeeeMode: 1
; LDSByteSize: 0 bytes/workgroup (compile time only)
; SGPRBlocks: 0
; VGPRBlocks: 3
; NumSGPRsForWavesPerEU: 16
; NumVGPRsForWavesPerEU: 52
; NamedBarCnt: 0
; Occupancy: 16
; WaveLimiterHint : 1
; COMPUTE_PGM_RSRC2:SCRATCH_EN: 0
; COMPUTE_PGM_RSRC2:USER_SGPR: 2
; COMPUTE_PGM_RSRC2:TRAP_HANDLER: 0
; COMPUTE_PGM_RSRC2:TGID_X_EN: 1
; COMPUTE_PGM_RSRC2:TGID_Y_EN: 0
; COMPUTE_PGM_RSRC2:TGID_Z_EN: 0
; COMPUTE_PGM_RSRC2:TIDIG_COMP_CNT: 0
	.section	.text._ZN9rocsparseL19gebsrmvn_4xn_kernelILj128ELj3ELj8EdEEvi20rocsparse_direction_NS_24const_host_device_scalarIT2_EEPKiS6_PKS3_S8_S4_PS3_21rocsparse_index_base_b,"axG",@progbits,_ZN9rocsparseL19gebsrmvn_4xn_kernelILj128ELj3ELj8EdEEvi20rocsparse_direction_NS_24const_host_device_scalarIT2_EEPKiS6_PKS3_S8_S4_PS3_21rocsparse_index_base_b,comdat
	.globl	_ZN9rocsparseL19gebsrmvn_4xn_kernelILj128ELj3ELj8EdEEvi20rocsparse_direction_NS_24const_host_device_scalarIT2_EEPKiS6_PKS3_S8_S4_PS3_21rocsparse_index_base_b ; -- Begin function _ZN9rocsparseL19gebsrmvn_4xn_kernelILj128ELj3ELj8EdEEvi20rocsparse_direction_NS_24const_host_device_scalarIT2_EEPKiS6_PKS3_S8_S4_PS3_21rocsparse_index_base_b
	.p2align	8
	.type	_ZN9rocsparseL19gebsrmvn_4xn_kernelILj128ELj3ELj8EdEEvi20rocsparse_direction_NS_24const_host_device_scalarIT2_EEPKiS6_PKS3_S8_S4_PS3_21rocsparse_index_base_b,@function
_ZN9rocsparseL19gebsrmvn_4xn_kernelILj128ELj3ELj8EdEEvi20rocsparse_direction_NS_24const_host_device_scalarIT2_EEPKiS6_PKS3_S8_S4_PS3_21rocsparse_index_base_b: ; @_ZN9rocsparseL19gebsrmvn_4xn_kernelILj128ELj3ELj8EdEEvi20rocsparse_direction_NS_24const_host_device_scalarIT2_EEPKiS6_PKS3_S8_S4_PS3_21rocsparse_index_base_b
; %bb.0:
	s_clause 0x2
	s_load_b64 s[12:13], s[0:1], 0x40
	s_load_b64 s[4:5], s[0:1], 0x8
	;; [unrolled: 1-line block ×3, first 2 shown]
	s_wait_kmcnt 0x0
	s_bitcmp1_b32 s13, 0
	v_mov_b64_e32 v[2:3], s[4:5]
	s_cselect_b32 s6, -1, 0
	s_delay_alu instid0(SALU_CYCLE_1)
	s_and_b32 vcc_lo, exec_lo, s6
	s_xor_b32 s6, s6, -1
	s_cbranch_vccnz .LBB48_2
; %bb.1:
	v_mov_b32_e32 v1, 0
	flat_load_b64 v[2:3], v1, s[4:5]
.LBB48_2:
	v_mov_b64_e32 v[4:5], s[2:3]
	s_and_not1_b32 vcc_lo, exec_lo, s6
	s_cbranch_vccnz .LBB48_4
; %bb.3:
	s_wait_xcnt 0x0
	v_mov_b32_e32 v1, 0
	flat_load_b64 v[4:5], v1, s[2:3]
.LBB48_4:
	s_wait_loadcnt_dscnt 0x0
	v_cmp_neq_f64_e32 vcc_lo, 0, v[2:3]
	s_delay_alu instid0(VALU_DEP_2) | instskip(SKIP_1) | instid1(SALU_CYCLE_1)
	v_cmp_neq_f64_e64 s2, 1.0, v[4:5]
	s_or_b32 s2, vcc_lo, s2
	s_and_saveexec_b32 s3, s2
	s_cbranch_execz .LBB48_23
; %bb.5:
	s_load_b64 s[2:3], s[0:1], 0x0
	s_bfe_u32 s4, ttmp6, 0x4000c
	s_and_b32 s5, ttmp6, 15
	s_add_co_i32 s4, s4, 1
	s_getreg_b32 s6, hwreg(HW_REG_IB_STS2, 6, 4)
	s_mul_i32 s4, ttmp9, s4
	v_lshrrev_b32_e32 v1, 3, v0
	s_add_co_i32 s5, s5, s4
	s_cmp_eq_u32 s6, 0
	s_cselect_b32 s4, ttmp9, s5
	s_delay_alu instid0(VALU_DEP_1) | instid1(SALU_CYCLE_1)
	v_lshl_or_b32 v6, s4, 4, v1
	s_wait_kmcnt 0x0
	s_delay_alu instid0(VALU_DEP_1)
	v_cmp_gt_i32_e32 vcc_lo, s2, v6
	s_and_b32 exec_lo, exec_lo, vcc_lo
	s_cbranch_execz .LBB48_23
; %bb.6:
	s_load_b256 s[4:11], s[0:1], 0x10
	v_ashrrev_i32_e32 v7, 31, v6
	s_cmp_lg_u32 s3, 0
	s_wait_kmcnt 0x0
	s_delay_alu instid0(VALU_DEP_1)
	v_lshl_add_u64 v[8:9], v[6:7], 2, s[4:5]
	v_and_b32_e32 v7, 7, v0
	global_load_b64 v[8:9], v[8:9], off
	s_wait_loadcnt 0x0
	v_subrev_nc_u32_e32 v0, s12, v8
	v_subrev_nc_u32_e32 v16, s12, v9
	s_delay_alu instid0(VALU_DEP_2) | instskip(NEXT) | instid1(VALU_DEP_1)
	v_add_nc_u32_e32 v17, v0, v7
	v_cmp_lt_i32_e64 s2, v17, v16
	s_cbranch_scc0 .LBB48_12
; %bb.7:
	v_mov_b64_e32 v[0:1], 0
	v_mov_b64_e32 v[8:9], 0
	;; [unrolled: 1-line block ×4, first 2 shown]
	s_and_saveexec_b32 s3, s2
	s_cbranch_execz .LBB48_11
; %bb.8:
	v_mul_lo_u32 v14, v17, 12
	v_mov_b64_e32 v[0:1], 0
	v_mov_b64_e32 v[8:9], 0
	;; [unrolled: 1-line block ×4, first 2 shown]
	v_dual_mov_b32 v15, 0 :: v_dual_mov_b32 v18, v17
	s_mov_b32 s4, 0
.LBB48_9:                               ; =>This Inner Loop Header: Depth=1
	global_load_b32 v19, v18, s[6:7] scale_offset
	v_lshl_add_u64 v[28:29], v[14:15], 3, s[8:9]
	s_wait_xcnt 0x0
	v_add_nc_u32_e32 v18, 8, v18
	global_load_b128 v[20:23], v[28:29], off offset:16
	v_cmp_ge_i32_e32 vcc_lo, v18, v16
	s_or_b32 s4, vcc_lo, s4
	s_wait_loadcnt 0x1
	v_subrev_nc_u32_e32 v19, s12, v19
	s_delay_alu instid0(VALU_DEP_1)
	v_lshl_add_u32 v19, v19, 1, v19
	global_load_b128 v[24:27], v[28:29], off
	global_load_b64 v[44:45], v19, s[10:11] scale_offset
	s_wait_xcnt 0x1
	v_dual_mov_b32 v29, v15 :: v_dual_add_nc_u32 v28, 4, v14
	s_wait_xcnt 0x0
	v_dual_add_nc_u32 v38, 1, v19 :: v_dual_add_nc_u32 v19, 2, v19
	s_delay_alu instid0(VALU_DEP_2)
	v_lshl_add_u64 v[36:37], v[28:29], 3, s[8:9]
	s_clause 0x1
	global_load_b128 v[28:31], v[36:37], off offset:16
	global_load_b128 v[32:35], v[36:37], off
	global_load_b64 v[46:47], v38, s[10:11] scale_offset
	s_wait_xcnt 0x1
	v_dual_mov_b32 v37, v15 :: v_dual_add_nc_u32 v36, 8, v14
	v_add_nc_u32_e32 v14, 0x60, v14
	s_delay_alu instid0(VALU_DEP_2)
	v_lshl_add_u64 v[48:49], v[36:37], 3, s[8:9]
	s_clause 0x1
	global_load_b128 v[36:39], v[48:49], off offset:16
	global_load_b128 v[40:43], v[48:49], off
	global_load_b64 v[50:51], v19, s[10:11] scale_offset
	s_wait_loadcnt 0x6
	v_fmac_f64_e32 v[0:1], v[24:25], v[44:45]
	v_fmac_f64_e32 v[12:13], v[26:27], v[44:45]
	;; [unrolled: 1-line block ×4, first 2 shown]
	s_wait_loadcnt 0x3
	s_delay_alu instid0(VALU_DEP_4) | instskip(NEXT) | instid1(VALU_DEP_4)
	v_fmac_f64_e32 v[0:1], v[32:33], v[46:47]
	v_fmac_f64_e32 v[12:13], v[34:35], v[46:47]
	s_delay_alu instid0(VALU_DEP_4) | instskip(NEXT) | instid1(VALU_DEP_4)
	v_fmac_f64_e32 v[10:11], v[28:29], v[46:47]
	v_fmac_f64_e32 v[8:9], v[30:31], v[46:47]
	s_wait_loadcnt 0x0
	s_delay_alu instid0(VALU_DEP_4) | instskip(NEXT) | instid1(VALU_DEP_4)
	v_fmac_f64_e32 v[0:1], v[40:41], v[50:51]
	v_fmac_f64_e32 v[12:13], v[42:43], v[50:51]
	s_delay_alu instid0(VALU_DEP_4) | instskip(NEXT) | instid1(VALU_DEP_4)
	v_fmac_f64_e32 v[10:11], v[36:37], v[50:51]
	v_fmac_f64_e32 v[8:9], v[38:39], v[50:51]
	s_and_not1_b32 exec_lo, exec_lo, s4
	s_cbranch_execnz .LBB48_9
; %bb.10:
	s_or_b32 exec_lo, exec_lo, s4
.LBB48_11:
	s_delay_alu instid0(SALU_CYCLE_1)
	s_or_b32 exec_lo, exec_lo, s3
	s_cbranch_execz .LBB48_13
	s_branch .LBB48_18
.LBB48_12:
                                        ; implicit-def: $vgpr0_vgpr1
                                        ; implicit-def: $vgpr8_vgpr9
                                        ; implicit-def: $vgpr10_vgpr11
                                        ; implicit-def: $vgpr12_vgpr13
.LBB48_13:
	v_mov_b64_e32 v[0:1], 0
	v_mov_b64_e32 v[8:9], 0
	;; [unrolled: 1-line block ×4, first 2 shown]
	s_and_saveexec_b32 s3, s2
	s_cbranch_execz .LBB48_17
; %bb.14:
	v_mad_u32 v18, v17, 12, 11
	v_mov_b64_e32 v[0:1], 0
	v_mov_b64_e32 v[8:9], 0
	;; [unrolled: 1-line block ×4, first 2 shown]
	v_mov_b32_e32 v15, 0
	s_mov_b32 s2, 0
.LBB48_15:                              ; =>This Inner Loop Header: Depth=1
	global_load_b32 v19, v17, s[6:7] scale_offset
	v_dual_add_nc_u32 v14, -11, v18 :: v_dual_add_nc_u32 v20, -5, v18
	v_dual_add_nc_u32 v21, -2, v18 :: v_dual_add_nc_u32 v38, -4, v18
	v_add_nc_u32_e32 v42, -1, v18
	s_delay_alu instid0(VALU_DEP_3) | instskip(SKIP_2) | instid1(VALU_DEP_1)
	v_lshl_add_u64 v[28:29], v[14:15], 3, s[8:9]
	s_wait_xcnt 0x0
	v_dual_add_nc_u32 v17, 8, v17 :: v_dual_add_nc_u32 v46, -3, v18
	v_cmp_ge_i32_e32 vcc_lo, v17, v16
	s_or_b32 s2, vcc_lo, s2
	s_wait_loadcnt 0x0
	v_subrev_nc_u32_e32 v14, s12, v19
	v_add_nc_u32_e32 v19, -7, v18
	s_clause 0x2
	global_load_b64 v[30:31], v20, s[8:9] scale_offset
	global_load_b64 v[32:33], v21, s[8:9] scale_offset
	global_load_b128 v[20:23], v[28:29], off offset:16
	v_lshl_add_u32 v14, v14, 1, v14
	global_load_b128 v[24:27], v[28:29], off
	global_load_b64 v[34:35], v14, s[10:11] scale_offset
	s_clause 0x1
	global_load_b64 v[28:29], v19, s[8:9] scale_offset
	global_load_b64 v[36:37], v38, s[8:9] scale_offset
	s_wait_xcnt 0x1
	v_dual_add_nc_u32 v19, 1, v14 :: v_dual_add_nc_u32 v14, 2, v14
	global_load_b64 v[38:39], v42, s[8:9] scale_offset
	global_load_b64 v[40:41], v19, s[10:11] scale_offset
	s_wait_xcnt 0x0
	v_add_nc_u32_e32 v19, -6, v18
	s_clause 0x2
	global_load_b64 v[42:43], v19, s[8:9] scale_offset
	global_load_b64 v[44:45], v46, s[8:9] scale_offset
	;; [unrolled: 1-line block ×4, first 2 shown]
	s_wait_xcnt 0x1
	v_add_nc_u32_e32 v18, 0x60, v18
	s_wait_loadcnt 0x8
	v_fmac_f64_e32 v[0:1], v[24:25], v[34:35]
	v_fmac_f64_e32 v[12:13], v[22:23], v[34:35]
	;; [unrolled: 1-line block ×4, first 2 shown]
	s_wait_loadcnt 0x4
	s_delay_alu instid0(VALU_DEP_4) | instskip(NEXT) | instid1(VALU_DEP_4)
	v_fmac_f64_e32 v[0:1], v[26:27], v[40:41]
	v_fmac_f64_e32 v[12:13], v[28:29], v[40:41]
	s_delay_alu instid0(VALU_DEP_4) | instskip(NEXT) | instid1(VALU_DEP_4)
	v_fmac_f64_e32 v[10:11], v[36:37], v[40:41]
	v_fmac_f64_e32 v[8:9], v[38:39], v[40:41]
	s_wait_loadcnt 0x0
	s_delay_alu instid0(VALU_DEP_4) | instskip(NEXT) | instid1(VALU_DEP_4)
	v_fmac_f64_e32 v[0:1], v[20:21], v[48:49]
	v_fmac_f64_e32 v[12:13], v[42:43], v[48:49]
	s_delay_alu instid0(VALU_DEP_4) | instskip(NEXT) | instid1(VALU_DEP_4)
	v_fmac_f64_e32 v[10:11], v[44:45], v[48:49]
	v_fmac_f64_e32 v[8:9], v[46:47], v[48:49]
	s_and_not1_b32 exec_lo, exec_lo, s2
	s_cbranch_execnz .LBB48_15
; %bb.16:
	s_or_b32 exec_lo, exec_lo, s2
.LBB48_17:
	s_delay_alu instid0(SALU_CYCLE_1)
	s_or_b32 exec_lo, exec_lo, s3
.LBB48_18:
	v_mbcnt_lo_u32_b32 v24, -1, 0
	s_delay_alu instid0(VALU_DEP_1) | instskip(NEXT) | instid1(VALU_DEP_1)
	v_xor_b32_e32 v14, 4, v24
	v_cmp_gt_i32_e32 vcc_lo, 32, v14
	v_cndmask_b32_e32 v14, v24, v14, vcc_lo
	s_delay_alu instid0(VALU_DEP_1)
	v_lshlrev_b32_e32 v21, 2, v14
	ds_bpermute_b32 v14, v21, v0
	ds_bpermute_b32 v15, v21, v1
	;; [unrolled: 1-line block ×4, first 2 shown]
	s_wait_dscnt 0x2
	v_add_f64_e32 v[0:1], v[0:1], v[14:15]
	s_wait_dscnt 0x0
	v_add_f64_e32 v[14:15], v[12:13], v[16:17]
	ds_bpermute_b32 v18, v21, v10
	ds_bpermute_b32 v19, v21, v11
	;; [unrolled: 1-line block ×4, first 2 shown]
	s_wait_dscnt 0x2
	v_dual_add_f64 v[16:17], v[10:11], v[18:19] :: v_dual_bitop2_b32 v10, 2, v24 bitop3:0x14
	s_delay_alu instid0(VALU_DEP_1) | instskip(SKIP_2) | instid1(VALU_DEP_1)
	v_cmp_gt_i32_e32 vcc_lo, 32, v10
	v_cndmask_b32_e32 v10, v24, v10, vcc_lo
	s_wait_dscnt 0x0
	v_dual_add_f64 v[8:9], v[8:9], v[20:21] :: v_dual_lshlrev_b32 v12, 2, v10
	ds_bpermute_b32 v10, v12, v0
	ds_bpermute_b32 v11, v12, v1
	;; [unrolled: 1-line block ×8, first 2 shown]
	s_wait_dscnt 0x6
	v_add_f64_e32 v[12:13], v[0:1], v[10:11]
	s_wait_dscnt 0x4
	v_dual_add_f64 v[10:11], v[14:15], v[18:19] :: v_dual_bitop2_b32 v14, 1, v24 bitop3:0x14
	s_delay_alu instid0(VALU_DEP_1) | instskip(SKIP_4) | instid1(VALU_DEP_3)
	v_cmp_gt_i32_e32 vcc_lo, 32, v14
	v_cndmask_b32_e32 v14, v24, v14, vcc_lo
	s_wait_dscnt 0x2
	v_add_f64_e32 v[0:1], v[16:17], v[20:21]
	v_cmp_eq_u32_e32 vcc_lo, 7, v7
	v_lshlrev_b32_e32 v15, 2, v14
	s_wait_dscnt 0x0
	v_add_f64_e32 v[8:9], v[8:9], v[22:23]
	ds_bpermute_b32 v20, v15, v12
	ds_bpermute_b32 v21, v15, v13
	;; [unrolled: 1-line block ×8, first 2 shown]
	s_and_b32 exec_lo, exec_lo, vcc_lo
	s_cbranch_execz .LBB48_23
; %bb.19:
	s_wait_dscnt 0x6
	v_add_f64_e32 v[12:13], v[12:13], v[20:21]
	s_wait_dscnt 0x4
	v_add_f64_e32 v[10:11], v[10:11], v[18:19]
	;; [unrolled: 2-line block ×4, first 2 shown]
	s_load_b64 s[0:1], s[0:1], 0x38
	s_mov_b32 s2, exec_lo
	v_cmpx_eq_f64_e32 0, v[4:5]
	s_xor_b32 s2, exec_lo, s2
	s_cbranch_execz .LBB48_21
; %bb.20:
	v_dual_mul_f64 v[12:13], v[2:3], v[12:13] :: v_dual_lshlrev_b32 v4, 2, v6
	v_mul_f64_e32 v[14:15], v[2:3], v[10:11]
	v_mul_f64_e32 v[0:1], v[2:3], v[0:1]
	;; [unrolled: 1-line block ×3, first 2 shown]
                                        ; implicit-def: $vgpr6
                                        ; implicit-def: $vgpr10_vgpr11
                                        ; implicit-def: $vgpr8_vgpr9
	s_delay_alu instid0(VALU_DEP_4) | instskip(SKIP_1) | instid1(VALU_DEP_1)
	v_ashrrev_i32_e32 v5, 31, v4
	s_wait_kmcnt 0x0
	v_lshl_add_u64 v[4:5], v[4:5], 3, s[0:1]
	s_clause 0x1
	global_store_b128 v[4:5], v[12:15], off
	global_store_b128 v[4:5], v[0:3], off offset:16
                                        ; implicit-def: $vgpr2_vgpr3
                                        ; implicit-def: $vgpr12_vgpr13
                                        ; implicit-def: $vgpr4_vgpr5
                                        ; implicit-def: $vgpr0_vgpr1
.LBB48_21:
	s_wait_xcnt 0x0
	s_and_not1_saveexec_b32 s2, s2
	s_cbranch_execz .LBB48_23
; %bb.22:
	v_dual_mul_f64 v[22:23], v[2:3], v[12:13] :: v_dual_lshlrev_b32 v6, 2, v6
	v_mul_f64_e32 v[24:25], v[2:3], v[10:11]
	v_mul_f64_e32 v[0:1], v[2:3], v[0:1]
	s_delay_alu instid0(VALU_DEP_3) | instskip(SKIP_1) | instid1(VALU_DEP_1)
	v_dual_mul_f64 v[2:3], v[2:3], v[8:9] :: v_dual_ashrrev_i32 v7, 31, v6
	s_wait_kmcnt 0x0
	v_lshl_add_u64 v[6:7], v[6:7], 3, s[0:1]
	s_clause 0x1
	global_load_b128 v[14:17], v[6:7], off
	global_load_b128 v[18:21], v[6:7], off offset:16
	s_wait_loadcnt 0x1
	v_fmac_f64_e32 v[22:23], v[4:5], v[14:15]
	v_fmac_f64_e32 v[24:25], v[4:5], v[16:17]
	s_wait_loadcnt 0x0
	v_fmac_f64_e32 v[0:1], v[4:5], v[18:19]
	v_fmac_f64_e32 v[2:3], v[4:5], v[20:21]
	s_clause 0x1
	global_store_b128 v[6:7], v[22:25], off
	global_store_b128 v[6:7], v[0:3], off offset:16
.LBB48_23:
	s_endpgm
	.section	.rodata,"a",@progbits
	.p2align	6, 0x0
	.amdhsa_kernel _ZN9rocsparseL19gebsrmvn_4xn_kernelILj128ELj3ELj8EdEEvi20rocsparse_direction_NS_24const_host_device_scalarIT2_EEPKiS6_PKS3_S8_S4_PS3_21rocsparse_index_base_b
		.amdhsa_group_segment_fixed_size 0
		.amdhsa_private_segment_fixed_size 0
		.amdhsa_kernarg_size 72
		.amdhsa_user_sgpr_count 2
		.amdhsa_user_sgpr_dispatch_ptr 0
		.amdhsa_user_sgpr_queue_ptr 0
		.amdhsa_user_sgpr_kernarg_segment_ptr 1
		.amdhsa_user_sgpr_dispatch_id 0
		.amdhsa_user_sgpr_kernarg_preload_length 0
		.amdhsa_user_sgpr_kernarg_preload_offset 0
		.amdhsa_user_sgpr_private_segment_size 0
		.amdhsa_wavefront_size32 1
		.amdhsa_uses_dynamic_stack 0
		.amdhsa_enable_private_segment 0
		.amdhsa_system_sgpr_workgroup_id_x 1
		.amdhsa_system_sgpr_workgroup_id_y 0
		.amdhsa_system_sgpr_workgroup_id_z 0
		.amdhsa_system_sgpr_workgroup_info 0
		.amdhsa_system_vgpr_workitem_id 0
		.amdhsa_next_free_vgpr 52
		.amdhsa_next_free_sgpr 14
		.amdhsa_named_barrier_count 0
		.amdhsa_reserve_vcc 1
		.amdhsa_float_round_mode_32 0
		.amdhsa_float_round_mode_16_64 0
		.amdhsa_float_denorm_mode_32 3
		.amdhsa_float_denorm_mode_16_64 3
		.amdhsa_fp16_overflow 0
		.amdhsa_memory_ordered 1
		.amdhsa_forward_progress 1
		.amdhsa_inst_pref_size 14
		.amdhsa_round_robin_scheduling 0
		.amdhsa_exception_fp_ieee_invalid_op 0
		.amdhsa_exception_fp_denorm_src 0
		.amdhsa_exception_fp_ieee_div_zero 0
		.amdhsa_exception_fp_ieee_overflow 0
		.amdhsa_exception_fp_ieee_underflow 0
		.amdhsa_exception_fp_ieee_inexact 0
		.amdhsa_exception_int_div_zero 0
	.end_amdhsa_kernel
	.section	.text._ZN9rocsparseL19gebsrmvn_4xn_kernelILj128ELj3ELj8EdEEvi20rocsparse_direction_NS_24const_host_device_scalarIT2_EEPKiS6_PKS3_S8_S4_PS3_21rocsparse_index_base_b,"axG",@progbits,_ZN9rocsparseL19gebsrmvn_4xn_kernelILj128ELj3ELj8EdEEvi20rocsparse_direction_NS_24const_host_device_scalarIT2_EEPKiS6_PKS3_S8_S4_PS3_21rocsparse_index_base_b,comdat
.Lfunc_end48:
	.size	_ZN9rocsparseL19gebsrmvn_4xn_kernelILj128ELj3ELj8EdEEvi20rocsparse_direction_NS_24const_host_device_scalarIT2_EEPKiS6_PKS3_S8_S4_PS3_21rocsparse_index_base_b, .Lfunc_end48-_ZN9rocsparseL19gebsrmvn_4xn_kernelILj128ELj3ELj8EdEEvi20rocsparse_direction_NS_24const_host_device_scalarIT2_EEPKiS6_PKS3_S8_S4_PS3_21rocsparse_index_base_b
                                        ; -- End function
	.set _ZN9rocsparseL19gebsrmvn_4xn_kernelILj128ELj3ELj8EdEEvi20rocsparse_direction_NS_24const_host_device_scalarIT2_EEPKiS6_PKS3_S8_S4_PS3_21rocsparse_index_base_b.num_vgpr, 52
	.set _ZN9rocsparseL19gebsrmvn_4xn_kernelILj128ELj3ELj8EdEEvi20rocsparse_direction_NS_24const_host_device_scalarIT2_EEPKiS6_PKS3_S8_S4_PS3_21rocsparse_index_base_b.num_agpr, 0
	.set _ZN9rocsparseL19gebsrmvn_4xn_kernelILj128ELj3ELj8EdEEvi20rocsparse_direction_NS_24const_host_device_scalarIT2_EEPKiS6_PKS3_S8_S4_PS3_21rocsparse_index_base_b.numbered_sgpr, 14
	.set _ZN9rocsparseL19gebsrmvn_4xn_kernelILj128ELj3ELj8EdEEvi20rocsparse_direction_NS_24const_host_device_scalarIT2_EEPKiS6_PKS3_S8_S4_PS3_21rocsparse_index_base_b.num_named_barrier, 0
	.set _ZN9rocsparseL19gebsrmvn_4xn_kernelILj128ELj3ELj8EdEEvi20rocsparse_direction_NS_24const_host_device_scalarIT2_EEPKiS6_PKS3_S8_S4_PS3_21rocsparse_index_base_b.private_seg_size, 0
	.set _ZN9rocsparseL19gebsrmvn_4xn_kernelILj128ELj3ELj8EdEEvi20rocsparse_direction_NS_24const_host_device_scalarIT2_EEPKiS6_PKS3_S8_S4_PS3_21rocsparse_index_base_b.uses_vcc, 1
	.set _ZN9rocsparseL19gebsrmvn_4xn_kernelILj128ELj3ELj8EdEEvi20rocsparse_direction_NS_24const_host_device_scalarIT2_EEPKiS6_PKS3_S8_S4_PS3_21rocsparse_index_base_b.uses_flat_scratch, 0
	.set _ZN9rocsparseL19gebsrmvn_4xn_kernelILj128ELj3ELj8EdEEvi20rocsparse_direction_NS_24const_host_device_scalarIT2_EEPKiS6_PKS3_S8_S4_PS3_21rocsparse_index_base_b.has_dyn_sized_stack, 0
	.set _ZN9rocsparseL19gebsrmvn_4xn_kernelILj128ELj3ELj8EdEEvi20rocsparse_direction_NS_24const_host_device_scalarIT2_EEPKiS6_PKS3_S8_S4_PS3_21rocsparse_index_base_b.has_recursion, 0
	.set _ZN9rocsparseL19gebsrmvn_4xn_kernelILj128ELj3ELj8EdEEvi20rocsparse_direction_NS_24const_host_device_scalarIT2_EEPKiS6_PKS3_S8_S4_PS3_21rocsparse_index_base_b.has_indirect_call, 0
	.section	.AMDGPU.csdata,"",@progbits
; Kernel info:
; codeLenInByte = 1784
; TotalNumSgprs: 16
; NumVgprs: 52
; ScratchSize: 0
; MemoryBound: 0
; FloatMode: 240
; IeeeMode: 1
; LDSByteSize: 0 bytes/workgroup (compile time only)
; SGPRBlocks: 0
; VGPRBlocks: 3
; NumSGPRsForWavesPerEU: 16
; NumVGPRsForWavesPerEU: 52
; NamedBarCnt: 0
; Occupancy: 16
; WaveLimiterHint : 1
; COMPUTE_PGM_RSRC2:SCRATCH_EN: 0
; COMPUTE_PGM_RSRC2:USER_SGPR: 2
; COMPUTE_PGM_RSRC2:TRAP_HANDLER: 0
; COMPUTE_PGM_RSRC2:TGID_X_EN: 1
; COMPUTE_PGM_RSRC2:TGID_Y_EN: 0
; COMPUTE_PGM_RSRC2:TGID_Z_EN: 0
; COMPUTE_PGM_RSRC2:TIDIG_COMP_CNT: 0
	.section	.text._ZN9rocsparseL19gebsrmvn_4xn_kernelILj128ELj3ELj16EdEEvi20rocsparse_direction_NS_24const_host_device_scalarIT2_EEPKiS6_PKS3_S8_S4_PS3_21rocsparse_index_base_b,"axG",@progbits,_ZN9rocsparseL19gebsrmvn_4xn_kernelILj128ELj3ELj16EdEEvi20rocsparse_direction_NS_24const_host_device_scalarIT2_EEPKiS6_PKS3_S8_S4_PS3_21rocsparse_index_base_b,comdat
	.globl	_ZN9rocsparseL19gebsrmvn_4xn_kernelILj128ELj3ELj16EdEEvi20rocsparse_direction_NS_24const_host_device_scalarIT2_EEPKiS6_PKS3_S8_S4_PS3_21rocsparse_index_base_b ; -- Begin function _ZN9rocsparseL19gebsrmvn_4xn_kernelILj128ELj3ELj16EdEEvi20rocsparse_direction_NS_24const_host_device_scalarIT2_EEPKiS6_PKS3_S8_S4_PS3_21rocsparse_index_base_b
	.p2align	8
	.type	_ZN9rocsparseL19gebsrmvn_4xn_kernelILj128ELj3ELj16EdEEvi20rocsparse_direction_NS_24const_host_device_scalarIT2_EEPKiS6_PKS3_S8_S4_PS3_21rocsparse_index_base_b,@function
_ZN9rocsparseL19gebsrmvn_4xn_kernelILj128ELj3ELj16EdEEvi20rocsparse_direction_NS_24const_host_device_scalarIT2_EEPKiS6_PKS3_S8_S4_PS3_21rocsparse_index_base_b: ; @_ZN9rocsparseL19gebsrmvn_4xn_kernelILj128ELj3ELj16EdEEvi20rocsparse_direction_NS_24const_host_device_scalarIT2_EEPKiS6_PKS3_S8_S4_PS3_21rocsparse_index_base_b
; %bb.0:
	s_clause 0x2
	s_load_b64 s[12:13], s[0:1], 0x40
	s_load_b64 s[4:5], s[0:1], 0x8
	;; [unrolled: 1-line block ×3, first 2 shown]
	s_wait_kmcnt 0x0
	s_bitcmp1_b32 s13, 0
	v_mov_b64_e32 v[2:3], s[4:5]
	s_cselect_b32 s6, -1, 0
	s_delay_alu instid0(SALU_CYCLE_1)
	s_and_b32 vcc_lo, exec_lo, s6
	s_xor_b32 s6, s6, -1
	s_cbranch_vccnz .LBB49_2
; %bb.1:
	v_mov_b32_e32 v1, 0
	flat_load_b64 v[2:3], v1, s[4:5]
.LBB49_2:
	v_mov_b64_e32 v[4:5], s[2:3]
	s_and_not1_b32 vcc_lo, exec_lo, s6
	s_cbranch_vccnz .LBB49_4
; %bb.3:
	s_wait_xcnt 0x0
	v_mov_b32_e32 v1, 0
	flat_load_b64 v[4:5], v1, s[2:3]
.LBB49_4:
	s_wait_loadcnt_dscnt 0x0
	v_cmp_neq_f64_e32 vcc_lo, 0, v[2:3]
	s_delay_alu instid0(VALU_DEP_2) | instskip(SKIP_1) | instid1(SALU_CYCLE_1)
	v_cmp_neq_f64_e64 s2, 1.0, v[4:5]
	s_or_b32 s2, vcc_lo, s2
	s_and_saveexec_b32 s3, s2
	s_cbranch_execz .LBB49_23
; %bb.5:
	s_load_b64 s[2:3], s[0:1], 0x0
	s_bfe_u32 s4, ttmp6, 0x4000c
	s_and_b32 s5, ttmp6, 15
	s_add_co_i32 s4, s4, 1
	s_getreg_b32 s6, hwreg(HW_REG_IB_STS2, 6, 4)
	s_mul_i32 s4, ttmp9, s4
	v_lshrrev_b32_e32 v1, 4, v0
	s_add_co_i32 s5, s5, s4
	s_cmp_eq_u32 s6, 0
	s_cselect_b32 s4, ttmp9, s5
	s_delay_alu instid0(VALU_DEP_1) | instid1(SALU_CYCLE_1)
	v_lshl_or_b32 v6, s4, 3, v1
	s_wait_kmcnt 0x0
	s_delay_alu instid0(VALU_DEP_1)
	v_cmp_gt_i32_e32 vcc_lo, s2, v6
	s_and_b32 exec_lo, exec_lo, vcc_lo
	s_cbranch_execz .LBB49_23
; %bb.6:
	s_load_b256 s[4:11], s[0:1], 0x10
	v_ashrrev_i32_e32 v7, 31, v6
	s_cmp_lg_u32 s3, 0
	s_wait_kmcnt 0x0
	s_delay_alu instid0(VALU_DEP_1)
	v_lshl_add_u64 v[8:9], v[6:7], 2, s[4:5]
	v_and_b32_e32 v7, 15, v0
	global_load_b64 v[8:9], v[8:9], off
	s_wait_loadcnt 0x0
	v_subrev_nc_u32_e32 v0, s12, v8
	v_subrev_nc_u32_e32 v16, s12, v9
	s_delay_alu instid0(VALU_DEP_2) | instskip(NEXT) | instid1(VALU_DEP_1)
	v_add_nc_u32_e32 v17, v0, v7
	v_cmp_lt_i32_e64 s2, v17, v16
	s_cbranch_scc0 .LBB49_12
; %bb.7:
	v_mov_b64_e32 v[0:1], 0
	v_mov_b64_e32 v[8:9], 0
	;; [unrolled: 1-line block ×4, first 2 shown]
	s_and_saveexec_b32 s3, s2
	s_cbranch_execz .LBB49_11
; %bb.8:
	v_mul_lo_u32 v14, v17, 12
	v_mov_b64_e32 v[0:1], 0
	v_mov_b64_e32 v[8:9], 0
	;; [unrolled: 1-line block ×4, first 2 shown]
	v_dual_mov_b32 v15, 0 :: v_dual_mov_b32 v18, v17
	s_mov_b32 s4, 0
.LBB49_9:                               ; =>This Inner Loop Header: Depth=1
	global_load_b32 v19, v18, s[6:7] scale_offset
	v_lshl_add_u64 v[28:29], v[14:15], 3, s[8:9]
	s_wait_xcnt 0x0
	v_add_nc_u32_e32 v18, 16, v18
	global_load_b128 v[20:23], v[28:29], off offset:16
	v_cmp_ge_i32_e32 vcc_lo, v18, v16
	s_or_b32 s4, vcc_lo, s4
	s_wait_loadcnt 0x1
	v_subrev_nc_u32_e32 v19, s12, v19
	s_delay_alu instid0(VALU_DEP_1)
	v_lshl_add_u32 v19, v19, 1, v19
	global_load_b128 v[24:27], v[28:29], off
	global_load_b64 v[44:45], v19, s[10:11] scale_offset
	s_wait_xcnt 0x1
	v_dual_mov_b32 v29, v15 :: v_dual_add_nc_u32 v28, 4, v14
	s_wait_xcnt 0x0
	v_dual_add_nc_u32 v38, 1, v19 :: v_dual_add_nc_u32 v19, 2, v19
	s_delay_alu instid0(VALU_DEP_2)
	v_lshl_add_u64 v[36:37], v[28:29], 3, s[8:9]
	s_clause 0x1
	global_load_b128 v[28:31], v[36:37], off offset:16
	global_load_b128 v[32:35], v[36:37], off
	global_load_b64 v[46:47], v38, s[10:11] scale_offset
	s_wait_xcnt 0x1
	v_dual_mov_b32 v37, v15 :: v_dual_add_nc_u32 v36, 8, v14
	v_add_nc_u32_e32 v14, 0xc0, v14
	s_delay_alu instid0(VALU_DEP_2)
	v_lshl_add_u64 v[48:49], v[36:37], 3, s[8:9]
	s_clause 0x1
	global_load_b128 v[36:39], v[48:49], off offset:16
	global_load_b128 v[40:43], v[48:49], off
	global_load_b64 v[50:51], v19, s[10:11] scale_offset
	s_wait_loadcnt 0x6
	v_fmac_f64_e32 v[0:1], v[24:25], v[44:45]
	v_fmac_f64_e32 v[12:13], v[26:27], v[44:45]
	;; [unrolled: 1-line block ×4, first 2 shown]
	s_wait_loadcnt 0x3
	s_delay_alu instid0(VALU_DEP_4) | instskip(NEXT) | instid1(VALU_DEP_4)
	v_fmac_f64_e32 v[0:1], v[32:33], v[46:47]
	v_fmac_f64_e32 v[12:13], v[34:35], v[46:47]
	s_delay_alu instid0(VALU_DEP_4) | instskip(NEXT) | instid1(VALU_DEP_4)
	v_fmac_f64_e32 v[10:11], v[28:29], v[46:47]
	v_fmac_f64_e32 v[8:9], v[30:31], v[46:47]
	s_wait_loadcnt 0x0
	s_delay_alu instid0(VALU_DEP_4) | instskip(NEXT) | instid1(VALU_DEP_4)
	v_fmac_f64_e32 v[0:1], v[40:41], v[50:51]
	v_fmac_f64_e32 v[12:13], v[42:43], v[50:51]
	s_delay_alu instid0(VALU_DEP_4) | instskip(NEXT) | instid1(VALU_DEP_4)
	v_fmac_f64_e32 v[10:11], v[36:37], v[50:51]
	v_fmac_f64_e32 v[8:9], v[38:39], v[50:51]
	s_and_not1_b32 exec_lo, exec_lo, s4
	s_cbranch_execnz .LBB49_9
; %bb.10:
	s_or_b32 exec_lo, exec_lo, s4
.LBB49_11:
	s_delay_alu instid0(SALU_CYCLE_1)
	s_or_b32 exec_lo, exec_lo, s3
	s_cbranch_execz .LBB49_13
	s_branch .LBB49_18
.LBB49_12:
                                        ; implicit-def: $vgpr0_vgpr1
                                        ; implicit-def: $vgpr8_vgpr9
                                        ; implicit-def: $vgpr10_vgpr11
                                        ; implicit-def: $vgpr12_vgpr13
.LBB49_13:
	v_mov_b64_e32 v[0:1], 0
	v_mov_b64_e32 v[8:9], 0
	;; [unrolled: 1-line block ×4, first 2 shown]
	s_and_saveexec_b32 s3, s2
	s_cbranch_execz .LBB49_17
; %bb.14:
	v_mad_u32 v18, v17, 12, 11
	v_mov_b64_e32 v[0:1], 0
	v_mov_b64_e32 v[8:9], 0
	;; [unrolled: 1-line block ×4, first 2 shown]
	v_mov_b32_e32 v15, 0
	s_mov_b32 s2, 0
.LBB49_15:                              ; =>This Inner Loop Header: Depth=1
	global_load_b32 v19, v17, s[6:7] scale_offset
	v_dual_add_nc_u32 v14, -11, v18 :: v_dual_add_nc_u32 v20, -5, v18
	v_dual_add_nc_u32 v21, -2, v18 :: v_dual_add_nc_u32 v38, -4, v18
	v_add_nc_u32_e32 v42, -1, v18
	s_delay_alu instid0(VALU_DEP_3) | instskip(SKIP_2) | instid1(VALU_DEP_1)
	v_lshl_add_u64 v[28:29], v[14:15], 3, s[8:9]
	s_wait_xcnt 0x0
	v_dual_add_nc_u32 v17, 16, v17 :: v_dual_add_nc_u32 v46, -3, v18
	v_cmp_ge_i32_e32 vcc_lo, v17, v16
	s_or_b32 s2, vcc_lo, s2
	s_wait_loadcnt 0x0
	v_subrev_nc_u32_e32 v14, s12, v19
	v_add_nc_u32_e32 v19, -7, v18
	s_clause 0x2
	global_load_b64 v[30:31], v20, s[8:9] scale_offset
	global_load_b64 v[32:33], v21, s[8:9] scale_offset
	global_load_b128 v[20:23], v[28:29], off offset:16
	v_lshl_add_u32 v14, v14, 1, v14
	global_load_b128 v[24:27], v[28:29], off
	global_load_b64 v[34:35], v14, s[10:11] scale_offset
	s_clause 0x1
	global_load_b64 v[28:29], v19, s[8:9] scale_offset
	global_load_b64 v[36:37], v38, s[8:9] scale_offset
	s_wait_xcnt 0x1
	v_dual_add_nc_u32 v19, 1, v14 :: v_dual_add_nc_u32 v14, 2, v14
	global_load_b64 v[38:39], v42, s[8:9] scale_offset
	global_load_b64 v[40:41], v19, s[10:11] scale_offset
	s_wait_xcnt 0x0
	v_add_nc_u32_e32 v19, -6, v18
	s_clause 0x2
	global_load_b64 v[42:43], v19, s[8:9] scale_offset
	global_load_b64 v[44:45], v46, s[8:9] scale_offset
	;; [unrolled: 1-line block ×4, first 2 shown]
	s_wait_xcnt 0x1
	v_add_nc_u32_e32 v18, 0xc0, v18
	s_wait_loadcnt 0x8
	v_fmac_f64_e32 v[0:1], v[24:25], v[34:35]
	v_fmac_f64_e32 v[12:13], v[22:23], v[34:35]
	;; [unrolled: 1-line block ×4, first 2 shown]
	s_wait_loadcnt 0x4
	s_delay_alu instid0(VALU_DEP_4) | instskip(NEXT) | instid1(VALU_DEP_4)
	v_fmac_f64_e32 v[0:1], v[26:27], v[40:41]
	v_fmac_f64_e32 v[12:13], v[28:29], v[40:41]
	s_delay_alu instid0(VALU_DEP_4) | instskip(NEXT) | instid1(VALU_DEP_4)
	v_fmac_f64_e32 v[10:11], v[36:37], v[40:41]
	v_fmac_f64_e32 v[8:9], v[38:39], v[40:41]
	s_wait_loadcnt 0x0
	s_delay_alu instid0(VALU_DEP_4) | instskip(NEXT) | instid1(VALU_DEP_4)
	v_fmac_f64_e32 v[0:1], v[20:21], v[48:49]
	v_fmac_f64_e32 v[12:13], v[42:43], v[48:49]
	s_delay_alu instid0(VALU_DEP_4) | instskip(NEXT) | instid1(VALU_DEP_4)
	v_fmac_f64_e32 v[10:11], v[44:45], v[48:49]
	v_fmac_f64_e32 v[8:9], v[46:47], v[48:49]
	s_and_not1_b32 exec_lo, exec_lo, s2
	s_cbranch_execnz .LBB49_15
; %bb.16:
	s_or_b32 exec_lo, exec_lo, s2
.LBB49_17:
	s_delay_alu instid0(SALU_CYCLE_1)
	s_or_b32 exec_lo, exec_lo, s3
.LBB49_18:
	v_mbcnt_lo_u32_b32 v24, -1, 0
	s_delay_alu instid0(VALU_DEP_1) | instskip(NEXT) | instid1(VALU_DEP_1)
	v_xor_b32_e32 v14, 8, v24
	v_cmp_gt_i32_e32 vcc_lo, 32, v14
	v_cndmask_b32_e32 v14, v24, v14, vcc_lo
	s_delay_alu instid0(VALU_DEP_1)
	v_lshlrev_b32_e32 v21, 2, v14
	ds_bpermute_b32 v16, v21, v12
	ds_bpermute_b32 v17, v21, v13
	s_wait_dscnt 0x0
	v_add_f64_e32 v[12:13], v[12:13], v[16:17]
	ds_bpermute_b32 v14, v21, v0
	ds_bpermute_b32 v15, v21, v1
	ds_bpermute_b32 v18, v21, v10
	ds_bpermute_b32 v19, v21, v11
	ds_bpermute_b32 v20, v21, v8
	ds_bpermute_b32 v21, v21, v9
	s_wait_dscnt 0x4
	v_dual_add_f64 v[0:1], v[0:1], v[14:15] :: v_dual_bitop2_b32 v14, 4, v24 bitop3:0x14
	s_wait_dscnt 0x2
	v_add_f64_e32 v[10:11], v[10:11], v[18:19]
	s_delay_alu instid0(VALU_DEP_2) | instskip(SKIP_2) | instid1(VALU_DEP_1)
	v_cmp_gt_i32_e32 vcc_lo, 32, v14
	v_cndmask_b32_e32 v14, v24, v14, vcc_lo
	s_wait_dscnt 0x0
	v_dual_add_f64 v[8:9], v[8:9], v[20:21] :: v_dual_lshlrev_b32 v21, 2, v14
	ds_bpermute_b32 v16, v21, v12
	ds_bpermute_b32 v17, v21, v13
	;; [unrolled: 1-line block ×8, first 2 shown]
	s_wait_dscnt 0x4
	v_add_f64_e32 v[0:1], v[0:1], v[14:15]
	v_add_f64_e32 v[14:15], v[12:13], v[16:17]
	s_wait_dscnt 0x2
	v_dual_add_f64 v[16:17], v[10:11], v[18:19] :: v_dual_bitop2_b32 v10, 2, v24 bitop3:0x14
	s_delay_alu instid0(VALU_DEP_1) | instskip(SKIP_3) | instid1(VALU_DEP_1)
	v_cmp_gt_i32_e32 vcc_lo, 32, v10
	s_wait_dscnt 0x0
	v_add_f64_e32 v[8:9], v[8:9], v[20:21]
	v_cndmask_b32_e32 v10, v24, v10, vcc_lo
	v_lshlrev_b32_e32 v12, 2, v10
	ds_bpermute_b32 v10, v12, v0
	ds_bpermute_b32 v11, v12, v1
	;; [unrolled: 1-line block ×8, first 2 shown]
	s_wait_dscnt 0x6
	v_add_f64_e32 v[12:13], v[0:1], v[10:11]
	s_wait_dscnt 0x4
	v_dual_add_f64 v[10:11], v[14:15], v[18:19] :: v_dual_bitop2_b32 v14, 1, v24 bitop3:0x14
	s_wait_dscnt 0x2
	v_add_f64_e32 v[0:1], v[16:17], v[20:21]
	s_delay_alu instid0(VALU_DEP_2) | instskip(SKIP_2) | instid1(VALU_DEP_2)
	v_cmp_gt_i32_e32 vcc_lo, 32, v14
	v_cndmask_b32_e32 v14, v24, v14, vcc_lo
	v_cmp_eq_u32_e32 vcc_lo, 15, v7
	v_lshlrev_b32_e32 v15, 2, v14
	s_wait_dscnt 0x0
	v_add_f64_e32 v[8:9], v[8:9], v[22:23]
	ds_bpermute_b32 v20, v15, v12
	ds_bpermute_b32 v21, v15, v13
	;; [unrolled: 1-line block ×8, first 2 shown]
	s_and_b32 exec_lo, exec_lo, vcc_lo
	s_cbranch_execz .LBB49_23
; %bb.19:
	s_wait_dscnt 0x6
	v_add_f64_e32 v[12:13], v[12:13], v[20:21]
	s_wait_dscnt 0x4
	v_add_f64_e32 v[10:11], v[10:11], v[18:19]
	;; [unrolled: 2-line block ×4, first 2 shown]
	s_load_b64 s[0:1], s[0:1], 0x38
	s_mov_b32 s2, exec_lo
	v_cmpx_eq_f64_e32 0, v[4:5]
	s_xor_b32 s2, exec_lo, s2
	s_cbranch_execz .LBB49_21
; %bb.20:
	v_dual_mul_f64 v[12:13], v[2:3], v[12:13] :: v_dual_lshlrev_b32 v4, 2, v6
	v_mul_f64_e32 v[14:15], v[2:3], v[10:11]
	v_mul_f64_e32 v[0:1], v[2:3], v[0:1]
	;; [unrolled: 1-line block ×3, first 2 shown]
                                        ; implicit-def: $vgpr6
                                        ; implicit-def: $vgpr10_vgpr11
                                        ; implicit-def: $vgpr8_vgpr9
	s_delay_alu instid0(VALU_DEP_4) | instskip(SKIP_1) | instid1(VALU_DEP_1)
	v_ashrrev_i32_e32 v5, 31, v4
	s_wait_kmcnt 0x0
	v_lshl_add_u64 v[4:5], v[4:5], 3, s[0:1]
	s_clause 0x1
	global_store_b128 v[4:5], v[12:15], off
	global_store_b128 v[4:5], v[0:3], off offset:16
                                        ; implicit-def: $vgpr2_vgpr3
                                        ; implicit-def: $vgpr12_vgpr13
                                        ; implicit-def: $vgpr4_vgpr5
                                        ; implicit-def: $vgpr0_vgpr1
.LBB49_21:
	s_wait_xcnt 0x0
	s_and_not1_saveexec_b32 s2, s2
	s_cbranch_execz .LBB49_23
; %bb.22:
	v_dual_mul_f64 v[22:23], v[2:3], v[12:13] :: v_dual_lshlrev_b32 v6, 2, v6
	v_mul_f64_e32 v[24:25], v[2:3], v[10:11]
	v_mul_f64_e32 v[0:1], v[2:3], v[0:1]
	s_delay_alu instid0(VALU_DEP_3) | instskip(SKIP_1) | instid1(VALU_DEP_1)
	v_dual_mul_f64 v[2:3], v[2:3], v[8:9] :: v_dual_ashrrev_i32 v7, 31, v6
	s_wait_kmcnt 0x0
	v_lshl_add_u64 v[6:7], v[6:7], 3, s[0:1]
	s_clause 0x1
	global_load_b128 v[14:17], v[6:7], off
	global_load_b128 v[18:21], v[6:7], off offset:16
	s_wait_loadcnt 0x1
	v_fmac_f64_e32 v[22:23], v[4:5], v[14:15]
	v_fmac_f64_e32 v[24:25], v[4:5], v[16:17]
	s_wait_loadcnt 0x0
	v_fmac_f64_e32 v[0:1], v[4:5], v[18:19]
	v_fmac_f64_e32 v[2:3], v[4:5], v[20:21]
	s_clause 0x1
	global_store_b128 v[6:7], v[22:25], off
	global_store_b128 v[6:7], v[0:3], off offset:16
.LBB49_23:
	s_endpgm
	.section	.rodata,"a",@progbits
	.p2align	6, 0x0
	.amdhsa_kernel _ZN9rocsparseL19gebsrmvn_4xn_kernelILj128ELj3ELj16EdEEvi20rocsparse_direction_NS_24const_host_device_scalarIT2_EEPKiS6_PKS3_S8_S4_PS3_21rocsparse_index_base_b
		.amdhsa_group_segment_fixed_size 0
		.amdhsa_private_segment_fixed_size 0
		.amdhsa_kernarg_size 72
		.amdhsa_user_sgpr_count 2
		.amdhsa_user_sgpr_dispatch_ptr 0
		.amdhsa_user_sgpr_queue_ptr 0
		.amdhsa_user_sgpr_kernarg_segment_ptr 1
		.amdhsa_user_sgpr_dispatch_id 0
		.amdhsa_user_sgpr_kernarg_preload_length 0
		.amdhsa_user_sgpr_kernarg_preload_offset 0
		.amdhsa_user_sgpr_private_segment_size 0
		.amdhsa_wavefront_size32 1
		.amdhsa_uses_dynamic_stack 0
		.amdhsa_enable_private_segment 0
		.amdhsa_system_sgpr_workgroup_id_x 1
		.amdhsa_system_sgpr_workgroup_id_y 0
		.amdhsa_system_sgpr_workgroup_id_z 0
		.amdhsa_system_sgpr_workgroup_info 0
		.amdhsa_system_vgpr_workitem_id 0
		.amdhsa_next_free_vgpr 52
		.amdhsa_next_free_sgpr 14
		.amdhsa_named_barrier_count 0
		.amdhsa_reserve_vcc 1
		.amdhsa_float_round_mode_32 0
		.amdhsa_float_round_mode_16_64 0
		.amdhsa_float_denorm_mode_32 3
		.amdhsa_float_denorm_mode_16_64 3
		.amdhsa_fp16_overflow 0
		.amdhsa_memory_ordered 1
		.amdhsa_forward_progress 1
		.amdhsa_inst_pref_size 15
		.amdhsa_round_robin_scheduling 0
		.amdhsa_exception_fp_ieee_invalid_op 0
		.amdhsa_exception_fp_denorm_src 0
		.amdhsa_exception_fp_ieee_div_zero 0
		.amdhsa_exception_fp_ieee_overflow 0
		.amdhsa_exception_fp_ieee_underflow 0
		.amdhsa_exception_fp_ieee_inexact 0
		.amdhsa_exception_int_div_zero 0
	.end_amdhsa_kernel
	.section	.text._ZN9rocsparseL19gebsrmvn_4xn_kernelILj128ELj3ELj16EdEEvi20rocsparse_direction_NS_24const_host_device_scalarIT2_EEPKiS6_PKS3_S8_S4_PS3_21rocsparse_index_base_b,"axG",@progbits,_ZN9rocsparseL19gebsrmvn_4xn_kernelILj128ELj3ELj16EdEEvi20rocsparse_direction_NS_24const_host_device_scalarIT2_EEPKiS6_PKS3_S8_S4_PS3_21rocsparse_index_base_b,comdat
.Lfunc_end49:
	.size	_ZN9rocsparseL19gebsrmvn_4xn_kernelILj128ELj3ELj16EdEEvi20rocsparse_direction_NS_24const_host_device_scalarIT2_EEPKiS6_PKS3_S8_S4_PS3_21rocsparse_index_base_b, .Lfunc_end49-_ZN9rocsparseL19gebsrmvn_4xn_kernelILj128ELj3ELj16EdEEvi20rocsparse_direction_NS_24const_host_device_scalarIT2_EEPKiS6_PKS3_S8_S4_PS3_21rocsparse_index_base_b
                                        ; -- End function
	.set _ZN9rocsparseL19gebsrmvn_4xn_kernelILj128ELj3ELj16EdEEvi20rocsparse_direction_NS_24const_host_device_scalarIT2_EEPKiS6_PKS3_S8_S4_PS3_21rocsparse_index_base_b.num_vgpr, 52
	.set _ZN9rocsparseL19gebsrmvn_4xn_kernelILj128ELj3ELj16EdEEvi20rocsparse_direction_NS_24const_host_device_scalarIT2_EEPKiS6_PKS3_S8_S4_PS3_21rocsparse_index_base_b.num_agpr, 0
	.set _ZN9rocsparseL19gebsrmvn_4xn_kernelILj128ELj3ELj16EdEEvi20rocsparse_direction_NS_24const_host_device_scalarIT2_EEPKiS6_PKS3_S8_S4_PS3_21rocsparse_index_base_b.numbered_sgpr, 14
	.set _ZN9rocsparseL19gebsrmvn_4xn_kernelILj128ELj3ELj16EdEEvi20rocsparse_direction_NS_24const_host_device_scalarIT2_EEPKiS6_PKS3_S8_S4_PS3_21rocsparse_index_base_b.num_named_barrier, 0
	.set _ZN9rocsparseL19gebsrmvn_4xn_kernelILj128ELj3ELj16EdEEvi20rocsparse_direction_NS_24const_host_device_scalarIT2_EEPKiS6_PKS3_S8_S4_PS3_21rocsparse_index_base_b.private_seg_size, 0
	.set _ZN9rocsparseL19gebsrmvn_4xn_kernelILj128ELj3ELj16EdEEvi20rocsparse_direction_NS_24const_host_device_scalarIT2_EEPKiS6_PKS3_S8_S4_PS3_21rocsparse_index_base_b.uses_vcc, 1
	.set _ZN9rocsparseL19gebsrmvn_4xn_kernelILj128ELj3ELj16EdEEvi20rocsparse_direction_NS_24const_host_device_scalarIT2_EEPKiS6_PKS3_S8_S4_PS3_21rocsparse_index_base_b.uses_flat_scratch, 0
	.set _ZN9rocsparseL19gebsrmvn_4xn_kernelILj128ELj3ELj16EdEEvi20rocsparse_direction_NS_24const_host_device_scalarIT2_EEPKiS6_PKS3_S8_S4_PS3_21rocsparse_index_base_b.has_dyn_sized_stack, 0
	.set _ZN9rocsparseL19gebsrmvn_4xn_kernelILj128ELj3ELj16EdEEvi20rocsparse_direction_NS_24const_host_device_scalarIT2_EEPKiS6_PKS3_S8_S4_PS3_21rocsparse_index_base_b.has_recursion, 0
	.set _ZN9rocsparseL19gebsrmvn_4xn_kernelILj128ELj3ELj16EdEEvi20rocsparse_direction_NS_24const_host_device_scalarIT2_EEPKiS6_PKS3_S8_S4_PS3_21rocsparse_index_base_b.has_indirect_call, 0
	.section	.AMDGPU.csdata,"",@progbits
; Kernel info:
; codeLenInByte = 1900
; TotalNumSgprs: 16
; NumVgprs: 52
; ScratchSize: 0
; MemoryBound: 0
; FloatMode: 240
; IeeeMode: 1
; LDSByteSize: 0 bytes/workgroup (compile time only)
; SGPRBlocks: 0
; VGPRBlocks: 3
; NumSGPRsForWavesPerEU: 16
; NumVGPRsForWavesPerEU: 52
; NamedBarCnt: 0
; Occupancy: 16
; WaveLimiterHint : 1
; COMPUTE_PGM_RSRC2:SCRATCH_EN: 0
; COMPUTE_PGM_RSRC2:USER_SGPR: 2
; COMPUTE_PGM_RSRC2:TRAP_HANDLER: 0
; COMPUTE_PGM_RSRC2:TGID_X_EN: 1
; COMPUTE_PGM_RSRC2:TGID_Y_EN: 0
; COMPUTE_PGM_RSRC2:TGID_Z_EN: 0
; COMPUTE_PGM_RSRC2:TIDIG_COMP_CNT: 0
	.section	.text._ZN9rocsparseL19gebsrmvn_4xn_kernelILj128ELj3ELj32EdEEvi20rocsparse_direction_NS_24const_host_device_scalarIT2_EEPKiS6_PKS3_S8_S4_PS3_21rocsparse_index_base_b,"axG",@progbits,_ZN9rocsparseL19gebsrmvn_4xn_kernelILj128ELj3ELj32EdEEvi20rocsparse_direction_NS_24const_host_device_scalarIT2_EEPKiS6_PKS3_S8_S4_PS3_21rocsparse_index_base_b,comdat
	.globl	_ZN9rocsparseL19gebsrmvn_4xn_kernelILj128ELj3ELj32EdEEvi20rocsparse_direction_NS_24const_host_device_scalarIT2_EEPKiS6_PKS3_S8_S4_PS3_21rocsparse_index_base_b ; -- Begin function _ZN9rocsparseL19gebsrmvn_4xn_kernelILj128ELj3ELj32EdEEvi20rocsparse_direction_NS_24const_host_device_scalarIT2_EEPKiS6_PKS3_S8_S4_PS3_21rocsparse_index_base_b
	.p2align	8
	.type	_ZN9rocsparseL19gebsrmvn_4xn_kernelILj128ELj3ELj32EdEEvi20rocsparse_direction_NS_24const_host_device_scalarIT2_EEPKiS6_PKS3_S8_S4_PS3_21rocsparse_index_base_b,@function
_ZN9rocsparseL19gebsrmvn_4xn_kernelILj128ELj3ELj32EdEEvi20rocsparse_direction_NS_24const_host_device_scalarIT2_EEPKiS6_PKS3_S8_S4_PS3_21rocsparse_index_base_b: ; @_ZN9rocsparseL19gebsrmvn_4xn_kernelILj128ELj3ELj32EdEEvi20rocsparse_direction_NS_24const_host_device_scalarIT2_EEPKiS6_PKS3_S8_S4_PS3_21rocsparse_index_base_b
; %bb.0:
	s_clause 0x2
	s_load_b64 s[12:13], s[0:1], 0x40
	s_load_b64 s[4:5], s[0:1], 0x8
	;; [unrolled: 1-line block ×3, first 2 shown]
	s_wait_kmcnt 0x0
	s_bitcmp1_b32 s13, 0
	v_mov_b64_e32 v[2:3], s[4:5]
	s_cselect_b32 s6, -1, 0
	s_delay_alu instid0(SALU_CYCLE_1)
	s_and_b32 vcc_lo, exec_lo, s6
	s_xor_b32 s6, s6, -1
	s_cbranch_vccnz .LBB50_2
; %bb.1:
	v_mov_b32_e32 v1, 0
	flat_load_b64 v[2:3], v1, s[4:5]
.LBB50_2:
	v_mov_b64_e32 v[4:5], s[2:3]
	s_and_not1_b32 vcc_lo, exec_lo, s6
	s_cbranch_vccnz .LBB50_4
; %bb.3:
	s_wait_xcnt 0x0
	v_mov_b32_e32 v1, 0
	flat_load_b64 v[4:5], v1, s[2:3]
.LBB50_4:
	s_wait_loadcnt_dscnt 0x0
	v_cmp_neq_f64_e32 vcc_lo, 0, v[2:3]
	s_delay_alu instid0(VALU_DEP_2) | instskip(SKIP_1) | instid1(SALU_CYCLE_1)
	v_cmp_neq_f64_e64 s2, 1.0, v[4:5]
	s_or_b32 s2, vcc_lo, s2
	s_and_saveexec_b32 s3, s2
	s_cbranch_execz .LBB50_23
; %bb.5:
	s_load_b64 s[2:3], s[0:1], 0x0
	s_bfe_u32 s4, ttmp6, 0x4000c
	s_and_b32 s5, ttmp6, 15
	s_add_co_i32 s4, s4, 1
	s_getreg_b32 s6, hwreg(HW_REG_IB_STS2, 6, 4)
	s_mul_i32 s4, ttmp9, s4
	v_lshrrev_b32_e32 v1, 5, v0
	s_add_co_i32 s5, s5, s4
	s_cmp_eq_u32 s6, 0
	s_cselect_b32 s4, ttmp9, s5
	s_delay_alu instid0(VALU_DEP_1) | instid1(SALU_CYCLE_1)
	v_lshl_or_b32 v6, s4, 2, v1
	s_wait_kmcnt 0x0
	s_delay_alu instid0(VALU_DEP_1)
	v_cmp_gt_i32_e32 vcc_lo, s2, v6
	s_and_b32 exec_lo, exec_lo, vcc_lo
	s_cbranch_execz .LBB50_23
; %bb.6:
	s_load_b256 s[4:11], s[0:1], 0x10
	v_ashrrev_i32_e32 v7, 31, v6
	s_cmp_lg_u32 s3, 0
	s_wait_kmcnt 0x0
	s_delay_alu instid0(VALU_DEP_1)
	v_lshl_add_u64 v[8:9], v[6:7], 2, s[4:5]
	v_and_b32_e32 v7, 31, v0
	global_load_b64 v[8:9], v[8:9], off
	s_wait_loadcnt 0x0
	v_subrev_nc_u32_e32 v0, s12, v8
	v_subrev_nc_u32_e32 v16, s12, v9
	s_delay_alu instid0(VALU_DEP_2) | instskip(NEXT) | instid1(VALU_DEP_1)
	v_add_nc_u32_e32 v17, v0, v7
	v_cmp_lt_i32_e64 s2, v17, v16
	s_cbranch_scc0 .LBB50_12
; %bb.7:
	v_mov_b64_e32 v[0:1], 0
	v_mov_b64_e32 v[8:9], 0
	;; [unrolled: 1-line block ×4, first 2 shown]
	s_and_saveexec_b32 s3, s2
	s_cbranch_execz .LBB50_11
; %bb.8:
	v_mul_lo_u32 v14, v17, 12
	v_mov_b64_e32 v[0:1], 0
	v_mov_b64_e32 v[8:9], 0
	;; [unrolled: 1-line block ×4, first 2 shown]
	v_dual_mov_b32 v15, 0 :: v_dual_mov_b32 v18, v17
	s_mov_b32 s4, 0
.LBB50_9:                               ; =>This Inner Loop Header: Depth=1
	global_load_b32 v19, v18, s[6:7] scale_offset
	v_lshl_add_u64 v[28:29], v[14:15], 3, s[8:9]
	s_wait_xcnt 0x0
	v_add_nc_u32_e32 v18, 32, v18
	global_load_b128 v[20:23], v[28:29], off offset:16
	v_cmp_ge_i32_e32 vcc_lo, v18, v16
	s_or_b32 s4, vcc_lo, s4
	s_wait_loadcnt 0x1
	v_subrev_nc_u32_e32 v19, s12, v19
	s_delay_alu instid0(VALU_DEP_1)
	v_lshl_add_u32 v19, v19, 1, v19
	global_load_b128 v[24:27], v[28:29], off
	global_load_b64 v[44:45], v19, s[10:11] scale_offset
	s_wait_xcnt 0x1
	v_dual_mov_b32 v29, v15 :: v_dual_add_nc_u32 v28, 4, v14
	s_wait_xcnt 0x0
	v_dual_add_nc_u32 v38, 1, v19 :: v_dual_add_nc_u32 v19, 2, v19
	s_delay_alu instid0(VALU_DEP_2)
	v_lshl_add_u64 v[36:37], v[28:29], 3, s[8:9]
	s_clause 0x1
	global_load_b128 v[28:31], v[36:37], off offset:16
	global_load_b128 v[32:35], v[36:37], off
	global_load_b64 v[46:47], v38, s[10:11] scale_offset
	s_wait_xcnt 0x1
	v_dual_mov_b32 v37, v15 :: v_dual_add_nc_u32 v36, 8, v14
	v_add_nc_u32_e32 v14, 0x180, v14
	s_delay_alu instid0(VALU_DEP_2)
	v_lshl_add_u64 v[48:49], v[36:37], 3, s[8:9]
	s_clause 0x1
	global_load_b128 v[36:39], v[48:49], off offset:16
	global_load_b128 v[40:43], v[48:49], off
	global_load_b64 v[50:51], v19, s[10:11] scale_offset
	s_wait_loadcnt 0x6
	v_fmac_f64_e32 v[0:1], v[24:25], v[44:45]
	v_fmac_f64_e32 v[12:13], v[26:27], v[44:45]
	;; [unrolled: 1-line block ×4, first 2 shown]
	s_wait_loadcnt 0x3
	s_delay_alu instid0(VALU_DEP_4) | instskip(NEXT) | instid1(VALU_DEP_4)
	v_fmac_f64_e32 v[0:1], v[32:33], v[46:47]
	v_fmac_f64_e32 v[12:13], v[34:35], v[46:47]
	s_delay_alu instid0(VALU_DEP_4) | instskip(NEXT) | instid1(VALU_DEP_4)
	v_fmac_f64_e32 v[10:11], v[28:29], v[46:47]
	v_fmac_f64_e32 v[8:9], v[30:31], v[46:47]
	s_wait_loadcnt 0x0
	s_delay_alu instid0(VALU_DEP_4) | instskip(NEXT) | instid1(VALU_DEP_4)
	v_fmac_f64_e32 v[0:1], v[40:41], v[50:51]
	v_fmac_f64_e32 v[12:13], v[42:43], v[50:51]
	s_delay_alu instid0(VALU_DEP_4) | instskip(NEXT) | instid1(VALU_DEP_4)
	v_fmac_f64_e32 v[10:11], v[36:37], v[50:51]
	v_fmac_f64_e32 v[8:9], v[38:39], v[50:51]
	s_and_not1_b32 exec_lo, exec_lo, s4
	s_cbranch_execnz .LBB50_9
; %bb.10:
	s_or_b32 exec_lo, exec_lo, s4
.LBB50_11:
	s_delay_alu instid0(SALU_CYCLE_1)
	s_or_b32 exec_lo, exec_lo, s3
	s_cbranch_execz .LBB50_13
	s_branch .LBB50_18
.LBB50_12:
                                        ; implicit-def: $vgpr0_vgpr1
                                        ; implicit-def: $vgpr8_vgpr9
                                        ; implicit-def: $vgpr10_vgpr11
                                        ; implicit-def: $vgpr12_vgpr13
.LBB50_13:
	v_mov_b64_e32 v[0:1], 0
	v_mov_b64_e32 v[8:9], 0
	;; [unrolled: 1-line block ×4, first 2 shown]
	s_and_saveexec_b32 s3, s2
	s_cbranch_execz .LBB50_17
; %bb.14:
	v_mad_u32 v18, v17, 12, 11
	v_mov_b64_e32 v[0:1], 0
	v_mov_b64_e32 v[8:9], 0
	;; [unrolled: 1-line block ×4, first 2 shown]
	v_mov_b32_e32 v15, 0
	s_mov_b32 s2, 0
.LBB50_15:                              ; =>This Inner Loop Header: Depth=1
	global_load_b32 v19, v17, s[6:7] scale_offset
	v_dual_add_nc_u32 v14, -11, v18 :: v_dual_add_nc_u32 v20, -5, v18
	v_dual_add_nc_u32 v21, -2, v18 :: v_dual_add_nc_u32 v38, -4, v18
	v_add_nc_u32_e32 v42, -1, v18
	s_delay_alu instid0(VALU_DEP_3) | instskip(SKIP_2) | instid1(VALU_DEP_1)
	v_lshl_add_u64 v[28:29], v[14:15], 3, s[8:9]
	s_wait_xcnt 0x0
	v_dual_add_nc_u32 v17, 32, v17 :: v_dual_add_nc_u32 v46, -3, v18
	v_cmp_ge_i32_e32 vcc_lo, v17, v16
	s_or_b32 s2, vcc_lo, s2
	s_wait_loadcnt 0x0
	v_subrev_nc_u32_e32 v14, s12, v19
	v_add_nc_u32_e32 v19, -7, v18
	s_clause 0x2
	global_load_b64 v[30:31], v20, s[8:9] scale_offset
	global_load_b64 v[32:33], v21, s[8:9] scale_offset
	global_load_b128 v[20:23], v[28:29], off offset:16
	v_lshl_add_u32 v14, v14, 1, v14
	global_load_b128 v[24:27], v[28:29], off
	global_load_b64 v[34:35], v14, s[10:11] scale_offset
	s_clause 0x1
	global_load_b64 v[28:29], v19, s[8:9] scale_offset
	global_load_b64 v[36:37], v38, s[8:9] scale_offset
	s_wait_xcnt 0x1
	v_dual_add_nc_u32 v19, 1, v14 :: v_dual_add_nc_u32 v14, 2, v14
	global_load_b64 v[38:39], v42, s[8:9] scale_offset
	global_load_b64 v[40:41], v19, s[10:11] scale_offset
	s_wait_xcnt 0x0
	v_add_nc_u32_e32 v19, -6, v18
	s_clause 0x2
	global_load_b64 v[42:43], v19, s[8:9] scale_offset
	global_load_b64 v[44:45], v46, s[8:9] scale_offset
	;; [unrolled: 1-line block ×4, first 2 shown]
	s_wait_xcnt 0x1
	v_add_nc_u32_e32 v18, 0x180, v18
	s_wait_loadcnt 0x8
	v_fmac_f64_e32 v[0:1], v[24:25], v[34:35]
	v_fmac_f64_e32 v[12:13], v[22:23], v[34:35]
	;; [unrolled: 1-line block ×4, first 2 shown]
	s_wait_loadcnt 0x4
	s_delay_alu instid0(VALU_DEP_4) | instskip(NEXT) | instid1(VALU_DEP_4)
	v_fmac_f64_e32 v[0:1], v[26:27], v[40:41]
	v_fmac_f64_e32 v[12:13], v[28:29], v[40:41]
	s_delay_alu instid0(VALU_DEP_4) | instskip(NEXT) | instid1(VALU_DEP_4)
	v_fmac_f64_e32 v[10:11], v[36:37], v[40:41]
	v_fmac_f64_e32 v[8:9], v[38:39], v[40:41]
	s_wait_loadcnt 0x0
	s_delay_alu instid0(VALU_DEP_4) | instskip(NEXT) | instid1(VALU_DEP_4)
	v_fmac_f64_e32 v[0:1], v[20:21], v[48:49]
	v_fmac_f64_e32 v[12:13], v[42:43], v[48:49]
	s_delay_alu instid0(VALU_DEP_4) | instskip(NEXT) | instid1(VALU_DEP_4)
	v_fmac_f64_e32 v[10:11], v[44:45], v[48:49]
	v_fmac_f64_e32 v[8:9], v[46:47], v[48:49]
	s_and_not1_b32 exec_lo, exec_lo, s2
	s_cbranch_execnz .LBB50_15
; %bb.16:
	s_or_b32 exec_lo, exec_lo, s2
.LBB50_17:
	s_delay_alu instid0(SALU_CYCLE_1)
	s_or_b32 exec_lo, exec_lo, s3
.LBB50_18:
	v_mbcnt_lo_u32_b32 v24, -1, 0
	s_delay_alu instid0(VALU_DEP_1) | instskip(NEXT) | instid1(VALU_DEP_1)
	v_xor_b32_e32 v14, 16, v24
	v_cmp_gt_i32_e32 vcc_lo, 32, v14
	v_cndmask_b32_e32 v14, v24, v14, vcc_lo
	s_delay_alu instid0(VALU_DEP_1)
	v_lshlrev_b32_e32 v21, 2, v14
	ds_bpermute_b32 v16, v21, v12
	ds_bpermute_b32 v17, v21, v13
	s_wait_dscnt 0x0
	v_add_f64_e32 v[12:13], v[12:13], v[16:17]
	ds_bpermute_b32 v14, v21, v0
	ds_bpermute_b32 v15, v21, v1
	;; [unrolled: 1-line block ×6, first 2 shown]
	s_wait_dscnt 0x4
	v_dual_add_f64 v[0:1], v[0:1], v[14:15] :: v_dual_bitop2_b32 v14, 8, v24 bitop3:0x14
	s_wait_dscnt 0x2
	v_add_f64_e32 v[10:11], v[10:11], v[18:19]
	s_delay_alu instid0(VALU_DEP_2) | instskip(SKIP_2) | instid1(VALU_DEP_1)
	v_cmp_gt_i32_e32 vcc_lo, 32, v14
	v_cndmask_b32_e32 v14, v24, v14, vcc_lo
	s_wait_dscnt 0x0
	v_dual_add_f64 v[8:9], v[8:9], v[20:21] :: v_dual_lshlrev_b32 v21, 2, v14
	ds_bpermute_b32 v16, v21, v12
	ds_bpermute_b32 v17, v21, v13
	;; [unrolled: 1-line block ×8, first 2 shown]
	s_wait_dscnt 0x4
	v_dual_add_f64 v[0:1], v[0:1], v[14:15] :: v_dual_bitop2_b32 v14, 4, v24 bitop3:0x14
	s_wait_dscnt 0x2
	v_add_f64_e32 v[10:11], v[10:11], v[18:19]
	s_delay_alu instid0(VALU_DEP_2) | instskip(SKIP_3) | instid1(VALU_DEP_2)
	v_cmp_gt_i32_e32 vcc_lo, 32, v14
	v_cndmask_b32_e32 v14, v24, v14, vcc_lo
	v_add_f64_e32 v[12:13], v[12:13], v[16:17]
	s_wait_dscnt 0x0
	v_dual_add_f64 v[8:9], v[8:9], v[20:21] :: v_dual_lshlrev_b32 v21, 2, v14
	ds_bpermute_b32 v14, v21, v0
	ds_bpermute_b32 v15, v21, v1
	;; [unrolled: 1-line block ×6, first 2 shown]
	s_wait_dscnt 0x4
	v_add_f64_e32 v[0:1], v[0:1], v[14:15]
	s_wait_dscnt 0x0
	v_add_f64_e32 v[14:15], v[12:13], v[16:17]
	v_dual_add_f64 v[16:17], v[10:11], v[18:19] :: v_dual_bitop2_b32 v10, 2, v24 bitop3:0x14
	s_delay_alu instid0(VALU_DEP_1) | instskip(SKIP_1) | instid1(VALU_DEP_1)
	v_cmp_gt_i32_e32 vcc_lo, 32, v10
	v_cndmask_b32_e32 v10, v24, v10, vcc_lo
	v_lshlrev_b32_e32 v12, 2, v10
	ds_bpermute_b32 v20, v21, v8
	ds_bpermute_b32 v21, v21, v9
	;; [unrolled: 1-line block ×6, first 2 shown]
	s_wait_dscnt 0x4
	v_add_f64_e32 v[8:9], v[8:9], v[20:21]
	ds_bpermute_b32 v20, v12, v16
	ds_bpermute_b32 v21, v12, v17
	;; [unrolled: 1-line block ×4, first 2 shown]
	s_wait_dscnt 0x6
	v_add_f64_e32 v[12:13], v[0:1], v[10:11]
	s_wait_dscnt 0x4
	v_dual_add_f64 v[10:11], v[14:15], v[18:19] :: v_dual_bitop2_b32 v14, 1, v24 bitop3:0x14
	s_wait_dscnt 0x2
	v_add_f64_e32 v[0:1], v[16:17], v[20:21]
	s_delay_alu instid0(VALU_DEP_2) | instskip(SKIP_2) | instid1(VALU_DEP_2)
	v_cmp_gt_i32_e32 vcc_lo, 32, v14
	v_cndmask_b32_e32 v14, v24, v14, vcc_lo
	v_cmp_eq_u32_e32 vcc_lo, 31, v7
	v_lshlrev_b32_e32 v15, 2, v14
	s_wait_dscnt 0x0
	v_add_f64_e32 v[8:9], v[8:9], v[22:23]
	ds_bpermute_b32 v20, v15, v12
	ds_bpermute_b32 v21, v15, v13
	;; [unrolled: 1-line block ×8, first 2 shown]
	s_and_b32 exec_lo, exec_lo, vcc_lo
	s_cbranch_execz .LBB50_23
; %bb.19:
	s_wait_dscnt 0x6
	v_add_f64_e32 v[12:13], v[12:13], v[20:21]
	s_wait_dscnt 0x4
	v_add_f64_e32 v[10:11], v[10:11], v[18:19]
	;; [unrolled: 2-line block ×4, first 2 shown]
	s_load_b64 s[0:1], s[0:1], 0x38
	s_mov_b32 s2, exec_lo
	v_cmpx_eq_f64_e32 0, v[4:5]
	s_xor_b32 s2, exec_lo, s2
	s_cbranch_execz .LBB50_21
; %bb.20:
	v_dual_mul_f64 v[12:13], v[2:3], v[12:13] :: v_dual_lshlrev_b32 v4, 2, v6
	v_mul_f64_e32 v[14:15], v[2:3], v[10:11]
	v_mul_f64_e32 v[0:1], v[2:3], v[0:1]
	;; [unrolled: 1-line block ×3, first 2 shown]
                                        ; implicit-def: $vgpr6
                                        ; implicit-def: $vgpr10_vgpr11
                                        ; implicit-def: $vgpr8_vgpr9
	s_delay_alu instid0(VALU_DEP_4) | instskip(SKIP_1) | instid1(VALU_DEP_1)
	v_ashrrev_i32_e32 v5, 31, v4
	s_wait_kmcnt 0x0
	v_lshl_add_u64 v[4:5], v[4:5], 3, s[0:1]
	s_clause 0x1
	global_store_b128 v[4:5], v[12:15], off
	global_store_b128 v[4:5], v[0:3], off offset:16
                                        ; implicit-def: $vgpr2_vgpr3
                                        ; implicit-def: $vgpr12_vgpr13
                                        ; implicit-def: $vgpr4_vgpr5
                                        ; implicit-def: $vgpr0_vgpr1
.LBB50_21:
	s_wait_xcnt 0x0
	s_and_not1_saveexec_b32 s2, s2
	s_cbranch_execz .LBB50_23
; %bb.22:
	v_dual_mul_f64 v[22:23], v[2:3], v[12:13] :: v_dual_lshlrev_b32 v6, 2, v6
	v_mul_f64_e32 v[24:25], v[2:3], v[10:11]
	v_mul_f64_e32 v[0:1], v[2:3], v[0:1]
	s_delay_alu instid0(VALU_DEP_3) | instskip(SKIP_1) | instid1(VALU_DEP_1)
	v_dual_mul_f64 v[2:3], v[2:3], v[8:9] :: v_dual_ashrrev_i32 v7, 31, v6
	s_wait_kmcnt 0x0
	v_lshl_add_u64 v[6:7], v[6:7], 3, s[0:1]
	s_clause 0x1
	global_load_b128 v[14:17], v[6:7], off
	global_load_b128 v[18:21], v[6:7], off offset:16
	s_wait_loadcnt 0x1
	v_fmac_f64_e32 v[22:23], v[4:5], v[14:15]
	v_fmac_f64_e32 v[24:25], v[4:5], v[16:17]
	s_wait_loadcnt 0x0
	v_fmac_f64_e32 v[0:1], v[4:5], v[18:19]
	v_fmac_f64_e32 v[2:3], v[4:5], v[20:21]
	s_clause 0x1
	global_store_b128 v[6:7], v[22:25], off
	global_store_b128 v[6:7], v[0:3], off offset:16
.LBB50_23:
	s_endpgm
	.section	.rodata,"a",@progbits
	.p2align	6, 0x0
	.amdhsa_kernel _ZN9rocsparseL19gebsrmvn_4xn_kernelILj128ELj3ELj32EdEEvi20rocsparse_direction_NS_24const_host_device_scalarIT2_EEPKiS6_PKS3_S8_S4_PS3_21rocsparse_index_base_b
		.amdhsa_group_segment_fixed_size 0
		.amdhsa_private_segment_fixed_size 0
		.amdhsa_kernarg_size 72
		.amdhsa_user_sgpr_count 2
		.amdhsa_user_sgpr_dispatch_ptr 0
		.amdhsa_user_sgpr_queue_ptr 0
		.amdhsa_user_sgpr_kernarg_segment_ptr 1
		.amdhsa_user_sgpr_dispatch_id 0
		.amdhsa_user_sgpr_kernarg_preload_length 0
		.amdhsa_user_sgpr_kernarg_preload_offset 0
		.amdhsa_user_sgpr_private_segment_size 0
		.amdhsa_wavefront_size32 1
		.amdhsa_uses_dynamic_stack 0
		.amdhsa_enable_private_segment 0
		.amdhsa_system_sgpr_workgroup_id_x 1
		.amdhsa_system_sgpr_workgroup_id_y 0
		.amdhsa_system_sgpr_workgroup_id_z 0
		.amdhsa_system_sgpr_workgroup_info 0
		.amdhsa_system_vgpr_workitem_id 0
		.amdhsa_next_free_vgpr 52
		.amdhsa_next_free_sgpr 14
		.amdhsa_named_barrier_count 0
		.amdhsa_reserve_vcc 1
		.amdhsa_float_round_mode_32 0
		.amdhsa_float_round_mode_16_64 0
		.amdhsa_float_denorm_mode_32 3
		.amdhsa_float_denorm_mode_16_64 3
		.amdhsa_fp16_overflow 0
		.amdhsa_memory_ordered 1
		.amdhsa_forward_progress 1
		.amdhsa_inst_pref_size 16
		.amdhsa_round_robin_scheduling 0
		.amdhsa_exception_fp_ieee_invalid_op 0
		.amdhsa_exception_fp_denorm_src 0
		.amdhsa_exception_fp_ieee_div_zero 0
		.amdhsa_exception_fp_ieee_overflow 0
		.amdhsa_exception_fp_ieee_underflow 0
		.amdhsa_exception_fp_ieee_inexact 0
		.amdhsa_exception_int_div_zero 0
	.end_amdhsa_kernel
	.section	.text._ZN9rocsparseL19gebsrmvn_4xn_kernelILj128ELj3ELj32EdEEvi20rocsparse_direction_NS_24const_host_device_scalarIT2_EEPKiS6_PKS3_S8_S4_PS3_21rocsparse_index_base_b,"axG",@progbits,_ZN9rocsparseL19gebsrmvn_4xn_kernelILj128ELj3ELj32EdEEvi20rocsparse_direction_NS_24const_host_device_scalarIT2_EEPKiS6_PKS3_S8_S4_PS3_21rocsparse_index_base_b,comdat
.Lfunc_end50:
	.size	_ZN9rocsparseL19gebsrmvn_4xn_kernelILj128ELj3ELj32EdEEvi20rocsparse_direction_NS_24const_host_device_scalarIT2_EEPKiS6_PKS3_S8_S4_PS3_21rocsparse_index_base_b, .Lfunc_end50-_ZN9rocsparseL19gebsrmvn_4xn_kernelILj128ELj3ELj32EdEEvi20rocsparse_direction_NS_24const_host_device_scalarIT2_EEPKiS6_PKS3_S8_S4_PS3_21rocsparse_index_base_b
                                        ; -- End function
	.set _ZN9rocsparseL19gebsrmvn_4xn_kernelILj128ELj3ELj32EdEEvi20rocsparse_direction_NS_24const_host_device_scalarIT2_EEPKiS6_PKS3_S8_S4_PS3_21rocsparse_index_base_b.num_vgpr, 52
	.set _ZN9rocsparseL19gebsrmvn_4xn_kernelILj128ELj3ELj32EdEEvi20rocsparse_direction_NS_24const_host_device_scalarIT2_EEPKiS6_PKS3_S8_S4_PS3_21rocsparse_index_base_b.num_agpr, 0
	.set _ZN9rocsparseL19gebsrmvn_4xn_kernelILj128ELj3ELj32EdEEvi20rocsparse_direction_NS_24const_host_device_scalarIT2_EEPKiS6_PKS3_S8_S4_PS3_21rocsparse_index_base_b.numbered_sgpr, 14
	.set _ZN9rocsparseL19gebsrmvn_4xn_kernelILj128ELj3ELj32EdEEvi20rocsparse_direction_NS_24const_host_device_scalarIT2_EEPKiS6_PKS3_S8_S4_PS3_21rocsparse_index_base_b.num_named_barrier, 0
	.set _ZN9rocsparseL19gebsrmvn_4xn_kernelILj128ELj3ELj32EdEEvi20rocsparse_direction_NS_24const_host_device_scalarIT2_EEPKiS6_PKS3_S8_S4_PS3_21rocsparse_index_base_b.private_seg_size, 0
	.set _ZN9rocsparseL19gebsrmvn_4xn_kernelILj128ELj3ELj32EdEEvi20rocsparse_direction_NS_24const_host_device_scalarIT2_EEPKiS6_PKS3_S8_S4_PS3_21rocsparse_index_base_b.uses_vcc, 1
	.set _ZN9rocsparseL19gebsrmvn_4xn_kernelILj128ELj3ELj32EdEEvi20rocsparse_direction_NS_24const_host_device_scalarIT2_EEPKiS6_PKS3_S8_S4_PS3_21rocsparse_index_base_b.uses_flat_scratch, 0
	.set _ZN9rocsparseL19gebsrmvn_4xn_kernelILj128ELj3ELj32EdEEvi20rocsparse_direction_NS_24const_host_device_scalarIT2_EEPKiS6_PKS3_S8_S4_PS3_21rocsparse_index_base_b.has_dyn_sized_stack, 0
	.set _ZN9rocsparseL19gebsrmvn_4xn_kernelILj128ELj3ELj32EdEEvi20rocsparse_direction_NS_24const_host_device_scalarIT2_EEPKiS6_PKS3_S8_S4_PS3_21rocsparse_index_base_b.has_recursion, 0
	.set _ZN9rocsparseL19gebsrmvn_4xn_kernelILj128ELj3ELj32EdEEvi20rocsparse_direction_NS_24const_host_device_scalarIT2_EEPKiS6_PKS3_S8_S4_PS3_21rocsparse_index_base_b.has_indirect_call, 0
	.section	.AMDGPU.csdata,"",@progbits
; Kernel info:
; codeLenInByte = 2020
; TotalNumSgprs: 16
; NumVgprs: 52
; ScratchSize: 0
; MemoryBound: 0
; FloatMode: 240
; IeeeMode: 1
; LDSByteSize: 0 bytes/workgroup (compile time only)
; SGPRBlocks: 0
; VGPRBlocks: 3
; NumSGPRsForWavesPerEU: 16
; NumVGPRsForWavesPerEU: 52
; NamedBarCnt: 0
; Occupancy: 16
; WaveLimiterHint : 1
; COMPUTE_PGM_RSRC2:SCRATCH_EN: 0
; COMPUTE_PGM_RSRC2:USER_SGPR: 2
; COMPUTE_PGM_RSRC2:TRAP_HANDLER: 0
; COMPUTE_PGM_RSRC2:TGID_X_EN: 1
; COMPUTE_PGM_RSRC2:TGID_Y_EN: 0
; COMPUTE_PGM_RSRC2:TGID_Z_EN: 0
; COMPUTE_PGM_RSRC2:TIDIG_COMP_CNT: 0
	.section	.text._ZN9rocsparseL19gebsrmvn_4xn_kernelILj128ELj3ELj64EdEEvi20rocsparse_direction_NS_24const_host_device_scalarIT2_EEPKiS6_PKS3_S8_S4_PS3_21rocsparse_index_base_b,"axG",@progbits,_ZN9rocsparseL19gebsrmvn_4xn_kernelILj128ELj3ELj64EdEEvi20rocsparse_direction_NS_24const_host_device_scalarIT2_EEPKiS6_PKS3_S8_S4_PS3_21rocsparse_index_base_b,comdat
	.globl	_ZN9rocsparseL19gebsrmvn_4xn_kernelILj128ELj3ELj64EdEEvi20rocsparse_direction_NS_24const_host_device_scalarIT2_EEPKiS6_PKS3_S8_S4_PS3_21rocsparse_index_base_b ; -- Begin function _ZN9rocsparseL19gebsrmvn_4xn_kernelILj128ELj3ELj64EdEEvi20rocsparse_direction_NS_24const_host_device_scalarIT2_EEPKiS6_PKS3_S8_S4_PS3_21rocsparse_index_base_b
	.p2align	8
	.type	_ZN9rocsparseL19gebsrmvn_4xn_kernelILj128ELj3ELj64EdEEvi20rocsparse_direction_NS_24const_host_device_scalarIT2_EEPKiS6_PKS3_S8_S4_PS3_21rocsparse_index_base_b,@function
_ZN9rocsparseL19gebsrmvn_4xn_kernelILj128ELj3ELj64EdEEvi20rocsparse_direction_NS_24const_host_device_scalarIT2_EEPKiS6_PKS3_S8_S4_PS3_21rocsparse_index_base_b: ; @_ZN9rocsparseL19gebsrmvn_4xn_kernelILj128ELj3ELj64EdEEvi20rocsparse_direction_NS_24const_host_device_scalarIT2_EEPKiS6_PKS3_S8_S4_PS3_21rocsparse_index_base_b
; %bb.0:
	s_clause 0x2
	s_load_b64 s[12:13], s[0:1], 0x40
	s_load_b64 s[4:5], s[0:1], 0x8
	;; [unrolled: 1-line block ×3, first 2 shown]
	s_wait_kmcnt 0x0
	s_bitcmp1_b32 s13, 0
	v_mov_b64_e32 v[2:3], s[4:5]
	s_cselect_b32 s6, -1, 0
	s_delay_alu instid0(SALU_CYCLE_1)
	s_and_b32 vcc_lo, exec_lo, s6
	s_xor_b32 s6, s6, -1
	s_cbranch_vccnz .LBB51_2
; %bb.1:
	v_mov_b32_e32 v1, 0
	flat_load_b64 v[2:3], v1, s[4:5]
.LBB51_2:
	v_mov_b64_e32 v[4:5], s[2:3]
	s_and_not1_b32 vcc_lo, exec_lo, s6
	s_cbranch_vccnz .LBB51_4
; %bb.3:
	s_wait_xcnt 0x0
	v_mov_b32_e32 v1, 0
	flat_load_b64 v[4:5], v1, s[2:3]
.LBB51_4:
	s_wait_loadcnt_dscnt 0x0
	v_cmp_neq_f64_e32 vcc_lo, 0, v[2:3]
	s_delay_alu instid0(VALU_DEP_2) | instskip(SKIP_1) | instid1(SALU_CYCLE_1)
	v_cmp_neq_f64_e64 s2, 1.0, v[4:5]
	s_or_b32 s2, vcc_lo, s2
	s_and_saveexec_b32 s3, s2
	s_cbranch_execz .LBB51_23
; %bb.5:
	s_load_b64 s[2:3], s[0:1], 0x0
	s_bfe_u32 s4, ttmp6, 0x4000c
	s_and_b32 s5, ttmp6, 15
	s_add_co_i32 s4, s4, 1
	s_getreg_b32 s6, hwreg(HW_REG_IB_STS2, 6, 4)
	s_mul_i32 s4, ttmp9, s4
	v_lshrrev_b32_e32 v1, 6, v0
	s_add_co_i32 s5, s5, s4
	s_cmp_eq_u32 s6, 0
	s_cselect_b32 s4, ttmp9, s5
	s_delay_alu instid0(VALU_DEP_1) | instid1(SALU_CYCLE_1)
	v_lshl_or_b32 v6, s4, 1, v1
	s_wait_kmcnt 0x0
	s_delay_alu instid0(VALU_DEP_1)
	v_cmp_gt_i32_e32 vcc_lo, s2, v6
	s_and_b32 exec_lo, exec_lo, vcc_lo
	s_cbranch_execz .LBB51_23
; %bb.6:
	s_load_b256 s[4:11], s[0:1], 0x10
	v_ashrrev_i32_e32 v7, 31, v6
	s_cmp_lg_u32 s3, 0
	s_wait_kmcnt 0x0
	s_delay_alu instid0(VALU_DEP_1)
	v_lshl_add_u64 v[8:9], v[6:7], 2, s[4:5]
	v_and_b32_e32 v7, 63, v0
	global_load_b64 v[8:9], v[8:9], off
	s_wait_loadcnt 0x0
	v_subrev_nc_u32_e32 v0, s12, v8
	v_subrev_nc_u32_e32 v16, s12, v9
	s_delay_alu instid0(VALU_DEP_2) | instskip(NEXT) | instid1(VALU_DEP_1)
	v_add_nc_u32_e32 v17, v0, v7
	v_cmp_lt_i32_e64 s2, v17, v16
	s_cbranch_scc0 .LBB51_12
; %bb.7:
	v_mov_b64_e32 v[0:1], 0
	v_mov_b64_e32 v[8:9], 0
	;; [unrolled: 1-line block ×4, first 2 shown]
	s_and_saveexec_b32 s3, s2
	s_cbranch_execz .LBB51_11
; %bb.8:
	v_mul_lo_u32 v14, v17, 12
	v_mov_b64_e32 v[0:1], 0
	v_mov_b64_e32 v[8:9], 0
	;; [unrolled: 1-line block ×4, first 2 shown]
	v_dual_mov_b32 v15, 0 :: v_dual_mov_b32 v18, v17
	s_mov_b32 s4, 0
.LBB51_9:                               ; =>This Inner Loop Header: Depth=1
	global_load_b32 v19, v18, s[6:7] scale_offset
	v_lshl_add_u64 v[28:29], v[14:15], 3, s[8:9]
	s_wait_xcnt 0x0
	v_add_nc_u32_e32 v18, 64, v18
	global_load_b128 v[20:23], v[28:29], off offset:16
	v_cmp_ge_i32_e32 vcc_lo, v18, v16
	s_or_b32 s4, vcc_lo, s4
	s_wait_loadcnt 0x1
	v_subrev_nc_u32_e32 v19, s12, v19
	s_delay_alu instid0(VALU_DEP_1)
	v_lshl_add_u32 v19, v19, 1, v19
	global_load_b128 v[24:27], v[28:29], off
	global_load_b64 v[44:45], v19, s[10:11] scale_offset
	s_wait_xcnt 0x1
	v_dual_mov_b32 v29, v15 :: v_dual_add_nc_u32 v28, 4, v14
	s_wait_xcnt 0x0
	v_dual_add_nc_u32 v38, 1, v19 :: v_dual_add_nc_u32 v19, 2, v19
	s_delay_alu instid0(VALU_DEP_2)
	v_lshl_add_u64 v[36:37], v[28:29], 3, s[8:9]
	s_clause 0x1
	global_load_b128 v[28:31], v[36:37], off offset:16
	global_load_b128 v[32:35], v[36:37], off
	global_load_b64 v[46:47], v38, s[10:11] scale_offset
	s_wait_xcnt 0x1
	v_dual_mov_b32 v37, v15 :: v_dual_add_nc_u32 v36, 8, v14
	v_add_nc_u32_e32 v14, 0x300, v14
	s_delay_alu instid0(VALU_DEP_2)
	v_lshl_add_u64 v[48:49], v[36:37], 3, s[8:9]
	s_clause 0x1
	global_load_b128 v[36:39], v[48:49], off offset:16
	global_load_b128 v[40:43], v[48:49], off
	global_load_b64 v[50:51], v19, s[10:11] scale_offset
	s_wait_loadcnt 0x6
	v_fmac_f64_e32 v[0:1], v[24:25], v[44:45]
	v_fmac_f64_e32 v[12:13], v[26:27], v[44:45]
	;; [unrolled: 1-line block ×4, first 2 shown]
	s_wait_loadcnt 0x3
	s_delay_alu instid0(VALU_DEP_4) | instskip(NEXT) | instid1(VALU_DEP_4)
	v_fmac_f64_e32 v[0:1], v[32:33], v[46:47]
	v_fmac_f64_e32 v[12:13], v[34:35], v[46:47]
	s_delay_alu instid0(VALU_DEP_4) | instskip(NEXT) | instid1(VALU_DEP_4)
	v_fmac_f64_e32 v[10:11], v[28:29], v[46:47]
	v_fmac_f64_e32 v[8:9], v[30:31], v[46:47]
	s_wait_loadcnt 0x0
	s_delay_alu instid0(VALU_DEP_4) | instskip(NEXT) | instid1(VALU_DEP_4)
	v_fmac_f64_e32 v[0:1], v[40:41], v[50:51]
	v_fmac_f64_e32 v[12:13], v[42:43], v[50:51]
	s_delay_alu instid0(VALU_DEP_4) | instskip(NEXT) | instid1(VALU_DEP_4)
	v_fmac_f64_e32 v[10:11], v[36:37], v[50:51]
	v_fmac_f64_e32 v[8:9], v[38:39], v[50:51]
	s_and_not1_b32 exec_lo, exec_lo, s4
	s_cbranch_execnz .LBB51_9
; %bb.10:
	s_or_b32 exec_lo, exec_lo, s4
.LBB51_11:
	s_delay_alu instid0(SALU_CYCLE_1)
	s_or_b32 exec_lo, exec_lo, s3
	s_cbranch_execz .LBB51_13
	s_branch .LBB51_18
.LBB51_12:
                                        ; implicit-def: $vgpr0_vgpr1
                                        ; implicit-def: $vgpr8_vgpr9
                                        ; implicit-def: $vgpr10_vgpr11
                                        ; implicit-def: $vgpr12_vgpr13
.LBB51_13:
	v_mov_b64_e32 v[0:1], 0
	v_mov_b64_e32 v[8:9], 0
	v_mov_b64_e32 v[10:11], 0
	v_mov_b64_e32 v[12:13], 0
	s_and_saveexec_b32 s3, s2
	s_cbranch_execz .LBB51_17
; %bb.14:
	v_mad_u32 v18, v17, 12, 11
	v_mov_b64_e32 v[0:1], 0
	v_mov_b64_e32 v[8:9], 0
	;; [unrolled: 1-line block ×4, first 2 shown]
	v_mov_b32_e32 v15, 0
	s_mov_b32 s2, 0
.LBB51_15:                              ; =>This Inner Loop Header: Depth=1
	global_load_b32 v19, v17, s[6:7] scale_offset
	v_dual_add_nc_u32 v14, -11, v18 :: v_dual_add_nc_u32 v20, -5, v18
	v_dual_add_nc_u32 v21, -2, v18 :: v_dual_add_nc_u32 v38, -4, v18
	v_add_nc_u32_e32 v42, -1, v18
	s_delay_alu instid0(VALU_DEP_3) | instskip(SKIP_2) | instid1(VALU_DEP_1)
	v_lshl_add_u64 v[28:29], v[14:15], 3, s[8:9]
	s_wait_xcnt 0x0
	v_dual_add_nc_u32 v17, 64, v17 :: v_dual_add_nc_u32 v46, -3, v18
	v_cmp_ge_i32_e32 vcc_lo, v17, v16
	s_or_b32 s2, vcc_lo, s2
	s_wait_loadcnt 0x0
	v_subrev_nc_u32_e32 v14, s12, v19
	v_add_nc_u32_e32 v19, -7, v18
	s_clause 0x2
	global_load_b64 v[30:31], v20, s[8:9] scale_offset
	global_load_b64 v[32:33], v21, s[8:9] scale_offset
	global_load_b128 v[20:23], v[28:29], off offset:16
	v_lshl_add_u32 v14, v14, 1, v14
	global_load_b128 v[24:27], v[28:29], off
	global_load_b64 v[34:35], v14, s[10:11] scale_offset
	s_clause 0x1
	global_load_b64 v[28:29], v19, s[8:9] scale_offset
	global_load_b64 v[36:37], v38, s[8:9] scale_offset
	s_wait_xcnt 0x1
	v_dual_add_nc_u32 v19, 1, v14 :: v_dual_add_nc_u32 v14, 2, v14
	global_load_b64 v[38:39], v42, s[8:9] scale_offset
	global_load_b64 v[40:41], v19, s[10:11] scale_offset
	s_wait_xcnt 0x0
	v_add_nc_u32_e32 v19, -6, v18
	s_clause 0x2
	global_load_b64 v[42:43], v19, s[8:9] scale_offset
	global_load_b64 v[44:45], v46, s[8:9] scale_offset
	;; [unrolled: 1-line block ×4, first 2 shown]
	s_wait_xcnt 0x1
	v_add_nc_u32_e32 v18, 0x300, v18
	s_wait_loadcnt 0x8
	v_fmac_f64_e32 v[0:1], v[24:25], v[34:35]
	v_fmac_f64_e32 v[12:13], v[22:23], v[34:35]
	;; [unrolled: 1-line block ×4, first 2 shown]
	s_wait_loadcnt 0x4
	s_delay_alu instid0(VALU_DEP_4) | instskip(NEXT) | instid1(VALU_DEP_4)
	v_fmac_f64_e32 v[0:1], v[26:27], v[40:41]
	v_fmac_f64_e32 v[12:13], v[28:29], v[40:41]
	s_delay_alu instid0(VALU_DEP_4) | instskip(NEXT) | instid1(VALU_DEP_4)
	v_fmac_f64_e32 v[10:11], v[36:37], v[40:41]
	v_fmac_f64_e32 v[8:9], v[38:39], v[40:41]
	s_wait_loadcnt 0x0
	s_delay_alu instid0(VALU_DEP_4) | instskip(NEXT) | instid1(VALU_DEP_4)
	v_fmac_f64_e32 v[0:1], v[20:21], v[48:49]
	v_fmac_f64_e32 v[12:13], v[42:43], v[48:49]
	s_delay_alu instid0(VALU_DEP_4) | instskip(NEXT) | instid1(VALU_DEP_4)
	v_fmac_f64_e32 v[10:11], v[44:45], v[48:49]
	v_fmac_f64_e32 v[8:9], v[46:47], v[48:49]
	s_and_not1_b32 exec_lo, exec_lo, s2
	s_cbranch_execnz .LBB51_15
; %bb.16:
	s_or_b32 exec_lo, exec_lo, s2
.LBB51_17:
	s_delay_alu instid0(SALU_CYCLE_1)
	s_or_b32 exec_lo, exec_lo, s3
.LBB51_18:
	v_mbcnt_lo_u32_b32 v24, -1, 0
	s_delay_alu instid0(VALU_DEP_1) | instskip(NEXT) | instid1(VALU_DEP_1)
	v_or_b32_e32 v14, 32, v24
	v_cmp_gt_i32_e32 vcc_lo, 32, v14
	v_cndmask_b32_e32 v14, v24, v14, vcc_lo
	s_delay_alu instid0(VALU_DEP_1)
	v_lshlrev_b32_e32 v21, 2, v14
	ds_bpermute_b32 v16, v21, v12
	ds_bpermute_b32 v17, v21, v13
	s_wait_dscnt 0x0
	v_add_f64_e32 v[12:13], v[12:13], v[16:17]
	ds_bpermute_b32 v14, v21, v0
	ds_bpermute_b32 v15, v21, v1
	;; [unrolled: 1-line block ×6, first 2 shown]
	s_wait_dscnt 0x4
	v_dual_add_f64 v[0:1], v[0:1], v[14:15] :: v_dual_bitop2_b32 v14, 16, v24 bitop3:0x14
	s_wait_dscnt 0x2
	v_add_f64_e32 v[10:11], v[10:11], v[18:19]
	s_delay_alu instid0(VALU_DEP_2) | instskip(SKIP_2) | instid1(VALU_DEP_1)
	v_cmp_gt_i32_e32 vcc_lo, 32, v14
	v_cndmask_b32_e32 v14, v24, v14, vcc_lo
	s_wait_dscnt 0x0
	v_dual_add_f64 v[8:9], v[8:9], v[20:21] :: v_dual_lshlrev_b32 v21, 2, v14
	ds_bpermute_b32 v16, v21, v12
	ds_bpermute_b32 v17, v21, v13
	;; [unrolled: 1-line block ×8, first 2 shown]
	s_wait_dscnt 0x4
	v_dual_add_f64 v[0:1], v[0:1], v[14:15] :: v_dual_bitop2_b32 v14, 8, v24 bitop3:0x14
	s_wait_dscnt 0x2
	v_add_f64_e32 v[10:11], v[10:11], v[18:19]
	s_delay_alu instid0(VALU_DEP_2) | instskip(SKIP_3) | instid1(VALU_DEP_2)
	v_cmp_gt_i32_e32 vcc_lo, 32, v14
	v_cndmask_b32_e32 v14, v24, v14, vcc_lo
	v_add_f64_e32 v[12:13], v[12:13], v[16:17]
	s_wait_dscnt 0x0
	v_dual_add_f64 v[8:9], v[8:9], v[20:21] :: v_dual_lshlrev_b32 v21, 2, v14
	ds_bpermute_b32 v14, v21, v0
	ds_bpermute_b32 v15, v21, v1
	;; [unrolled: 1-line block ×5, first 2 shown]
	s_wait_dscnt 0x3
	v_dual_add_f64 v[0:1], v[0:1], v[14:15] :: v_dual_bitop2_b32 v14, 4, v24 bitop3:0x14
	ds_bpermute_b32 v18, v21, v10
	ds_bpermute_b32 v19, v21, v11
	;; [unrolled: 1-line block ×3, first 2 shown]
	v_cmp_gt_i32_e32 vcc_lo, 32, v14
	v_cndmask_b32_e32 v14, v24, v14, vcc_lo
	s_wait_dscnt 0x4
	v_add_f64_e32 v[12:13], v[12:13], v[16:17]
	s_wait_dscnt 0x1
	v_add_f64_e32 v[10:11], v[10:11], v[18:19]
	s_wait_dscnt 0x0
	v_dual_add_f64 v[8:9], v[8:9], v[20:21] :: v_dual_lshlrev_b32 v21, 2, v14
	ds_bpermute_b32 v14, v21, v0
	ds_bpermute_b32 v15, v21, v1
	;; [unrolled: 1-line block ×4, first 2 shown]
	s_wait_dscnt 0x2
	v_add_f64_e32 v[0:1], v[0:1], v[14:15]
	ds_bpermute_b32 v18, v21, v10
	ds_bpermute_b32 v19, v21, v11
	s_wait_dscnt 0x2
	v_add_f64_e32 v[14:15], v[12:13], v[16:17]
	s_wait_dscnt 0x0
	v_dual_add_f64 v[16:17], v[10:11], v[18:19] :: v_dual_bitop2_b32 v10, 2, v24 bitop3:0x14
	s_delay_alu instid0(VALU_DEP_1) | instskip(SKIP_1) | instid1(VALU_DEP_1)
	v_cmp_gt_i32_e32 vcc_lo, 32, v10
	v_cndmask_b32_e32 v10, v24, v10, vcc_lo
	v_lshlrev_b32_e32 v12, 2, v10
	ds_bpermute_b32 v20, v21, v8
	ds_bpermute_b32 v21, v21, v9
	;; [unrolled: 1-line block ×6, first 2 shown]
	s_wait_dscnt 0x4
	v_add_f64_e32 v[8:9], v[8:9], v[20:21]
	ds_bpermute_b32 v20, v12, v16
	ds_bpermute_b32 v21, v12, v17
	;; [unrolled: 1-line block ×4, first 2 shown]
	s_wait_dscnt 0x6
	v_add_f64_e32 v[12:13], v[0:1], v[10:11]
	s_wait_dscnt 0x4
	v_add_f64_e32 v[10:11], v[14:15], v[18:19]
	;; [unrolled: 2-line block ×3, first 2 shown]
	v_xor_b32_e32 v14, 1, v24
	s_delay_alu instid0(VALU_DEP_1) | instskip(SKIP_2) | instid1(VALU_DEP_2)
	v_cmp_gt_i32_e32 vcc_lo, 32, v14
	v_cndmask_b32_e32 v14, v24, v14, vcc_lo
	v_cmp_eq_u32_e32 vcc_lo, 63, v7
	v_lshlrev_b32_e32 v15, 2, v14
	s_wait_dscnt 0x0
	v_add_f64_e32 v[8:9], v[8:9], v[22:23]
	ds_bpermute_b32 v20, v15, v12
	ds_bpermute_b32 v21, v15, v13
	;; [unrolled: 1-line block ×8, first 2 shown]
	s_and_b32 exec_lo, exec_lo, vcc_lo
	s_cbranch_execz .LBB51_23
; %bb.19:
	s_wait_dscnt 0x6
	v_add_f64_e32 v[12:13], v[12:13], v[20:21]
	s_wait_dscnt 0x4
	v_add_f64_e32 v[10:11], v[10:11], v[18:19]
	;; [unrolled: 2-line block ×4, first 2 shown]
	s_load_b64 s[0:1], s[0:1], 0x38
	s_mov_b32 s2, exec_lo
	v_cmpx_eq_f64_e32 0, v[4:5]
	s_xor_b32 s2, exec_lo, s2
	s_cbranch_execz .LBB51_21
; %bb.20:
	v_dual_mul_f64 v[12:13], v[2:3], v[12:13] :: v_dual_lshlrev_b32 v4, 2, v6
	v_mul_f64_e32 v[14:15], v[2:3], v[10:11]
	v_mul_f64_e32 v[0:1], v[2:3], v[0:1]
	;; [unrolled: 1-line block ×3, first 2 shown]
                                        ; implicit-def: $vgpr6
                                        ; implicit-def: $vgpr10_vgpr11
                                        ; implicit-def: $vgpr8_vgpr9
	s_delay_alu instid0(VALU_DEP_4) | instskip(SKIP_1) | instid1(VALU_DEP_1)
	v_ashrrev_i32_e32 v5, 31, v4
	s_wait_kmcnt 0x0
	v_lshl_add_u64 v[4:5], v[4:5], 3, s[0:1]
	s_clause 0x1
	global_store_b128 v[4:5], v[12:15], off
	global_store_b128 v[4:5], v[0:3], off offset:16
                                        ; implicit-def: $vgpr2_vgpr3
                                        ; implicit-def: $vgpr12_vgpr13
                                        ; implicit-def: $vgpr4_vgpr5
                                        ; implicit-def: $vgpr0_vgpr1
.LBB51_21:
	s_wait_xcnt 0x0
	s_and_not1_saveexec_b32 s2, s2
	s_cbranch_execz .LBB51_23
; %bb.22:
	v_dual_mul_f64 v[22:23], v[2:3], v[12:13] :: v_dual_lshlrev_b32 v6, 2, v6
	v_mul_f64_e32 v[24:25], v[2:3], v[10:11]
	v_mul_f64_e32 v[0:1], v[2:3], v[0:1]
	s_delay_alu instid0(VALU_DEP_3) | instskip(SKIP_1) | instid1(VALU_DEP_1)
	v_dual_mul_f64 v[2:3], v[2:3], v[8:9] :: v_dual_ashrrev_i32 v7, 31, v6
	s_wait_kmcnt 0x0
	v_lshl_add_u64 v[6:7], v[6:7], 3, s[0:1]
	s_clause 0x1
	global_load_b128 v[14:17], v[6:7], off
	global_load_b128 v[18:21], v[6:7], off offset:16
	s_wait_loadcnt 0x1
	v_fmac_f64_e32 v[22:23], v[4:5], v[14:15]
	v_fmac_f64_e32 v[24:25], v[4:5], v[16:17]
	s_wait_loadcnt 0x0
	v_fmac_f64_e32 v[0:1], v[4:5], v[18:19]
	v_fmac_f64_e32 v[2:3], v[4:5], v[20:21]
	s_clause 0x1
	global_store_b128 v[6:7], v[22:25], off
	global_store_b128 v[6:7], v[0:3], off offset:16
.LBB51_23:
	s_endpgm
	.section	.rodata,"a",@progbits
	.p2align	6, 0x0
	.amdhsa_kernel _ZN9rocsparseL19gebsrmvn_4xn_kernelILj128ELj3ELj64EdEEvi20rocsparse_direction_NS_24const_host_device_scalarIT2_EEPKiS6_PKS3_S8_S4_PS3_21rocsparse_index_base_b
		.amdhsa_group_segment_fixed_size 0
		.amdhsa_private_segment_fixed_size 0
		.amdhsa_kernarg_size 72
		.amdhsa_user_sgpr_count 2
		.amdhsa_user_sgpr_dispatch_ptr 0
		.amdhsa_user_sgpr_queue_ptr 0
		.amdhsa_user_sgpr_kernarg_segment_ptr 1
		.amdhsa_user_sgpr_dispatch_id 0
		.amdhsa_user_sgpr_kernarg_preload_length 0
		.amdhsa_user_sgpr_kernarg_preload_offset 0
		.amdhsa_user_sgpr_private_segment_size 0
		.amdhsa_wavefront_size32 1
		.amdhsa_uses_dynamic_stack 0
		.amdhsa_enable_private_segment 0
		.amdhsa_system_sgpr_workgroup_id_x 1
		.amdhsa_system_sgpr_workgroup_id_y 0
		.amdhsa_system_sgpr_workgroup_id_z 0
		.amdhsa_system_sgpr_workgroup_info 0
		.amdhsa_system_vgpr_workitem_id 0
		.amdhsa_next_free_vgpr 52
		.amdhsa_next_free_sgpr 14
		.amdhsa_named_barrier_count 0
		.amdhsa_reserve_vcc 1
		.amdhsa_float_round_mode_32 0
		.amdhsa_float_round_mode_16_64 0
		.amdhsa_float_denorm_mode_32 3
		.amdhsa_float_denorm_mode_16_64 3
		.amdhsa_fp16_overflow 0
		.amdhsa_memory_ordered 1
		.amdhsa_forward_progress 1
		.amdhsa_inst_pref_size 17
		.amdhsa_round_robin_scheduling 0
		.amdhsa_exception_fp_ieee_invalid_op 0
		.amdhsa_exception_fp_denorm_src 0
		.amdhsa_exception_fp_ieee_div_zero 0
		.amdhsa_exception_fp_ieee_overflow 0
		.amdhsa_exception_fp_ieee_underflow 0
		.amdhsa_exception_fp_ieee_inexact 0
		.amdhsa_exception_int_div_zero 0
	.end_amdhsa_kernel
	.section	.text._ZN9rocsparseL19gebsrmvn_4xn_kernelILj128ELj3ELj64EdEEvi20rocsparse_direction_NS_24const_host_device_scalarIT2_EEPKiS6_PKS3_S8_S4_PS3_21rocsparse_index_base_b,"axG",@progbits,_ZN9rocsparseL19gebsrmvn_4xn_kernelILj128ELj3ELj64EdEEvi20rocsparse_direction_NS_24const_host_device_scalarIT2_EEPKiS6_PKS3_S8_S4_PS3_21rocsparse_index_base_b,comdat
.Lfunc_end51:
	.size	_ZN9rocsparseL19gebsrmvn_4xn_kernelILj128ELj3ELj64EdEEvi20rocsparse_direction_NS_24const_host_device_scalarIT2_EEPKiS6_PKS3_S8_S4_PS3_21rocsparse_index_base_b, .Lfunc_end51-_ZN9rocsparseL19gebsrmvn_4xn_kernelILj128ELj3ELj64EdEEvi20rocsparse_direction_NS_24const_host_device_scalarIT2_EEPKiS6_PKS3_S8_S4_PS3_21rocsparse_index_base_b
                                        ; -- End function
	.set _ZN9rocsparseL19gebsrmvn_4xn_kernelILj128ELj3ELj64EdEEvi20rocsparse_direction_NS_24const_host_device_scalarIT2_EEPKiS6_PKS3_S8_S4_PS3_21rocsparse_index_base_b.num_vgpr, 52
	.set _ZN9rocsparseL19gebsrmvn_4xn_kernelILj128ELj3ELj64EdEEvi20rocsparse_direction_NS_24const_host_device_scalarIT2_EEPKiS6_PKS3_S8_S4_PS3_21rocsparse_index_base_b.num_agpr, 0
	.set _ZN9rocsparseL19gebsrmvn_4xn_kernelILj128ELj3ELj64EdEEvi20rocsparse_direction_NS_24const_host_device_scalarIT2_EEPKiS6_PKS3_S8_S4_PS3_21rocsparse_index_base_b.numbered_sgpr, 14
	.set _ZN9rocsparseL19gebsrmvn_4xn_kernelILj128ELj3ELj64EdEEvi20rocsparse_direction_NS_24const_host_device_scalarIT2_EEPKiS6_PKS3_S8_S4_PS3_21rocsparse_index_base_b.num_named_barrier, 0
	.set _ZN9rocsparseL19gebsrmvn_4xn_kernelILj128ELj3ELj64EdEEvi20rocsparse_direction_NS_24const_host_device_scalarIT2_EEPKiS6_PKS3_S8_S4_PS3_21rocsparse_index_base_b.private_seg_size, 0
	.set _ZN9rocsparseL19gebsrmvn_4xn_kernelILj128ELj3ELj64EdEEvi20rocsparse_direction_NS_24const_host_device_scalarIT2_EEPKiS6_PKS3_S8_S4_PS3_21rocsparse_index_base_b.uses_vcc, 1
	.set _ZN9rocsparseL19gebsrmvn_4xn_kernelILj128ELj3ELj64EdEEvi20rocsparse_direction_NS_24const_host_device_scalarIT2_EEPKiS6_PKS3_S8_S4_PS3_21rocsparse_index_base_b.uses_flat_scratch, 0
	.set _ZN9rocsparseL19gebsrmvn_4xn_kernelILj128ELj3ELj64EdEEvi20rocsparse_direction_NS_24const_host_device_scalarIT2_EEPKiS6_PKS3_S8_S4_PS3_21rocsparse_index_base_b.has_dyn_sized_stack, 0
	.set _ZN9rocsparseL19gebsrmvn_4xn_kernelILj128ELj3ELj64EdEEvi20rocsparse_direction_NS_24const_host_device_scalarIT2_EEPKiS6_PKS3_S8_S4_PS3_21rocsparse_index_base_b.has_recursion, 0
	.set _ZN9rocsparseL19gebsrmvn_4xn_kernelILj128ELj3ELj64EdEEvi20rocsparse_direction_NS_24const_host_device_scalarIT2_EEPKiS6_PKS3_S8_S4_PS3_21rocsparse_index_base_b.has_indirect_call, 0
	.section	.AMDGPU.csdata,"",@progbits
; Kernel info:
; codeLenInByte = 2140
; TotalNumSgprs: 16
; NumVgprs: 52
; ScratchSize: 0
; MemoryBound: 0
; FloatMode: 240
; IeeeMode: 1
; LDSByteSize: 0 bytes/workgroup (compile time only)
; SGPRBlocks: 0
; VGPRBlocks: 3
; NumSGPRsForWavesPerEU: 16
; NumVGPRsForWavesPerEU: 52
; NamedBarCnt: 0
; Occupancy: 16
; WaveLimiterHint : 1
; COMPUTE_PGM_RSRC2:SCRATCH_EN: 0
; COMPUTE_PGM_RSRC2:USER_SGPR: 2
; COMPUTE_PGM_RSRC2:TRAP_HANDLER: 0
; COMPUTE_PGM_RSRC2:TGID_X_EN: 1
; COMPUTE_PGM_RSRC2:TGID_Y_EN: 0
; COMPUTE_PGM_RSRC2:TGID_Z_EN: 0
; COMPUTE_PGM_RSRC2:TIDIG_COMP_CNT: 0
	.section	.text._ZN9rocsparseL19gebsrmvn_4xn_kernelILj128ELj5ELj4EdEEvi20rocsparse_direction_NS_24const_host_device_scalarIT2_EEPKiS6_PKS3_S8_S4_PS3_21rocsparse_index_base_b,"axG",@progbits,_ZN9rocsparseL19gebsrmvn_4xn_kernelILj128ELj5ELj4EdEEvi20rocsparse_direction_NS_24const_host_device_scalarIT2_EEPKiS6_PKS3_S8_S4_PS3_21rocsparse_index_base_b,comdat
	.globl	_ZN9rocsparseL19gebsrmvn_4xn_kernelILj128ELj5ELj4EdEEvi20rocsparse_direction_NS_24const_host_device_scalarIT2_EEPKiS6_PKS3_S8_S4_PS3_21rocsparse_index_base_b ; -- Begin function _ZN9rocsparseL19gebsrmvn_4xn_kernelILj128ELj5ELj4EdEEvi20rocsparse_direction_NS_24const_host_device_scalarIT2_EEPKiS6_PKS3_S8_S4_PS3_21rocsparse_index_base_b
	.p2align	8
	.type	_ZN9rocsparseL19gebsrmvn_4xn_kernelILj128ELj5ELj4EdEEvi20rocsparse_direction_NS_24const_host_device_scalarIT2_EEPKiS6_PKS3_S8_S4_PS3_21rocsparse_index_base_b,@function
_ZN9rocsparseL19gebsrmvn_4xn_kernelILj128ELj5ELj4EdEEvi20rocsparse_direction_NS_24const_host_device_scalarIT2_EEPKiS6_PKS3_S8_S4_PS3_21rocsparse_index_base_b: ; @_ZN9rocsparseL19gebsrmvn_4xn_kernelILj128ELj5ELj4EdEEvi20rocsparse_direction_NS_24const_host_device_scalarIT2_EEPKiS6_PKS3_S8_S4_PS3_21rocsparse_index_base_b
; %bb.0:
	s_clause 0x2
	s_load_b64 s[12:13], s[0:1], 0x40
	s_load_b64 s[4:5], s[0:1], 0x8
	;; [unrolled: 1-line block ×3, first 2 shown]
	s_wait_kmcnt 0x0
	s_bitcmp1_b32 s13, 0
	v_mov_b64_e32 v[2:3], s[4:5]
	s_cselect_b32 s6, -1, 0
	s_delay_alu instid0(SALU_CYCLE_1)
	s_and_b32 vcc_lo, exec_lo, s6
	s_xor_b32 s6, s6, -1
	s_cbranch_vccnz .LBB52_2
; %bb.1:
	v_mov_b32_e32 v1, 0
	flat_load_b64 v[2:3], v1, s[4:5]
.LBB52_2:
	v_mov_b64_e32 v[4:5], s[2:3]
	s_and_not1_b32 vcc_lo, exec_lo, s6
	s_cbranch_vccnz .LBB52_4
; %bb.3:
	s_wait_xcnt 0x0
	v_mov_b32_e32 v1, 0
	flat_load_b64 v[4:5], v1, s[2:3]
.LBB52_4:
	s_wait_loadcnt_dscnt 0x0
	v_cmp_neq_f64_e32 vcc_lo, 0, v[2:3]
	s_delay_alu instid0(VALU_DEP_2) | instskip(SKIP_1) | instid1(SALU_CYCLE_1)
	v_cmp_neq_f64_e64 s2, 1.0, v[4:5]
	s_or_b32 s2, vcc_lo, s2
	s_and_saveexec_b32 s3, s2
	s_cbranch_execz .LBB52_23
; %bb.5:
	s_load_b64 s[2:3], s[0:1], 0x0
	s_bfe_u32 s4, ttmp6, 0x4000c
	s_and_b32 s5, ttmp6, 15
	s_add_co_i32 s4, s4, 1
	s_getreg_b32 s6, hwreg(HW_REG_IB_STS2, 6, 4)
	s_mul_i32 s4, ttmp9, s4
	v_lshrrev_b32_e32 v1, 2, v0
	s_add_co_i32 s5, s5, s4
	s_cmp_eq_u32 s6, 0
	s_cselect_b32 s4, ttmp9, s5
	s_delay_alu instid0(VALU_DEP_1) | instid1(SALU_CYCLE_1)
	v_lshl_or_b32 v6, s4, 5, v1
	s_wait_kmcnt 0x0
	s_delay_alu instid0(VALU_DEP_1)
	v_cmp_gt_i32_e32 vcc_lo, s2, v6
	s_and_b32 exec_lo, exec_lo, vcc_lo
	s_cbranch_execz .LBB52_23
; %bb.6:
	s_load_b256 s[4:11], s[0:1], 0x10
	v_ashrrev_i32_e32 v7, 31, v6
	s_cmp_lg_u32 s3, 0
	s_wait_kmcnt 0x0
	s_delay_alu instid0(VALU_DEP_1)
	v_lshl_add_u64 v[8:9], v[6:7], 2, s[4:5]
	v_and_b32_e32 v7, 3, v0
	global_load_b64 v[8:9], v[8:9], off
	s_wait_loadcnt 0x0
	v_subrev_nc_u32_e32 v0, s12, v8
	v_subrev_nc_u32_e32 v18, s12, v9
	s_delay_alu instid0(VALU_DEP_2) | instskip(NEXT) | instid1(VALU_DEP_1)
	v_add_nc_u32_e32 v19, v0, v7
	v_cmp_lt_i32_e64 s2, v19, v18
	s_cbranch_scc0 .LBB52_12
; %bb.7:
	v_mov_b64_e32 v[0:1], 0
	v_mov_b64_e32 v[8:9], 0
	;; [unrolled: 1-line block ×4, first 2 shown]
	s_and_saveexec_b32 s3, s2
	s_cbranch_execz .LBB52_11
; %bb.8:
	v_mad_u32 v14, v19, 20, 16
	v_mov_b64_e32 v[0:1], 0
	v_mov_b64_e32 v[8:9], 0
	;; [unrolled: 1-line block ×4, first 2 shown]
	v_dual_mov_b32 v17, 0 :: v_dual_mov_b32 v20, v19
	s_mov_b32 s4, 0
.LBB52_9:                               ; =>This Inner Loop Header: Depth=1
	global_load_b32 v15, v20, s[6:7] scale_offset
	s_wait_xcnt 0x0
	v_add_nc_u32_e32 v20, 4, v20
	s_delay_alu instid0(VALU_DEP_1) | instskip(SKIP_3) | instid1(VALU_DEP_1)
	v_cmp_ge_i32_e32 vcc_lo, v20, v18
	s_or_b32 s4, vcc_lo, s4
	s_wait_loadcnt 0x0
	v_subrev_nc_u32_e32 v15, s12, v15
	v_lshl_add_u32 v21, v15, 2, v15
	s_delay_alu instid0(VALU_DEP_1) | instskip(NEXT) | instid1(VALU_DEP_1)
	v_dual_add_nc_u32 v16, -16, v14 :: v_dual_add_nc_u32 v15, 1, v21
	v_lshl_add_u64 v[30:31], v[16:17], 3, s[8:9]
	v_add_nc_u32_e32 v16, -12, v14
	s_clause 0x1
	global_load_b128 v[22:25], v[30:31], off offset:16
	global_load_b128 v[26:29], v[30:31], off
	global_load_b64 v[62:63], v21, s[10:11] scale_offset
	v_lshl_add_u64 v[38:39], v[16:17], 3, s[8:9]
	v_add_nc_u32_e32 v16, -8, v14
	s_clause 0x1
	global_load_b128 v[30:33], v[38:39], off offset:16
	global_load_b128 v[34:37], v[38:39], off
	global_load_b64 v[64:65], v15, s[10:11] scale_offset
	v_lshl_add_u64 v[46:47], v[16:17], 3, s[8:9]
	s_wait_xcnt 0x0
	v_dual_add_nc_u32 v15, 2, v21 :: v_dual_add_nc_u32 v16, -4, v14
	s_clause 0x1
	global_load_b128 v[38:41], v[46:47], off offset:16
	global_load_b128 v[42:45], v[46:47], off
	global_load_b64 v[66:67], v15, s[10:11] scale_offset
	v_lshl_add_u64 v[54:55], v[16:17], 3, s[8:9]
	s_wait_xcnt 0x0
	v_add_nc_u32_e32 v15, 3, v21
	s_clause 0x1
	global_load_b128 v[46:49], v[54:55], off offset:16
	global_load_b128 v[50:53], v[54:55], off
	global_load_b64 v[68:69], v15, s[10:11] scale_offset
	s_wait_xcnt 0x0
	v_mov_b32_e32 v15, v17
	s_delay_alu instid0(VALU_DEP_1)
	v_lshl_add_u64 v[70:71], v[14:15], 3, s[8:9]
	v_add_nc_u32_e32 v15, 4, v21
	v_add_nc_u32_e32 v14, 0x50, v14
	s_clause 0x1
	global_load_b128 v[54:57], v[70:71], off offset:16
	global_load_b128 v[58:61], v[70:71], off
	global_load_b64 v[72:73], v15, s[10:11] scale_offset
	s_wait_loadcnt 0xc
	v_fmac_f64_e32 v[0:1], v[26:27], v[62:63]
	v_fmac_f64_e32 v[12:13], v[28:29], v[62:63]
	;; [unrolled: 1-line block ×4, first 2 shown]
	s_wait_loadcnt 0x9
	s_delay_alu instid0(VALU_DEP_4) | instskip(NEXT) | instid1(VALU_DEP_4)
	v_fmac_f64_e32 v[0:1], v[34:35], v[64:65]
	v_fmac_f64_e32 v[12:13], v[36:37], v[64:65]
	s_delay_alu instid0(VALU_DEP_4) | instskip(NEXT) | instid1(VALU_DEP_4)
	v_fmac_f64_e32 v[10:11], v[30:31], v[64:65]
	v_fmac_f64_e32 v[8:9], v[32:33], v[64:65]
	s_wait_loadcnt 0x6
	s_delay_alu instid0(VALU_DEP_4) | instskip(NEXT) | instid1(VALU_DEP_4)
	v_fmac_f64_e32 v[0:1], v[42:43], v[66:67]
	v_fmac_f64_e32 v[12:13], v[44:45], v[66:67]
	s_delay_alu instid0(VALU_DEP_4) | instskip(NEXT) | instid1(VALU_DEP_4)
	v_fmac_f64_e32 v[10:11], v[38:39], v[66:67]
	v_fmac_f64_e32 v[8:9], v[40:41], v[66:67]
	;; [unrolled: 7-line block ×4, first 2 shown]
	s_and_not1_b32 exec_lo, exec_lo, s4
	s_cbranch_execnz .LBB52_9
; %bb.10:
	s_or_b32 exec_lo, exec_lo, s4
.LBB52_11:
	s_delay_alu instid0(SALU_CYCLE_1)
	s_or_b32 exec_lo, exec_lo, s3
	s_cbranch_execz .LBB52_13
	s_branch .LBB52_18
.LBB52_12:
                                        ; implicit-def: $vgpr0_vgpr1
                                        ; implicit-def: $vgpr8_vgpr9
                                        ; implicit-def: $vgpr10_vgpr11
                                        ; implicit-def: $vgpr12_vgpr13
.LBB52_13:
	v_mov_b64_e32 v[0:1], 0
	v_mov_b64_e32 v[8:9], 0
	;; [unrolled: 1-line block ×4, first 2 shown]
	s_and_saveexec_b32 s3, s2
	s_cbranch_execz .LBB52_17
; %bb.14:
	v_mad_u32 v16, v19, 20, 19
	v_mov_b64_e32 v[0:1], 0
	v_mov_b64_e32 v[8:9], 0
	;; [unrolled: 1-line block ×4, first 2 shown]
	v_mov_b32_e32 v15, 0
	s_mov_b32 s2, 0
.LBB52_15:                              ; =>This Inner Loop Header: Depth=1
	global_load_b32 v17, v19, s[6:7] scale_offset
	v_subrev_nc_u32_e32 v14, 19, v16
	v_dual_add_nc_u32 v24, -14, v16 :: v_dual_add_nc_u32 v25, -9, v16
	v_dual_add_nc_u32 v26, -4, v16 :: v_dual_add_nc_u32 v56, -6, v16
	s_delay_alu instid0(VALU_DEP_3) | instskip(SKIP_3) | instid1(VALU_DEP_1)
	v_lshl_add_u64 v[28:29], v[14:15], 3, s[8:9]
	v_dual_add_nc_u32 v60, -1, v16 :: v_dual_add_nc_u32 v66, -10, v16
	s_wait_xcnt 0x0
	v_dual_add_nc_u32 v19, 4, v19 :: v_dual_add_nc_u32 v67, -5, v16
	v_cmp_ge_i32_e32 vcc_lo, v19, v18
	s_or_b32 s2, vcc_lo, s2
	s_wait_loadcnt 0x0
	v_subrev_nc_u32_e32 v14, s12, v17
	v_add_nc_u32_e32 v17, -13, v16
	s_clause 0x3
	global_load_b64 v[30:31], v24, s[8:9] scale_offset
	global_load_b64 v[32:33], v25, s[8:9] scale_offset
	;; [unrolled: 1-line block ×3, first 2 shown]
	global_load_b128 v[20:23], v[28:29], off
	s_wait_xcnt 0x2
	v_dual_add_nc_u32 v24, -8, v16 :: v_dual_add_nc_u32 v25, -3, v16
	v_lshl_add_u32 v14, v14, 2, v14
	global_load_b64 v[36:37], v14, s[10:11] scale_offset
	s_clause 0x1
	global_load_b64 v[38:39], v17, s[8:9] scale_offset
	global_load_b64 v[40:41], v24, s[8:9] scale_offset
	s_wait_xcnt 0x0
	v_dual_add_nc_u32 v17, 1, v14 :: v_dual_add_nc_u32 v24, -7, v16
	global_load_b64 v[42:43], v25, s[8:9] scale_offset
	global_load_b64 v[44:45], v17, s[10:11] scale_offset
	s_wait_xcnt 0x0
	v_dual_add_nc_u32 v17, -12, v16 :: v_dual_add_nc_u32 v25, -2, v16
	s_clause 0x2
	global_load_b64 v[46:47], v17, s[8:9] scale_offset
	global_load_b64 v[48:49], v24, s[8:9] scale_offset
	;; [unrolled: 1-line block ×3, first 2 shown]
	s_wait_xcnt 0x2
	v_add_nc_u32_e32 v17, 2, v14
	global_load_b128 v[24:27], v[28:29], off offset:16
	global_load_b64 v[52:53], v17, s[10:11] scale_offset
	s_wait_xcnt 0x0
	v_add_nc_u32_e32 v17, -11, v16
	s_clause 0x1
	global_load_b64 v[28:29], v17, s[8:9] scale_offset
	global_load_b64 v[54:55], v56, s[8:9] scale_offset
	s_wait_xcnt 0x1
	v_add_nc_u32_e32 v17, 3, v14
	global_load_b64 v[56:57], v60, s[8:9] scale_offset
	global_load_b64 v[58:59], v17, s[10:11] scale_offset
	s_wait_xcnt 0x0
	v_dual_add_nc_u32 v14, 4, v14 :: v_dual_add_nc_u32 v17, -15, v16
	s_clause 0x1
	global_load_b64 v[60:61], v16, s[8:9] scale_offset
	global_load_b64 v[62:63], v17, s[8:9] scale_offset
	s_wait_xcnt 0x1
	v_add_nc_u32_e32 v16, 0x50, v16
	s_wait_loadcnt 0xf
	v_fmac_f64_e32 v[12:13], v[30:31], v[36:37]
	s_clause 0x1
	global_load_b64 v[30:31], v66, s[8:9] scale_offset
	global_load_b64 v[64:65], v67, s[8:9] scale_offset
	v_fmac_f64_e32 v[10:11], v[32:33], v[36:37]
	global_load_b64 v[32:33], v14, s[10:11] scale_offset
	v_fmac_f64_e32 v[0:1], v[20:21], v[36:37]
	v_fmac_f64_e32 v[8:9], v[34:35], v[36:37]
	s_wait_loadcnt 0xe
	v_fmac_f64_e32 v[12:13], v[38:39], v[44:45]
	v_fmac_f64_e32 v[10:11], v[40:41], v[44:45]
	s_delay_alu instid0(VALU_DEP_4) | instskip(NEXT) | instid1(VALU_DEP_4)
	v_fmac_f64_e32 v[0:1], v[22:23], v[44:45]
	v_fmac_f64_e32 v[8:9], v[42:43], v[44:45]
	s_wait_loadcnt 0x9
	s_delay_alu instid0(VALU_DEP_4) | instskip(NEXT) | instid1(VALU_DEP_4)
	v_fmac_f64_e32 v[12:13], v[46:47], v[52:53]
	v_fmac_f64_e32 v[10:11], v[48:49], v[52:53]
	s_delay_alu instid0(VALU_DEP_4) | instskip(NEXT) | instid1(VALU_DEP_4)
	v_fmac_f64_e32 v[0:1], v[24:25], v[52:53]
	v_fmac_f64_e32 v[8:9], v[50:51], v[52:53]
	s_wait_loadcnt 0x5
	s_delay_alu instid0(VALU_DEP_4) | instskip(NEXT) | instid1(VALU_DEP_4)
	v_fmac_f64_e32 v[12:13], v[28:29], v[58:59]
	v_fmac_f64_e32 v[10:11], v[54:55], v[58:59]
	s_delay_alu instid0(VALU_DEP_4) | instskip(NEXT) | instid1(VALU_DEP_4)
	v_fmac_f64_e32 v[0:1], v[26:27], v[58:59]
	v_fmac_f64_e32 v[8:9], v[56:57], v[58:59]
	s_wait_loadcnt 0x0
	s_delay_alu instid0(VALU_DEP_2) | instskip(SKIP_2) | instid1(VALU_DEP_4)
	v_fmac_f64_e32 v[0:1], v[62:63], v[32:33]
	v_fmac_f64_e32 v[12:13], v[30:31], v[32:33]
	;; [unrolled: 1-line block ×4, first 2 shown]
	s_and_not1_b32 exec_lo, exec_lo, s2
	s_cbranch_execnz .LBB52_15
; %bb.16:
	s_or_b32 exec_lo, exec_lo, s2
.LBB52_17:
	s_delay_alu instid0(SALU_CYCLE_1)
	s_or_b32 exec_lo, exec_lo, s3
.LBB52_18:
	v_mbcnt_lo_u32_b32 v24, -1, 0
	s_delay_alu instid0(VALU_DEP_1) | instskip(NEXT) | instid1(VALU_DEP_1)
	v_xor_b32_e32 v14, 2, v24
	v_cmp_gt_i32_e32 vcc_lo, 32, v14
	v_cndmask_b32_e32 v14, v24, v14, vcc_lo
	s_delay_alu instid0(VALU_DEP_1)
	v_lshlrev_b32_e32 v16, 2, v14
	ds_bpermute_b32 v14, v16, v0
	ds_bpermute_b32 v15, v16, v1
	;; [unrolled: 1-line block ×8, first 2 shown]
	s_wait_dscnt 0x6
	v_add_f64_e32 v[16:17], v[0:1], v[14:15]
	s_wait_dscnt 0x4
	v_add_f64_e32 v[14:15], v[12:13], v[18:19]
	;; [unrolled: 2-line block ×3, first 2 shown]
	s_wait_dscnt 0x0
	v_dual_add_f64 v[8:9], v[8:9], v[22:23] :: v_dual_bitop2_b32 v10, 1, v24 bitop3:0x14
	s_delay_alu instid0(VALU_DEP_1) | instskip(SKIP_2) | instid1(VALU_DEP_2)
	v_cmp_gt_i32_e32 vcc_lo, 32, v10
	v_cndmask_b32_e32 v10, v24, v10, vcc_lo
	v_cmp_eq_u32_e32 vcc_lo, 3, v7
	v_lshlrev_b32_e32 v19, 2, v10
	ds_bpermute_b32 v12, v19, v16
	ds_bpermute_b32 v13, v19, v17
	;; [unrolled: 1-line block ×8, first 2 shown]
	s_and_b32 exec_lo, exec_lo, vcc_lo
	s_cbranch_execz .LBB52_23
; %bb.19:
	s_wait_dscnt 0x6
	v_add_f64_e32 v[12:13], v[16:17], v[12:13]
	s_wait_dscnt 0x4
	v_add_f64_e32 v[10:11], v[14:15], v[10:11]
	;; [unrolled: 2-line block ×4, first 2 shown]
	s_load_b64 s[0:1], s[0:1], 0x38
	s_mov_b32 s2, exec_lo
	v_cmpx_eq_f64_e32 0, v[4:5]
	s_xor_b32 s2, exec_lo, s2
	s_cbranch_execz .LBB52_21
; %bb.20:
	v_dual_mul_f64 v[12:13], v[2:3], v[12:13] :: v_dual_lshlrev_b32 v4, 2, v6
	v_mul_f64_e32 v[14:15], v[2:3], v[10:11]
	v_mul_f64_e32 v[0:1], v[2:3], v[0:1]
	;; [unrolled: 1-line block ×3, first 2 shown]
                                        ; implicit-def: $vgpr6
                                        ; implicit-def: $vgpr10_vgpr11
                                        ; implicit-def: $vgpr8_vgpr9
	s_delay_alu instid0(VALU_DEP_4) | instskip(SKIP_1) | instid1(VALU_DEP_1)
	v_ashrrev_i32_e32 v5, 31, v4
	s_wait_kmcnt 0x0
	v_lshl_add_u64 v[4:5], v[4:5], 3, s[0:1]
	s_clause 0x1
	global_store_b128 v[4:5], v[12:15], off
	global_store_b128 v[4:5], v[0:3], off offset:16
                                        ; implicit-def: $vgpr2_vgpr3
                                        ; implicit-def: $vgpr12_vgpr13
                                        ; implicit-def: $vgpr4_vgpr5
                                        ; implicit-def: $vgpr0_vgpr1
.LBB52_21:
	s_wait_xcnt 0x0
	s_and_not1_saveexec_b32 s2, s2
	s_cbranch_execz .LBB52_23
; %bb.22:
	v_dual_mul_f64 v[22:23], v[2:3], v[12:13] :: v_dual_lshlrev_b32 v6, 2, v6
	v_mul_f64_e32 v[24:25], v[2:3], v[10:11]
	v_mul_f64_e32 v[0:1], v[2:3], v[0:1]
	s_delay_alu instid0(VALU_DEP_3) | instskip(SKIP_1) | instid1(VALU_DEP_1)
	v_dual_mul_f64 v[2:3], v[2:3], v[8:9] :: v_dual_ashrrev_i32 v7, 31, v6
	s_wait_kmcnt 0x0
	v_lshl_add_u64 v[6:7], v[6:7], 3, s[0:1]
	s_clause 0x1
	global_load_b128 v[14:17], v[6:7], off
	global_load_b128 v[18:21], v[6:7], off offset:16
	s_wait_loadcnt 0x1
	v_fmac_f64_e32 v[22:23], v[4:5], v[14:15]
	v_fmac_f64_e32 v[24:25], v[4:5], v[16:17]
	s_wait_loadcnt 0x0
	v_fmac_f64_e32 v[0:1], v[4:5], v[18:19]
	v_fmac_f64_e32 v[2:3], v[4:5], v[20:21]
	s_clause 0x1
	global_store_b128 v[6:7], v[22:25], off
	global_store_b128 v[6:7], v[0:3], off offset:16
.LBB52_23:
	s_sendmsg sendmsg(MSG_DEALLOC_VGPRS)
	s_endpgm
	.section	.rodata,"a",@progbits
	.p2align	6, 0x0
	.amdhsa_kernel _ZN9rocsparseL19gebsrmvn_4xn_kernelILj128ELj5ELj4EdEEvi20rocsparse_direction_NS_24const_host_device_scalarIT2_EEPKiS6_PKS3_S8_S4_PS3_21rocsparse_index_base_b
		.amdhsa_group_segment_fixed_size 0
		.amdhsa_private_segment_fixed_size 0
		.amdhsa_kernarg_size 72
		.amdhsa_user_sgpr_count 2
		.amdhsa_user_sgpr_dispatch_ptr 0
		.amdhsa_user_sgpr_queue_ptr 0
		.amdhsa_user_sgpr_kernarg_segment_ptr 1
		.amdhsa_user_sgpr_dispatch_id 0
		.amdhsa_user_sgpr_kernarg_preload_length 0
		.amdhsa_user_sgpr_kernarg_preload_offset 0
		.amdhsa_user_sgpr_private_segment_size 0
		.amdhsa_wavefront_size32 1
		.amdhsa_uses_dynamic_stack 0
		.amdhsa_enable_private_segment 0
		.amdhsa_system_sgpr_workgroup_id_x 1
		.amdhsa_system_sgpr_workgroup_id_y 0
		.amdhsa_system_sgpr_workgroup_id_z 0
		.amdhsa_system_sgpr_workgroup_info 0
		.amdhsa_system_vgpr_workitem_id 0
		.amdhsa_next_free_vgpr 74
		.amdhsa_next_free_sgpr 14
		.amdhsa_named_barrier_count 0
		.amdhsa_reserve_vcc 1
		.amdhsa_float_round_mode_32 0
		.amdhsa_float_round_mode_16_64 0
		.amdhsa_float_denorm_mode_32 3
		.amdhsa_float_denorm_mode_16_64 3
		.amdhsa_fp16_overflow 0
		.amdhsa_memory_ordered 1
		.amdhsa_forward_progress 1
		.amdhsa_inst_pref_size 17
		.amdhsa_round_robin_scheduling 0
		.amdhsa_exception_fp_ieee_invalid_op 0
		.amdhsa_exception_fp_denorm_src 0
		.amdhsa_exception_fp_ieee_div_zero 0
		.amdhsa_exception_fp_ieee_overflow 0
		.amdhsa_exception_fp_ieee_underflow 0
		.amdhsa_exception_fp_ieee_inexact 0
		.amdhsa_exception_int_div_zero 0
	.end_amdhsa_kernel
	.section	.text._ZN9rocsparseL19gebsrmvn_4xn_kernelILj128ELj5ELj4EdEEvi20rocsparse_direction_NS_24const_host_device_scalarIT2_EEPKiS6_PKS3_S8_S4_PS3_21rocsparse_index_base_b,"axG",@progbits,_ZN9rocsparseL19gebsrmvn_4xn_kernelILj128ELj5ELj4EdEEvi20rocsparse_direction_NS_24const_host_device_scalarIT2_EEPKiS6_PKS3_S8_S4_PS3_21rocsparse_index_base_b,comdat
.Lfunc_end52:
	.size	_ZN9rocsparseL19gebsrmvn_4xn_kernelILj128ELj5ELj4EdEEvi20rocsparse_direction_NS_24const_host_device_scalarIT2_EEPKiS6_PKS3_S8_S4_PS3_21rocsparse_index_base_b, .Lfunc_end52-_ZN9rocsparseL19gebsrmvn_4xn_kernelILj128ELj5ELj4EdEEvi20rocsparse_direction_NS_24const_host_device_scalarIT2_EEPKiS6_PKS3_S8_S4_PS3_21rocsparse_index_base_b
                                        ; -- End function
	.set _ZN9rocsparseL19gebsrmvn_4xn_kernelILj128ELj5ELj4EdEEvi20rocsparse_direction_NS_24const_host_device_scalarIT2_EEPKiS6_PKS3_S8_S4_PS3_21rocsparse_index_base_b.num_vgpr, 74
	.set _ZN9rocsparseL19gebsrmvn_4xn_kernelILj128ELj5ELj4EdEEvi20rocsparse_direction_NS_24const_host_device_scalarIT2_EEPKiS6_PKS3_S8_S4_PS3_21rocsparse_index_base_b.num_agpr, 0
	.set _ZN9rocsparseL19gebsrmvn_4xn_kernelILj128ELj5ELj4EdEEvi20rocsparse_direction_NS_24const_host_device_scalarIT2_EEPKiS6_PKS3_S8_S4_PS3_21rocsparse_index_base_b.numbered_sgpr, 14
	.set _ZN9rocsparseL19gebsrmvn_4xn_kernelILj128ELj5ELj4EdEEvi20rocsparse_direction_NS_24const_host_device_scalarIT2_EEPKiS6_PKS3_S8_S4_PS3_21rocsparse_index_base_b.num_named_barrier, 0
	.set _ZN9rocsparseL19gebsrmvn_4xn_kernelILj128ELj5ELj4EdEEvi20rocsparse_direction_NS_24const_host_device_scalarIT2_EEPKiS6_PKS3_S8_S4_PS3_21rocsparse_index_base_b.private_seg_size, 0
	.set _ZN9rocsparseL19gebsrmvn_4xn_kernelILj128ELj5ELj4EdEEvi20rocsparse_direction_NS_24const_host_device_scalarIT2_EEPKiS6_PKS3_S8_S4_PS3_21rocsparse_index_base_b.uses_vcc, 1
	.set _ZN9rocsparseL19gebsrmvn_4xn_kernelILj128ELj5ELj4EdEEvi20rocsparse_direction_NS_24const_host_device_scalarIT2_EEPKiS6_PKS3_S8_S4_PS3_21rocsparse_index_base_b.uses_flat_scratch, 0
	.set _ZN9rocsparseL19gebsrmvn_4xn_kernelILj128ELj5ELj4EdEEvi20rocsparse_direction_NS_24const_host_device_scalarIT2_EEPKiS6_PKS3_S8_S4_PS3_21rocsparse_index_base_b.has_dyn_sized_stack, 0
	.set _ZN9rocsparseL19gebsrmvn_4xn_kernelILj128ELj5ELj4EdEEvi20rocsparse_direction_NS_24const_host_device_scalarIT2_EEPKiS6_PKS3_S8_S4_PS3_21rocsparse_index_base_b.has_recursion, 0
	.set _ZN9rocsparseL19gebsrmvn_4xn_kernelILj128ELj5ELj4EdEEvi20rocsparse_direction_NS_24const_host_device_scalarIT2_EEPKiS6_PKS3_S8_S4_PS3_21rocsparse_index_base_b.has_indirect_call, 0
	.section	.AMDGPU.csdata,"",@progbits
; Kernel info:
; codeLenInByte = 2092
; TotalNumSgprs: 16
; NumVgprs: 74
; ScratchSize: 0
; MemoryBound: 1
; FloatMode: 240
; IeeeMode: 1
; LDSByteSize: 0 bytes/workgroup (compile time only)
; SGPRBlocks: 0
; VGPRBlocks: 4
; NumSGPRsForWavesPerEU: 16
; NumVGPRsForWavesPerEU: 74
; NamedBarCnt: 0
; Occupancy: 12
; WaveLimiterHint : 1
; COMPUTE_PGM_RSRC2:SCRATCH_EN: 0
; COMPUTE_PGM_RSRC2:USER_SGPR: 2
; COMPUTE_PGM_RSRC2:TRAP_HANDLER: 0
; COMPUTE_PGM_RSRC2:TGID_X_EN: 1
; COMPUTE_PGM_RSRC2:TGID_Y_EN: 0
; COMPUTE_PGM_RSRC2:TGID_Z_EN: 0
; COMPUTE_PGM_RSRC2:TIDIG_COMP_CNT: 0
	.section	.text._ZN9rocsparseL19gebsrmvn_4xn_kernelILj128ELj5ELj8EdEEvi20rocsparse_direction_NS_24const_host_device_scalarIT2_EEPKiS6_PKS3_S8_S4_PS3_21rocsparse_index_base_b,"axG",@progbits,_ZN9rocsparseL19gebsrmvn_4xn_kernelILj128ELj5ELj8EdEEvi20rocsparse_direction_NS_24const_host_device_scalarIT2_EEPKiS6_PKS3_S8_S4_PS3_21rocsparse_index_base_b,comdat
	.globl	_ZN9rocsparseL19gebsrmvn_4xn_kernelILj128ELj5ELj8EdEEvi20rocsparse_direction_NS_24const_host_device_scalarIT2_EEPKiS6_PKS3_S8_S4_PS3_21rocsparse_index_base_b ; -- Begin function _ZN9rocsparseL19gebsrmvn_4xn_kernelILj128ELj5ELj8EdEEvi20rocsparse_direction_NS_24const_host_device_scalarIT2_EEPKiS6_PKS3_S8_S4_PS3_21rocsparse_index_base_b
	.p2align	8
	.type	_ZN9rocsparseL19gebsrmvn_4xn_kernelILj128ELj5ELj8EdEEvi20rocsparse_direction_NS_24const_host_device_scalarIT2_EEPKiS6_PKS3_S8_S4_PS3_21rocsparse_index_base_b,@function
_ZN9rocsparseL19gebsrmvn_4xn_kernelILj128ELj5ELj8EdEEvi20rocsparse_direction_NS_24const_host_device_scalarIT2_EEPKiS6_PKS3_S8_S4_PS3_21rocsparse_index_base_b: ; @_ZN9rocsparseL19gebsrmvn_4xn_kernelILj128ELj5ELj8EdEEvi20rocsparse_direction_NS_24const_host_device_scalarIT2_EEPKiS6_PKS3_S8_S4_PS3_21rocsparse_index_base_b
; %bb.0:
	s_clause 0x2
	s_load_b64 s[12:13], s[0:1], 0x40
	s_load_b64 s[4:5], s[0:1], 0x8
	s_load_b64 s[2:3], s[0:1], 0x30
	s_wait_kmcnt 0x0
	s_bitcmp1_b32 s13, 0
	v_mov_b64_e32 v[2:3], s[4:5]
	s_cselect_b32 s6, -1, 0
	s_delay_alu instid0(SALU_CYCLE_1)
	s_and_b32 vcc_lo, exec_lo, s6
	s_xor_b32 s6, s6, -1
	s_cbranch_vccnz .LBB53_2
; %bb.1:
	v_mov_b32_e32 v1, 0
	flat_load_b64 v[2:3], v1, s[4:5]
.LBB53_2:
	v_mov_b64_e32 v[4:5], s[2:3]
	s_and_not1_b32 vcc_lo, exec_lo, s6
	s_cbranch_vccnz .LBB53_4
; %bb.3:
	s_wait_xcnt 0x0
	v_mov_b32_e32 v1, 0
	flat_load_b64 v[4:5], v1, s[2:3]
.LBB53_4:
	s_wait_loadcnt_dscnt 0x0
	v_cmp_neq_f64_e32 vcc_lo, 0, v[2:3]
	s_delay_alu instid0(VALU_DEP_2) | instskip(SKIP_1) | instid1(SALU_CYCLE_1)
	v_cmp_neq_f64_e64 s2, 1.0, v[4:5]
	s_or_b32 s2, vcc_lo, s2
	s_and_saveexec_b32 s3, s2
	s_cbranch_execz .LBB53_23
; %bb.5:
	s_load_b64 s[2:3], s[0:1], 0x0
	s_bfe_u32 s4, ttmp6, 0x4000c
	s_and_b32 s5, ttmp6, 15
	s_add_co_i32 s4, s4, 1
	s_getreg_b32 s6, hwreg(HW_REG_IB_STS2, 6, 4)
	s_mul_i32 s4, ttmp9, s4
	v_lshrrev_b32_e32 v1, 3, v0
	s_add_co_i32 s5, s5, s4
	s_cmp_eq_u32 s6, 0
	s_cselect_b32 s4, ttmp9, s5
	s_delay_alu instid0(VALU_DEP_1) | instid1(SALU_CYCLE_1)
	v_lshl_or_b32 v6, s4, 4, v1
	s_wait_kmcnt 0x0
	s_delay_alu instid0(VALU_DEP_1)
	v_cmp_gt_i32_e32 vcc_lo, s2, v6
	s_and_b32 exec_lo, exec_lo, vcc_lo
	s_cbranch_execz .LBB53_23
; %bb.6:
	s_load_b256 s[4:11], s[0:1], 0x10
	v_ashrrev_i32_e32 v7, 31, v6
	s_cmp_lg_u32 s3, 0
	s_wait_kmcnt 0x0
	s_delay_alu instid0(VALU_DEP_1)
	v_lshl_add_u64 v[8:9], v[6:7], 2, s[4:5]
	v_and_b32_e32 v7, 7, v0
	global_load_b64 v[8:9], v[8:9], off
	s_wait_loadcnt 0x0
	v_subrev_nc_u32_e32 v0, s12, v8
	v_subrev_nc_u32_e32 v18, s12, v9
	s_delay_alu instid0(VALU_DEP_2) | instskip(NEXT) | instid1(VALU_DEP_1)
	v_add_nc_u32_e32 v19, v0, v7
	v_cmp_lt_i32_e64 s2, v19, v18
	s_cbranch_scc0 .LBB53_12
; %bb.7:
	v_mov_b64_e32 v[0:1], 0
	v_mov_b64_e32 v[8:9], 0
	;; [unrolled: 1-line block ×4, first 2 shown]
	s_and_saveexec_b32 s3, s2
	s_cbranch_execz .LBB53_11
; %bb.8:
	v_mad_u32 v14, v19, 20, 16
	v_mov_b64_e32 v[0:1], 0
	v_mov_b64_e32 v[8:9], 0
	;; [unrolled: 1-line block ×4, first 2 shown]
	v_dual_mov_b32 v17, 0 :: v_dual_mov_b32 v20, v19
	s_mov_b32 s4, 0
.LBB53_9:                               ; =>This Inner Loop Header: Depth=1
	global_load_b32 v15, v20, s[6:7] scale_offset
	s_wait_xcnt 0x0
	v_add_nc_u32_e32 v20, 8, v20
	s_delay_alu instid0(VALU_DEP_1) | instskip(SKIP_3) | instid1(VALU_DEP_1)
	v_cmp_ge_i32_e32 vcc_lo, v20, v18
	s_or_b32 s4, vcc_lo, s4
	s_wait_loadcnt 0x0
	v_subrev_nc_u32_e32 v15, s12, v15
	v_lshl_add_u32 v21, v15, 2, v15
	s_delay_alu instid0(VALU_DEP_1) | instskip(NEXT) | instid1(VALU_DEP_1)
	v_dual_add_nc_u32 v16, -16, v14 :: v_dual_add_nc_u32 v15, 1, v21
	v_lshl_add_u64 v[30:31], v[16:17], 3, s[8:9]
	v_add_nc_u32_e32 v16, -12, v14
	s_clause 0x1
	global_load_b128 v[22:25], v[30:31], off offset:16
	global_load_b128 v[26:29], v[30:31], off
	global_load_b64 v[62:63], v21, s[10:11] scale_offset
	v_lshl_add_u64 v[38:39], v[16:17], 3, s[8:9]
	v_add_nc_u32_e32 v16, -8, v14
	s_clause 0x1
	global_load_b128 v[30:33], v[38:39], off offset:16
	global_load_b128 v[34:37], v[38:39], off
	global_load_b64 v[64:65], v15, s[10:11] scale_offset
	v_lshl_add_u64 v[46:47], v[16:17], 3, s[8:9]
	s_wait_xcnt 0x0
	v_dual_add_nc_u32 v15, 2, v21 :: v_dual_add_nc_u32 v16, -4, v14
	s_clause 0x1
	global_load_b128 v[38:41], v[46:47], off offset:16
	global_load_b128 v[42:45], v[46:47], off
	global_load_b64 v[66:67], v15, s[10:11] scale_offset
	v_lshl_add_u64 v[54:55], v[16:17], 3, s[8:9]
	s_wait_xcnt 0x0
	v_add_nc_u32_e32 v15, 3, v21
	s_clause 0x1
	global_load_b128 v[46:49], v[54:55], off offset:16
	global_load_b128 v[50:53], v[54:55], off
	global_load_b64 v[68:69], v15, s[10:11] scale_offset
	s_wait_xcnt 0x0
	v_mov_b32_e32 v15, v17
	s_delay_alu instid0(VALU_DEP_1)
	v_lshl_add_u64 v[70:71], v[14:15], 3, s[8:9]
	v_add_nc_u32_e32 v15, 4, v21
	v_add_nc_u32_e32 v14, 0xa0, v14
	s_clause 0x1
	global_load_b128 v[54:57], v[70:71], off offset:16
	global_load_b128 v[58:61], v[70:71], off
	global_load_b64 v[72:73], v15, s[10:11] scale_offset
	s_wait_loadcnt 0xc
	v_fmac_f64_e32 v[0:1], v[26:27], v[62:63]
	v_fmac_f64_e32 v[12:13], v[28:29], v[62:63]
	;; [unrolled: 1-line block ×4, first 2 shown]
	s_wait_loadcnt 0x9
	s_delay_alu instid0(VALU_DEP_4) | instskip(NEXT) | instid1(VALU_DEP_4)
	v_fmac_f64_e32 v[0:1], v[34:35], v[64:65]
	v_fmac_f64_e32 v[12:13], v[36:37], v[64:65]
	s_delay_alu instid0(VALU_DEP_4) | instskip(NEXT) | instid1(VALU_DEP_4)
	v_fmac_f64_e32 v[10:11], v[30:31], v[64:65]
	v_fmac_f64_e32 v[8:9], v[32:33], v[64:65]
	s_wait_loadcnt 0x6
	s_delay_alu instid0(VALU_DEP_4) | instskip(NEXT) | instid1(VALU_DEP_4)
	v_fmac_f64_e32 v[0:1], v[42:43], v[66:67]
	v_fmac_f64_e32 v[12:13], v[44:45], v[66:67]
	s_delay_alu instid0(VALU_DEP_4) | instskip(NEXT) | instid1(VALU_DEP_4)
	v_fmac_f64_e32 v[10:11], v[38:39], v[66:67]
	v_fmac_f64_e32 v[8:9], v[40:41], v[66:67]
	;; [unrolled: 7-line block ×4, first 2 shown]
	s_and_not1_b32 exec_lo, exec_lo, s4
	s_cbranch_execnz .LBB53_9
; %bb.10:
	s_or_b32 exec_lo, exec_lo, s4
.LBB53_11:
	s_delay_alu instid0(SALU_CYCLE_1)
	s_or_b32 exec_lo, exec_lo, s3
	s_cbranch_execz .LBB53_13
	s_branch .LBB53_18
.LBB53_12:
                                        ; implicit-def: $vgpr0_vgpr1
                                        ; implicit-def: $vgpr8_vgpr9
                                        ; implicit-def: $vgpr10_vgpr11
                                        ; implicit-def: $vgpr12_vgpr13
.LBB53_13:
	v_mov_b64_e32 v[0:1], 0
	v_mov_b64_e32 v[8:9], 0
	;; [unrolled: 1-line block ×4, first 2 shown]
	s_and_saveexec_b32 s3, s2
	s_cbranch_execz .LBB53_17
; %bb.14:
	v_mad_u32 v16, v19, 20, 19
	v_mov_b64_e32 v[0:1], 0
	v_mov_b64_e32 v[8:9], 0
	;; [unrolled: 1-line block ×4, first 2 shown]
	v_mov_b32_e32 v15, 0
	s_mov_b32 s2, 0
.LBB53_15:                              ; =>This Inner Loop Header: Depth=1
	global_load_b32 v17, v19, s[6:7] scale_offset
	v_subrev_nc_u32_e32 v14, 19, v16
	v_dual_add_nc_u32 v24, -14, v16 :: v_dual_add_nc_u32 v25, -9, v16
	v_dual_add_nc_u32 v26, -4, v16 :: v_dual_add_nc_u32 v56, -6, v16
	s_delay_alu instid0(VALU_DEP_3) | instskip(SKIP_3) | instid1(VALU_DEP_1)
	v_lshl_add_u64 v[28:29], v[14:15], 3, s[8:9]
	v_dual_add_nc_u32 v60, -1, v16 :: v_dual_add_nc_u32 v66, -10, v16
	s_wait_xcnt 0x0
	v_dual_add_nc_u32 v19, 8, v19 :: v_dual_add_nc_u32 v67, -5, v16
	v_cmp_ge_i32_e32 vcc_lo, v19, v18
	s_or_b32 s2, vcc_lo, s2
	s_wait_loadcnt 0x0
	v_subrev_nc_u32_e32 v14, s12, v17
	v_add_nc_u32_e32 v17, -13, v16
	s_clause 0x3
	global_load_b64 v[30:31], v24, s[8:9] scale_offset
	global_load_b64 v[32:33], v25, s[8:9] scale_offset
	;; [unrolled: 1-line block ×3, first 2 shown]
	global_load_b128 v[20:23], v[28:29], off
	s_wait_xcnt 0x2
	v_dual_add_nc_u32 v24, -8, v16 :: v_dual_add_nc_u32 v25, -3, v16
	v_lshl_add_u32 v14, v14, 2, v14
	global_load_b64 v[36:37], v14, s[10:11] scale_offset
	s_clause 0x1
	global_load_b64 v[38:39], v17, s[8:9] scale_offset
	global_load_b64 v[40:41], v24, s[8:9] scale_offset
	s_wait_xcnt 0x0
	v_dual_add_nc_u32 v17, 1, v14 :: v_dual_add_nc_u32 v24, -7, v16
	global_load_b64 v[42:43], v25, s[8:9] scale_offset
	global_load_b64 v[44:45], v17, s[10:11] scale_offset
	s_wait_xcnt 0x0
	v_dual_add_nc_u32 v17, -12, v16 :: v_dual_add_nc_u32 v25, -2, v16
	s_clause 0x2
	global_load_b64 v[46:47], v17, s[8:9] scale_offset
	global_load_b64 v[48:49], v24, s[8:9] scale_offset
	;; [unrolled: 1-line block ×3, first 2 shown]
	s_wait_xcnt 0x2
	v_add_nc_u32_e32 v17, 2, v14
	global_load_b128 v[24:27], v[28:29], off offset:16
	global_load_b64 v[52:53], v17, s[10:11] scale_offset
	s_wait_xcnt 0x0
	v_add_nc_u32_e32 v17, -11, v16
	s_clause 0x1
	global_load_b64 v[28:29], v17, s[8:9] scale_offset
	global_load_b64 v[54:55], v56, s[8:9] scale_offset
	s_wait_xcnt 0x1
	v_add_nc_u32_e32 v17, 3, v14
	global_load_b64 v[56:57], v60, s[8:9] scale_offset
	global_load_b64 v[58:59], v17, s[10:11] scale_offset
	s_wait_xcnt 0x0
	v_dual_add_nc_u32 v14, 4, v14 :: v_dual_add_nc_u32 v17, -15, v16
	s_clause 0x1
	global_load_b64 v[60:61], v16, s[8:9] scale_offset
	global_load_b64 v[62:63], v17, s[8:9] scale_offset
	s_wait_xcnt 0x1
	v_add_nc_u32_e32 v16, 0xa0, v16
	s_wait_loadcnt 0xf
	v_fmac_f64_e32 v[12:13], v[30:31], v[36:37]
	s_clause 0x1
	global_load_b64 v[30:31], v66, s[8:9] scale_offset
	global_load_b64 v[64:65], v67, s[8:9] scale_offset
	v_fmac_f64_e32 v[10:11], v[32:33], v[36:37]
	global_load_b64 v[32:33], v14, s[10:11] scale_offset
	v_fmac_f64_e32 v[0:1], v[20:21], v[36:37]
	v_fmac_f64_e32 v[8:9], v[34:35], v[36:37]
	s_wait_loadcnt 0xe
	v_fmac_f64_e32 v[12:13], v[38:39], v[44:45]
	v_fmac_f64_e32 v[10:11], v[40:41], v[44:45]
	s_delay_alu instid0(VALU_DEP_4) | instskip(NEXT) | instid1(VALU_DEP_4)
	v_fmac_f64_e32 v[0:1], v[22:23], v[44:45]
	v_fmac_f64_e32 v[8:9], v[42:43], v[44:45]
	s_wait_loadcnt 0x9
	s_delay_alu instid0(VALU_DEP_4) | instskip(NEXT) | instid1(VALU_DEP_4)
	v_fmac_f64_e32 v[12:13], v[46:47], v[52:53]
	v_fmac_f64_e32 v[10:11], v[48:49], v[52:53]
	s_delay_alu instid0(VALU_DEP_4) | instskip(NEXT) | instid1(VALU_DEP_4)
	v_fmac_f64_e32 v[0:1], v[24:25], v[52:53]
	v_fmac_f64_e32 v[8:9], v[50:51], v[52:53]
	s_wait_loadcnt 0x5
	s_delay_alu instid0(VALU_DEP_4) | instskip(NEXT) | instid1(VALU_DEP_4)
	v_fmac_f64_e32 v[12:13], v[28:29], v[58:59]
	v_fmac_f64_e32 v[10:11], v[54:55], v[58:59]
	s_delay_alu instid0(VALU_DEP_4) | instskip(NEXT) | instid1(VALU_DEP_4)
	v_fmac_f64_e32 v[0:1], v[26:27], v[58:59]
	v_fmac_f64_e32 v[8:9], v[56:57], v[58:59]
	s_wait_loadcnt 0x0
	s_delay_alu instid0(VALU_DEP_2) | instskip(SKIP_2) | instid1(VALU_DEP_4)
	v_fmac_f64_e32 v[0:1], v[62:63], v[32:33]
	v_fmac_f64_e32 v[12:13], v[30:31], v[32:33]
	;; [unrolled: 1-line block ×4, first 2 shown]
	s_and_not1_b32 exec_lo, exec_lo, s2
	s_cbranch_execnz .LBB53_15
; %bb.16:
	s_or_b32 exec_lo, exec_lo, s2
.LBB53_17:
	s_delay_alu instid0(SALU_CYCLE_1)
	s_or_b32 exec_lo, exec_lo, s3
.LBB53_18:
	v_mbcnt_lo_u32_b32 v24, -1, 0
	s_delay_alu instid0(VALU_DEP_1) | instskip(NEXT) | instid1(VALU_DEP_1)
	v_xor_b32_e32 v14, 4, v24
	v_cmp_gt_i32_e32 vcc_lo, 32, v14
	v_cndmask_b32_e32 v14, v24, v14, vcc_lo
	s_delay_alu instid0(VALU_DEP_1)
	v_lshlrev_b32_e32 v21, 2, v14
	ds_bpermute_b32 v14, v21, v0
	ds_bpermute_b32 v15, v21, v1
	;; [unrolled: 1-line block ×4, first 2 shown]
	s_wait_dscnt 0x2
	v_add_f64_e32 v[0:1], v[0:1], v[14:15]
	s_wait_dscnt 0x0
	v_add_f64_e32 v[14:15], v[12:13], v[16:17]
	ds_bpermute_b32 v18, v21, v10
	ds_bpermute_b32 v19, v21, v11
	ds_bpermute_b32 v20, v21, v8
	ds_bpermute_b32 v21, v21, v9
	s_wait_dscnt 0x2
	v_dual_add_f64 v[16:17], v[10:11], v[18:19] :: v_dual_bitop2_b32 v10, 2, v24 bitop3:0x14
	s_delay_alu instid0(VALU_DEP_1) | instskip(SKIP_2) | instid1(VALU_DEP_1)
	v_cmp_gt_i32_e32 vcc_lo, 32, v10
	v_cndmask_b32_e32 v10, v24, v10, vcc_lo
	s_wait_dscnt 0x0
	v_dual_add_f64 v[8:9], v[8:9], v[20:21] :: v_dual_lshlrev_b32 v12, 2, v10
	ds_bpermute_b32 v10, v12, v0
	ds_bpermute_b32 v11, v12, v1
	;; [unrolled: 1-line block ×8, first 2 shown]
	s_wait_dscnt 0x6
	v_add_f64_e32 v[12:13], v[0:1], v[10:11]
	s_wait_dscnt 0x4
	v_dual_add_f64 v[10:11], v[14:15], v[18:19] :: v_dual_bitop2_b32 v14, 1, v24 bitop3:0x14
	s_delay_alu instid0(VALU_DEP_1) | instskip(SKIP_4) | instid1(VALU_DEP_3)
	v_cmp_gt_i32_e32 vcc_lo, 32, v14
	v_cndmask_b32_e32 v14, v24, v14, vcc_lo
	s_wait_dscnt 0x2
	v_add_f64_e32 v[0:1], v[16:17], v[20:21]
	v_cmp_eq_u32_e32 vcc_lo, 7, v7
	v_lshlrev_b32_e32 v15, 2, v14
	s_wait_dscnt 0x0
	v_add_f64_e32 v[8:9], v[8:9], v[22:23]
	ds_bpermute_b32 v20, v15, v12
	ds_bpermute_b32 v21, v15, v13
	;; [unrolled: 1-line block ×8, first 2 shown]
	s_and_b32 exec_lo, exec_lo, vcc_lo
	s_cbranch_execz .LBB53_23
; %bb.19:
	s_wait_dscnt 0x6
	v_add_f64_e32 v[12:13], v[12:13], v[20:21]
	s_wait_dscnt 0x4
	v_add_f64_e32 v[10:11], v[10:11], v[18:19]
	;; [unrolled: 2-line block ×4, first 2 shown]
	s_load_b64 s[0:1], s[0:1], 0x38
	s_mov_b32 s2, exec_lo
	v_cmpx_eq_f64_e32 0, v[4:5]
	s_xor_b32 s2, exec_lo, s2
	s_cbranch_execz .LBB53_21
; %bb.20:
	v_dual_mul_f64 v[12:13], v[2:3], v[12:13] :: v_dual_lshlrev_b32 v4, 2, v6
	v_mul_f64_e32 v[14:15], v[2:3], v[10:11]
	v_mul_f64_e32 v[0:1], v[2:3], v[0:1]
	;; [unrolled: 1-line block ×3, first 2 shown]
                                        ; implicit-def: $vgpr6
                                        ; implicit-def: $vgpr10_vgpr11
                                        ; implicit-def: $vgpr8_vgpr9
	s_delay_alu instid0(VALU_DEP_4) | instskip(SKIP_1) | instid1(VALU_DEP_1)
	v_ashrrev_i32_e32 v5, 31, v4
	s_wait_kmcnt 0x0
	v_lshl_add_u64 v[4:5], v[4:5], 3, s[0:1]
	s_clause 0x1
	global_store_b128 v[4:5], v[12:15], off
	global_store_b128 v[4:5], v[0:3], off offset:16
                                        ; implicit-def: $vgpr2_vgpr3
                                        ; implicit-def: $vgpr12_vgpr13
                                        ; implicit-def: $vgpr4_vgpr5
                                        ; implicit-def: $vgpr0_vgpr1
.LBB53_21:
	s_wait_xcnt 0x0
	s_and_not1_saveexec_b32 s2, s2
	s_cbranch_execz .LBB53_23
; %bb.22:
	v_dual_mul_f64 v[22:23], v[2:3], v[12:13] :: v_dual_lshlrev_b32 v6, 2, v6
	v_mul_f64_e32 v[24:25], v[2:3], v[10:11]
	v_mul_f64_e32 v[0:1], v[2:3], v[0:1]
	s_delay_alu instid0(VALU_DEP_3) | instskip(SKIP_1) | instid1(VALU_DEP_1)
	v_dual_mul_f64 v[2:3], v[2:3], v[8:9] :: v_dual_ashrrev_i32 v7, 31, v6
	s_wait_kmcnt 0x0
	v_lshl_add_u64 v[6:7], v[6:7], 3, s[0:1]
	s_clause 0x1
	global_load_b128 v[14:17], v[6:7], off
	global_load_b128 v[18:21], v[6:7], off offset:16
	s_wait_loadcnt 0x1
	v_fmac_f64_e32 v[22:23], v[4:5], v[14:15]
	v_fmac_f64_e32 v[24:25], v[4:5], v[16:17]
	s_wait_loadcnt 0x0
	v_fmac_f64_e32 v[0:1], v[4:5], v[18:19]
	v_fmac_f64_e32 v[2:3], v[4:5], v[20:21]
	s_clause 0x1
	global_store_b128 v[6:7], v[22:25], off
	global_store_b128 v[6:7], v[0:3], off offset:16
.LBB53_23:
	s_sendmsg sendmsg(MSG_DEALLOC_VGPRS)
	s_endpgm
	.section	.rodata,"a",@progbits
	.p2align	6, 0x0
	.amdhsa_kernel _ZN9rocsparseL19gebsrmvn_4xn_kernelILj128ELj5ELj8EdEEvi20rocsparse_direction_NS_24const_host_device_scalarIT2_EEPKiS6_PKS3_S8_S4_PS3_21rocsparse_index_base_b
		.amdhsa_group_segment_fixed_size 0
		.amdhsa_private_segment_fixed_size 0
		.amdhsa_kernarg_size 72
		.amdhsa_user_sgpr_count 2
		.amdhsa_user_sgpr_dispatch_ptr 0
		.amdhsa_user_sgpr_queue_ptr 0
		.amdhsa_user_sgpr_kernarg_segment_ptr 1
		.amdhsa_user_sgpr_dispatch_id 0
		.amdhsa_user_sgpr_kernarg_preload_length 0
		.amdhsa_user_sgpr_kernarg_preload_offset 0
		.amdhsa_user_sgpr_private_segment_size 0
		.amdhsa_wavefront_size32 1
		.amdhsa_uses_dynamic_stack 0
		.amdhsa_enable_private_segment 0
		.amdhsa_system_sgpr_workgroup_id_x 1
		.amdhsa_system_sgpr_workgroup_id_y 0
		.amdhsa_system_sgpr_workgroup_id_z 0
		.amdhsa_system_sgpr_workgroup_info 0
		.amdhsa_system_vgpr_workitem_id 0
		.amdhsa_next_free_vgpr 74
		.amdhsa_next_free_sgpr 14
		.amdhsa_named_barrier_count 0
		.amdhsa_reserve_vcc 1
		.amdhsa_float_round_mode_32 0
		.amdhsa_float_round_mode_16_64 0
		.amdhsa_float_denorm_mode_32 3
		.amdhsa_float_denorm_mode_16_64 3
		.amdhsa_fp16_overflow 0
		.amdhsa_memory_ordered 1
		.amdhsa_forward_progress 1
		.amdhsa_inst_pref_size 18
		.amdhsa_round_robin_scheduling 0
		.amdhsa_exception_fp_ieee_invalid_op 0
		.amdhsa_exception_fp_denorm_src 0
		.amdhsa_exception_fp_ieee_div_zero 0
		.amdhsa_exception_fp_ieee_overflow 0
		.amdhsa_exception_fp_ieee_underflow 0
		.amdhsa_exception_fp_ieee_inexact 0
		.amdhsa_exception_int_div_zero 0
	.end_amdhsa_kernel
	.section	.text._ZN9rocsparseL19gebsrmvn_4xn_kernelILj128ELj5ELj8EdEEvi20rocsparse_direction_NS_24const_host_device_scalarIT2_EEPKiS6_PKS3_S8_S4_PS3_21rocsparse_index_base_b,"axG",@progbits,_ZN9rocsparseL19gebsrmvn_4xn_kernelILj128ELj5ELj8EdEEvi20rocsparse_direction_NS_24const_host_device_scalarIT2_EEPKiS6_PKS3_S8_S4_PS3_21rocsparse_index_base_b,comdat
.Lfunc_end53:
	.size	_ZN9rocsparseL19gebsrmvn_4xn_kernelILj128ELj5ELj8EdEEvi20rocsparse_direction_NS_24const_host_device_scalarIT2_EEPKiS6_PKS3_S8_S4_PS3_21rocsparse_index_base_b, .Lfunc_end53-_ZN9rocsparseL19gebsrmvn_4xn_kernelILj128ELj5ELj8EdEEvi20rocsparse_direction_NS_24const_host_device_scalarIT2_EEPKiS6_PKS3_S8_S4_PS3_21rocsparse_index_base_b
                                        ; -- End function
	.set _ZN9rocsparseL19gebsrmvn_4xn_kernelILj128ELj5ELj8EdEEvi20rocsparse_direction_NS_24const_host_device_scalarIT2_EEPKiS6_PKS3_S8_S4_PS3_21rocsparse_index_base_b.num_vgpr, 74
	.set _ZN9rocsparseL19gebsrmvn_4xn_kernelILj128ELj5ELj8EdEEvi20rocsparse_direction_NS_24const_host_device_scalarIT2_EEPKiS6_PKS3_S8_S4_PS3_21rocsparse_index_base_b.num_agpr, 0
	.set _ZN9rocsparseL19gebsrmvn_4xn_kernelILj128ELj5ELj8EdEEvi20rocsparse_direction_NS_24const_host_device_scalarIT2_EEPKiS6_PKS3_S8_S4_PS3_21rocsparse_index_base_b.numbered_sgpr, 14
	.set _ZN9rocsparseL19gebsrmvn_4xn_kernelILj128ELj5ELj8EdEEvi20rocsparse_direction_NS_24const_host_device_scalarIT2_EEPKiS6_PKS3_S8_S4_PS3_21rocsparse_index_base_b.num_named_barrier, 0
	.set _ZN9rocsparseL19gebsrmvn_4xn_kernelILj128ELj5ELj8EdEEvi20rocsparse_direction_NS_24const_host_device_scalarIT2_EEPKiS6_PKS3_S8_S4_PS3_21rocsparse_index_base_b.private_seg_size, 0
	.set _ZN9rocsparseL19gebsrmvn_4xn_kernelILj128ELj5ELj8EdEEvi20rocsparse_direction_NS_24const_host_device_scalarIT2_EEPKiS6_PKS3_S8_S4_PS3_21rocsparse_index_base_b.uses_vcc, 1
	.set _ZN9rocsparseL19gebsrmvn_4xn_kernelILj128ELj5ELj8EdEEvi20rocsparse_direction_NS_24const_host_device_scalarIT2_EEPKiS6_PKS3_S8_S4_PS3_21rocsparse_index_base_b.uses_flat_scratch, 0
	.set _ZN9rocsparseL19gebsrmvn_4xn_kernelILj128ELj5ELj8EdEEvi20rocsparse_direction_NS_24const_host_device_scalarIT2_EEPKiS6_PKS3_S8_S4_PS3_21rocsparse_index_base_b.has_dyn_sized_stack, 0
	.set _ZN9rocsparseL19gebsrmvn_4xn_kernelILj128ELj5ELj8EdEEvi20rocsparse_direction_NS_24const_host_device_scalarIT2_EEPKiS6_PKS3_S8_S4_PS3_21rocsparse_index_base_b.has_recursion, 0
	.set _ZN9rocsparseL19gebsrmvn_4xn_kernelILj128ELj5ELj8EdEEvi20rocsparse_direction_NS_24const_host_device_scalarIT2_EEPKiS6_PKS3_S8_S4_PS3_21rocsparse_index_base_b.has_indirect_call, 0
	.section	.AMDGPU.csdata,"",@progbits
; Kernel info:
; codeLenInByte = 2216
; TotalNumSgprs: 16
; NumVgprs: 74
; ScratchSize: 0
; MemoryBound: 1
; FloatMode: 240
; IeeeMode: 1
; LDSByteSize: 0 bytes/workgroup (compile time only)
; SGPRBlocks: 0
; VGPRBlocks: 4
; NumSGPRsForWavesPerEU: 16
; NumVGPRsForWavesPerEU: 74
; NamedBarCnt: 0
; Occupancy: 12
; WaveLimiterHint : 1
; COMPUTE_PGM_RSRC2:SCRATCH_EN: 0
; COMPUTE_PGM_RSRC2:USER_SGPR: 2
; COMPUTE_PGM_RSRC2:TRAP_HANDLER: 0
; COMPUTE_PGM_RSRC2:TGID_X_EN: 1
; COMPUTE_PGM_RSRC2:TGID_Y_EN: 0
; COMPUTE_PGM_RSRC2:TGID_Z_EN: 0
; COMPUTE_PGM_RSRC2:TIDIG_COMP_CNT: 0
	.section	.text._ZN9rocsparseL19gebsrmvn_4xn_kernelILj128ELj5ELj16EdEEvi20rocsparse_direction_NS_24const_host_device_scalarIT2_EEPKiS6_PKS3_S8_S4_PS3_21rocsparse_index_base_b,"axG",@progbits,_ZN9rocsparseL19gebsrmvn_4xn_kernelILj128ELj5ELj16EdEEvi20rocsparse_direction_NS_24const_host_device_scalarIT2_EEPKiS6_PKS3_S8_S4_PS3_21rocsparse_index_base_b,comdat
	.globl	_ZN9rocsparseL19gebsrmvn_4xn_kernelILj128ELj5ELj16EdEEvi20rocsparse_direction_NS_24const_host_device_scalarIT2_EEPKiS6_PKS3_S8_S4_PS3_21rocsparse_index_base_b ; -- Begin function _ZN9rocsparseL19gebsrmvn_4xn_kernelILj128ELj5ELj16EdEEvi20rocsparse_direction_NS_24const_host_device_scalarIT2_EEPKiS6_PKS3_S8_S4_PS3_21rocsparse_index_base_b
	.p2align	8
	.type	_ZN9rocsparseL19gebsrmvn_4xn_kernelILj128ELj5ELj16EdEEvi20rocsparse_direction_NS_24const_host_device_scalarIT2_EEPKiS6_PKS3_S8_S4_PS3_21rocsparse_index_base_b,@function
_ZN9rocsparseL19gebsrmvn_4xn_kernelILj128ELj5ELj16EdEEvi20rocsparse_direction_NS_24const_host_device_scalarIT2_EEPKiS6_PKS3_S8_S4_PS3_21rocsparse_index_base_b: ; @_ZN9rocsparseL19gebsrmvn_4xn_kernelILj128ELj5ELj16EdEEvi20rocsparse_direction_NS_24const_host_device_scalarIT2_EEPKiS6_PKS3_S8_S4_PS3_21rocsparse_index_base_b
; %bb.0:
	s_clause 0x2
	s_load_b64 s[12:13], s[0:1], 0x40
	s_load_b64 s[4:5], s[0:1], 0x8
	;; [unrolled: 1-line block ×3, first 2 shown]
	s_wait_kmcnt 0x0
	s_bitcmp1_b32 s13, 0
	v_mov_b64_e32 v[2:3], s[4:5]
	s_cselect_b32 s6, -1, 0
	s_delay_alu instid0(SALU_CYCLE_1)
	s_and_b32 vcc_lo, exec_lo, s6
	s_xor_b32 s6, s6, -1
	s_cbranch_vccnz .LBB54_2
; %bb.1:
	v_mov_b32_e32 v1, 0
	flat_load_b64 v[2:3], v1, s[4:5]
.LBB54_2:
	v_mov_b64_e32 v[4:5], s[2:3]
	s_and_not1_b32 vcc_lo, exec_lo, s6
	s_cbranch_vccnz .LBB54_4
; %bb.3:
	s_wait_xcnt 0x0
	v_mov_b32_e32 v1, 0
	flat_load_b64 v[4:5], v1, s[2:3]
.LBB54_4:
	s_wait_loadcnt_dscnt 0x0
	v_cmp_neq_f64_e32 vcc_lo, 0, v[2:3]
	s_delay_alu instid0(VALU_DEP_2) | instskip(SKIP_1) | instid1(SALU_CYCLE_1)
	v_cmp_neq_f64_e64 s2, 1.0, v[4:5]
	s_or_b32 s2, vcc_lo, s2
	s_and_saveexec_b32 s3, s2
	s_cbranch_execz .LBB54_23
; %bb.5:
	s_load_b64 s[2:3], s[0:1], 0x0
	s_bfe_u32 s4, ttmp6, 0x4000c
	s_and_b32 s5, ttmp6, 15
	s_add_co_i32 s4, s4, 1
	s_getreg_b32 s6, hwreg(HW_REG_IB_STS2, 6, 4)
	s_mul_i32 s4, ttmp9, s4
	v_lshrrev_b32_e32 v1, 4, v0
	s_add_co_i32 s5, s5, s4
	s_cmp_eq_u32 s6, 0
	s_cselect_b32 s4, ttmp9, s5
	s_delay_alu instid0(VALU_DEP_1) | instid1(SALU_CYCLE_1)
	v_lshl_or_b32 v6, s4, 3, v1
	s_wait_kmcnt 0x0
	s_delay_alu instid0(VALU_DEP_1)
	v_cmp_gt_i32_e32 vcc_lo, s2, v6
	s_and_b32 exec_lo, exec_lo, vcc_lo
	s_cbranch_execz .LBB54_23
; %bb.6:
	s_load_b256 s[4:11], s[0:1], 0x10
	v_ashrrev_i32_e32 v7, 31, v6
	s_cmp_lg_u32 s3, 0
	s_wait_kmcnt 0x0
	s_delay_alu instid0(VALU_DEP_1)
	v_lshl_add_u64 v[8:9], v[6:7], 2, s[4:5]
	v_and_b32_e32 v7, 15, v0
	global_load_b64 v[8:9], v[8:9], off
	s_wait_loadcnt 0x0
	v_subrev_nc_u32_e32 v0, s12, v8
	v_subrev_nc_u32_e32 v18, s12, v9
	s_delay_alu instid0(VALU_DEP_2) | instskip(NEXT) | instid1(VALU_DEP_1)
	v_add_nc_u32_e32 v19, v0, v7
	v_cmp_lt_i32_e64 s2, v19, v18
	s_cbranch_scc0 .LBB54_12
; %bb.7:
	v_mov_b64_e32 v[0:1], 0
	v_mov_b64_e32 v[8:9], 0
	;; [unrolled: 1-line block ×4, first 2 shown]
	s_and_saveexec_b32 s3, s2
	s_cbranch_execz .LBB54_11
; %bb.8:
	v_mad_u32 v14, v19, 20, 16
	v_mov_b64_e32 v[0:1], 0
	v_mov_b64_e32 v[8:9], 0
	;; [unrolled: 1-line block ×4, first 2 shown]
	v_dual_mov_b32 v17, 0 :: v_dual_mov_b32 v20, v19
	s_mov_b32 s4, 0
.LBB54_9:                               ; =>This Inner Loop Header: Depth=1
	global_load_b32 v15, v20, s[6:7] scale_offset
	s_wait_xcnt 0x0
	v_add_nc_u32_e32 v20, 16, v20
	s_delay_alu instid0(VALU_DEP_1) | instskip(SKIP_3) | instid1(VALU_DEP_1)
	v_cmp_ge_i32_e32 vcc_lo, v20, v18
	s_or_b32 s4, vcc_lo, s4
	s_wait_loadcnt 0x0
	v_subrev_nc_u32_e32 v15, s12, v15
	v_lshl_add_u32 v21, v15, 2, v15
	s_delay_alu instid0(VALU_DEP_1) | instskip(NEXT) | instid1(VALU_DEP_1)
	v_dual_add_nc_u32 v16, -16, v14 :: v_dual_add_nc_u32 v15, 1, v21
	v_lshl_add_u64 v[30:31], v[16:17], 3, s[8:9]
	v_add_nc_u32_e32 v16, -12, v14
	s_clause 0x1
	global_load_b128 v[22:25], v[30:31], off offset:16
	global_load_b128 v[26:29], v[30:31], off
	global_load_b64 v[62:63], v21, s[10:11] scale_offset
	v_lshl_add_u64 v[38:39], v[16:17], 3, s[8:9]
	v_add_nc_u32_e32 v16, -8, v14
	s_clause 0x1
	global_load_b128 v[30:33], v[38:39], off offset:16
	global_load_b128 v[34:37], v[38:39], off
	global_load_b64 v[64:65], v15, s[10:11] scale_offset
	v_lshl_add_u64 v[46:47], v[16:17], 3, s[8:9]
	s_wait_xcnt 0x0
	v_dual_add_nc_u32 v15, 2, v21 :: v_dual_add_nc_u32 v16, -4, v14
	s_clause 0x1
	global_load_b128 v[38:41], v[46:47], off offset:16
	global_load_b128 v[42:45], v[46:47], off
	global_load_b64 v[66:67], v15, s[10:11] scale_offset
	v_lshl_add_u64 v[54:55], v[16:17], 3, s[8:9]
	s_wait_xcnt 0x0
	v_add_nc_u32_e32 v15, 3, v21
	s_clause 0x1
	global_load_b128 v[46:49], v[54:55], off offset:16
	global_load_b128 v[50:53], v[54:55], off
	global_load_b64 v[68:69], v15, s[10:11] scale_offset
	s_wait_xcnt 0x0
	v_mov_b32_e32 v15, v17
	s_delay_alu instid0(VALU_DEP_1)
	v_lshl_add_u64 v[70:71], v[14:15], 3, s[8:9]
	v_add_nc_u32_e32 v15, 4, v21
	v_add_nc_u32_e32 v14, 0x140, v14
	s_clause 0x1
	global_load_b128 v[54:57], v[70:71], off offset:16
	global_load_b128 v[58:61], v[70:71], off
	global_load_b64 v[72:73], v15, s[10:11] scale_offset
	s_wait_loadcnt 0xc
	v_fmac_f64_e32 v[0:1], v[26:27], v[62:63]
	v_fmac_f64_e32 v[12:13], v[28:29], v[62:63]
	;; [unrolled: 1-line block ×4, first 2 shown]
	s_wait_loadcnt 0x9
	s_delay_alu instid0(VALU_DEP_4) | instskip(NEXT) | instid1(VALU_DEP_4)
	v_fmac_f64_e32 v[0:1], v[34:35], v[64:65]
	v_fmac_f64_e32 v[12:13], v[36:37], v[64:65]
	s_delay_alu instid0(VALU_DEP_4) | instskip(NEXT) | instid1(VALU_DEP_4)
	v_fmac_f64_e32 v[10:11], v[30:31], v[64:65]
	v_fmac_f64_e32 v[8:9], v[32:33], v[64:65]
	s_wait_loadcnt 0x6
	s_delay_alu instid0(VALU_DEP_4) | instskip(NEXT) | instid1(VALU_DEP_4)
	v_fmac_f64_e32 v[0:1], v[42:43], v[66:67]
	v_fmac_f64_e32 v[12:13], v[44:45], v[66:67]
	s_delay_alu instid0(VALU_DEP_4) | instskip(NEXT) | instid1(VALU_DEP_4)
	v_fmac_f64_e32 v[10:11], v[38:39], v[66:67]
	v_fmac_f64_e32 v[8:9], v[40:41], v[66:67]
	;; [unrolled: 7-line block ×4, first 2 shown]
	s_and_not1_b32 exec_lo, exec_lo, s4
	s_cbranch_execnz .LBB54_9
; %bb.10:
	s_or_b32 exec_lo, exec_lo, s4
.LBB54_11:
	s_delay_alu instid0(SALU_CYCLE_1)
	s_or_b32 exec_lo, exec_lo, s3
	s_cbranch_execz .LBB54_13
	s_branch .LBB54_18
.LBB54_12:
                                        ; implicit-def: $vgpr0_vgpr1
                                        ; implicit-def: $vgpr8_vgpr9
                                        ; implicit-def: $vgpr10_vgpr11
                                        ; implicit-def: $vgpr12_vgpr13
.LBB54_13:
	v_mov_b64_e32 v[0:1], 0
	v_mov_b64_e32 v[8:9], 0
	;; [unrolled: 1-line block ×4, first 2 shown]
	s_and_saveexec_b32 s3, s2
	s_cbranch_execz .LBB54_17
; %bb.14:
	v_mad_u32 v16, v19, 20, 19
	v_mov_b64_e32 v[0:1], 0
	v_mov_b64_e32 v[8:9], 0
	;; [unrolled: 1-line block ×4, first 2 shown]
	v_mov_b32_e32 v15, 0
	s_mov_b32 s2, 0
.LBB54_15:                              ; =>This Inner Loop Header: Depth=1
	global_load_b32 v17, v19, s[6:7] scale_offset
	v_subrev_nc_u32_e32 v14, 19, v16
	v_dual_add_nc_u32 v24, -14, v16 :: v_dual_add_nc_u32 v25, -9, v16
	v_dual_add_nc_u32 v26, -4, v16 :: v_dual_add_nc_u32 v56, -6, v16
	s_delay_alu instid0(VALU_DEP_3) | instskip(SKIP_3) | instid1(VALU_DEP_1)
	v_lshl_add_u64 v[28:29], v[14:15], 3, s[8:9]
	v_dual_add_nc_u32 v60, -1, v16 :: v_dual_add_nc_u32 v66, -10, v16
	s_wait_xcnt 0x0
	v_dual_add_nc_u32 v19, 16, v19 :: v_dual_add_nc_u32 v67, -5, v16
	v_cmp_ge_i32_e32 vcc_lo, v19, v18
	s_or_b32 s2, vcc_lo, s2
	s_wait_loadcnt 0x0
	v_subrev_nc_u32_e32 v14, s12, v17
	v_add_nc_u32_e32 v17, -13, v16
	s_clause 0x3
	global_load_b64 v[30:31], v24, s[8:9] scale_offset
	global_load_b64 v[32:33], v25, s[8:9] scale_offset
	;; [unrolled: 1-line block ×3, first 2 shown]
	global_load_b128 v[20:23], v[28:29], off
	s_wait_xcnt 0x2
	v_dual_add_nc_u32 v24, -8, v16 :: v_dual_add_nc_u32 v25, -3, v16
	v_lshl_add_u32 v14, v14, 2, v14
	global_load_b64 v[36:37], v14, s[10:11] scale_offset
	s_clause 0x1
	global_load_b64 v[38:39], v17, s[8:9] scale_offset
	global_load_b64 v[40:41], v24, s[8:9] scale_offset
	s_wait_xcnt 0x0
	v_dual_add_nc_u32 v17, 1, v14 :: v_dual_add_nc_u32 v24, -7, v16
	global_load_b64 v[42:43], v25, s[8:9] scale_offset
	global_load_b64 v[44:45], v17, s[10:11] scale_offset
	s_wait_xcnt 0x0
	v_dual_add_nc_u32 v17, -12, v16 :: v_dual_add_nc_u32 v25, -2, v16
	s_clause 0x2
	global_load_b64 v[46:47], v17, s[8:9] scale_offset
	global_load_b64 v[48:49], v24, s[8:9] scale_offset
	;; [unrolled: 1-line block ×3, first 2 shown]
	s_wait_xcnt 0x2
	v_add_nc_u32_e32 v17, 2, v14
	global_load_b128 v[24:27], v[28:29], off offset:16
	global_load_b64 v[52:53], v17, s[10:11] scale_offset
	s_wait_xcnt 0x0
	v_add_nc_u32_e32 v17, -11, v16
	s_clause 0x1
	global_load_b64 v[28:29], v17, s[8:9] scale_offset
	global_load_b64 v[54:55], v56, s[8:9] scale_offset
	s_wait_xcnt 0x1
	v_add_nc_u32_e32 v17, 3, v14
	global_load_b64 v[56:57], v60, s[8:9] scale_offset
	global_load_b64 v[58:59], v17, s[10:11] scale_offset
	s_wait_xcnt 0x0
	v_dual_add_nc_u32 v14, 4, v14 :: v_dual_add_nc_u32 v17, -15, v16
	s_clause 0x1
	global_load_b64 v[60:61], v16, s[8:9] scale_offset
	global_load_b64 v[62:63], v17, s[8:9] scale_offset
	s_wait_xcnt 0x1
	v_add_nc_u32_e32 v16, 0x140, v16
	s_wait_loadcnt 0xf
	v_fmac_f64_e32 v[12:13], v[30:31], v[36:37]
	s_clause 0x1
	global_load_b64 v[30:31], v66, s[8:9] scale_offset
	global_load_b64 v[64:65], v67, s[8:9] scale_offset
	v_fmac_f64_e32 v[10:11], v[32:33], v[36:37]
	global_load_b64 v[32:33], v14, s[10:11] scale_offset
	v_fmac_f64_e32 v[0:1], v[20:21], v[36:37]
	v_fmac_f64_e32 v[8:9], v[34:35], v[36:37]
	s_wait_loadcnt 0xe
	v_fmac_f64_e32 v[12:13], v[38:39], v[44:45]
	v_fmac_f64_e32 v[10:11], v[40:41], v[44:45]
	s_delay_alu instid0(VALU_DEP_4) | instskip(NEXT) | instid1(VALU_DEP_4)
	v_fmac_f64_e32 v[0:1], v[22:23], v[44:45]
	v_fmac_f64_e32 v[8:9], v[42:43], v[44:45]
	s_wait_loadcnt 0x9
	s_delay_alu instid0(VALU_DEP_4) | instskip(NEXT) | instid1(VALU_DEP_4)
	v_fmac_f64_e32 v[12:13], v[46:47], v[52:53]
	v_fmac_f64_e32 v[10:11], v[48:49], v[52:53]
	s_delay_alu instid0(VALU_DEP_4) | instskip(NEXT) | instid1(VALU_DEP_4)
	v_fmac_f64_e32 v[0:1], v[24:25], v[52:53]
	v_fmac_f64_e32 v[8:9], v[50:51], v[52:53]
	s_wait_loadcnt 0x5
	s_delay_alu instid0(VALU_DEP_4) | instskip(NEXT) | instid1(VALU_DEP_4)
	v_fmac_f64_e32 v[12:13], v[28:29], v[58:59]
	v_fmac_f64_e32 v[10:11], v[54:55], v[58:59]
	s_delay_alu instid0(VALU_DEP_4) | instskip(NEXT) | instid1(VALU_DEP_4)
	v_fmac_f64_e32 v[0:1], v[26:27], v[58:59]
	v_fmac_f64_e32 v[8:9], v[56:57], v[58:59]
	s_wait_loadcnt 0x0
	s_delay_alu instid0(VALU_DEP_2) | instskip(SKIP_2) | instid1(VALU_DEP_4)
	v_fmac_f64_e32 v[0:1], v[62:63], v[32:33]
	v_fmac_f64_e32 v[12:13], v[30:31], v[32:33]
	;; [unrolled: 1-line block ×4, first 2 shown]
	s_and_not1_b32 exec_lo, exec_lo, s2
	s_cbranch_execnz .LBB54_15
; %bb.16:
	s_or_b32 exec_lo, exec_lo, s2
.LBB54_17:
	s_delay_alu instid0(SALU_CYCLE_1)
	s_or_b32 exec_lo, exec_lo, s3
.LBB54_18:
	v_mbcnt_lo_u32_b32 v24, -1, 0
	s_delay_alu instid0(VALU_DEP_1) | instskip(NEXT) | instid1(VALU_DEP_1)
	v_xor_b32_e32 v14, 8, v24
	v_cmp_gt_i32_e32 vcc_lo, 32, v14
	v_cndmask_b32_e32 v14, v24, v14, vcc_lo
	s_delay_alu instid0(VALU_DEP_1)
	v_lshlrev_b32_e32 v21, 2, v14
	ds_bpermute_b32 v16, v21, v12
	ds_bpermute_b32 v17, v21, v13
	s_wait_dscnt 0x0
	v_add_f64_e32 v[12:13], v[12:13], v[16:17]
	ds_bpermute_b32 v14, v21, v0
	ds_bpermute_b32 v15, v21, v1
	ds_bpermute_b32 v18, v21, v10
	ds_bpermute_b32 v19, v21, v11
	ds_bpermute_b32 v20, v21, v8
	ds_bpermute_b32 v21, v21, v9
	s_wait_dscnt 0x4
	v_dual_add_f64 v[0:1], v[0:1], v[14:15] :: v_dual_bitop2_b32 v14, 4, v24 bitop3:0x14
	s_wait_dscnt 0x2
	v_add_f64_e32 v[10:11], v[10:11], v[18:19]
	s_delay_alu instid0(VALU_DEP_2) | instskip(SKIP_2) | instid1(VALU_DEP_1)
	v_cmp_gt_i32_e32 vcc_lo, 32, v14
	v_cndmask_b32_e32 v14, v24, v14, vcc_lo
	s_wait_dscnt 0x0
	v_dual_add_f64 v[8:9], v[8:9], v[20:21] :: v_dual_lshlrev_b32 v21, 2, v14
	ds_bpermute_b32 v16, v21, v12
	ds_bpermute_b32 v17, v21, v13
	;; [unrolled: 1-line block ×8, first 2 shown]
	s_wait_dscnt 0x4
	v_add_f64_e32 v[0:1], v[0:1], v[14:15]
	v_add_f64_e32 v[14:15], v[12:13], v[16:17]
	s_wait_dscnt 0x2
	v_dual_add_f64 v[16:17], v[10:11], v[18:19] :: v_dual_bitop2_b32 v10, 2, v24 bitop3:0x14
	s_delay_alu instid0(VALU_DEP_1) | instskip(SKIP_3) | instid1(VALU_DEP_1)
	v_cmp_gt_i32_e32 vcc_lo, 32, v10
	s_wait_dscnt 0x0
	v_add_f64_e32 v[8:9], v[8:9], v[20:21]
	v_cndmask_b32_e32 v10, v24, v10, vcc_lo
	v_lshlrev_b32_e32 v12, 2, v10
	ds_bpermute_b32 v10, v12, v0
	ds_bpermute_b32 v11, v12, v1
	;; [unrolled: 1-line block ×8, first 2 shown]
	s_wait_dscnt 0x6
	v_add_f64_e32 v[12:13], v[0:1], v[10:11]
	s_wait_dscnt 0x4
	v_dual_add_f64 v[10:11], v[14:15], v[18:19] :: v_dual_bitop2_b32 v14, 1, v24 bitop3:0x14
	s_wait_dscnt 0x2
	v_add_f64_e32 v[0:1], v[16:17], v[20:21]
	s_delay_alu instid0(VALU_DEP_2) | instskip(SKIP_2) | instid1(VALU_DEP_2)
	v_cmp_gt_i32_e32 vcc_lo, 32, v14
	v_cndmask_b32_e32 v14, v24, v14, vcc_lo
	v_cmp_eq_u32_e32 vcc_lo, 15, v7
	v_lshlrev_b32_e32 v15, 2, v14
	s_wait_dscnt 0x0
	v_add_f64_e32 v[8:9], v[8:9], v[22:23]
	ds_bpermute_b32 v20, v15, v12
	ds_bpermute_b32 v21, v15, v13
	;; [unrolled: 1-line block ×8, first 2 shown]
	s_and_b32 exec_lo, exec_lo, vcc_lo
	s_cbranch_execz .LBB54_23
; %bb.19:
	s_wait_dscnt 0x6
	v_add_f64_e32 v[12:13], v[12:13], v[20:21]
	s_wait_dscnt 0x4
	v_add_f64_e32 v[10:11], v[10:11], v[18:19]
	;; [unrolled: 2-line block ×4, first 2 shown]
	s_load_b64 s[0:1], s[0:1], 0x38
	s_mov_b32 s2, exec_lo
	v_cmpx_eq_f64_e32 0, v[4:5]
	s_xor_b32 s2, exec_lo, s2
	s_cbranch_execz .LBB54_21
; %bb.20:
	v_dual_mul_f64 v[12:13], v[2:3], v[12:13] :: v_dual_lshlrev_b32 v4, 2, v6
	v_mul_f64_e32 v[14:15], v[2:3], v[10:11]
	v_mul_f64_e32 v[0:1], v[2:3], v[0:1]
	;; [unrolled: 1-line block ×3, first 2 shown]
                                        ; implicit-def: $vgpr6
                                        ; implicit-def: $vgpr10_vgpr11
                                        ; implicit-def: $vgpr8_vgpr9
	s_delay_alu instid0(VALU_DEP_4) | instskip(SKIP_1) | instid1(VALU_DEP_1)
	v_ashrrev_i32_e32 v5, 31, v4
	s_wait_kmcnt 0x0
	v_lshl_add_u64 v[4:5], v[4:5], 3, s[0:1]
	s_clause 0x1
	global_store_b128 v[4:5], v[12:15], off
	global_store_b128 v[4:5], v[0:3], off offset:16
                                        ; implicit-def: $vgpr2_vgpr3
                                        ; implicit-def: $vgpr12_vgpr13
                                        ; implicit-def: $vgpr4_vgpr5
                                        ; implicit-def: $vgpr0_vgpr1
.LBB54_21:
	s_wait_xcnt 0x0
	s_and_not1_saveexec_b32 s2, s2
	s_cbranch_execz .LBB54_23
; %bb.22:
	v_dual_mul_f64 v[22:23], v[2:3], v[12:13] :: v_dual_lshlrev_b32 v6, 2, v6
	v_mul_f64_e32 v[24:25], v[2:3], v[10:11]
	v_mul_f64_e32 v[0:1], v[2:3], v[0:1]
	s_delay_alu instid0(VALU_DEP_3) | instskip(SKIP_1) | instid1(VALU_DEP_1)
	v_dual_mul_f64 v[2:3], v[2:3], v[8:9] :: v_dual_ashrrev_i32 v7, 31, v6
	s_wait_kmcnt 0x0
	v_lshl_add_u64 v[6:7], v[6:7], 3, s[0:1]
	s_clause 0x1
	global_load_b128 v[14:17], v[6:7], off
	global_load_b128 v[18:21], v[6:7], off offset:16
	s_wait_loadcnt 0x1
	v_fmac_f64_e32 v[22:23], v[4:5], v[14:15]
	v_fmac_f64_e32 v[24:25], v[4:5], v[16:17]
	s_wait_loadcnt 0x0
	v_fmac_f64_e32 v[0:1], v[4:5], v[18:19]
	v_fmac_f64_e32 v[2:3], v[4:5], v[20:21]
	s_clause 0x1
	global_store_b128 v[6:7], v[22:25], off
	global_store_b128 v[6:7], v[0:3], off offset:16
.LBB54_23:
	s_sendmsg sendmsg(MSG_DEALLOC_VGPRS)
	s_endpgm
	.section	.rodata,"a",@progbits
	.p2align	6, 0x0
	.amdhsa_kernel _ZN9rocsparseL19gebsrmvn_4xn_kernelILj128ELj5ELj16EdEEvi20rocsparse_direction_NS_24const_host_device_scalarIT2_EEPKiS6_PKS3_S8_S4_PS3_21rocsparse_index_base_b
		.amdhsa_group_segment_fixed_size 0
		.amdhsa_private_segment_fixed_size 0
		.amdhsa_kernarg_size 72
		.amdhsa_user_sgpr_count 2
		.amdhsa_user_sgpr_dispatch_ptr 0
		.amdhsa_user_sgpr_queue_ptr 0
		.amdhsa_user_sgpr_kernarg_segment_ptr 1
		.amdhsa_user_sgpr_dispatch_id 0
		.amdhsa_user_sgpr_kernarg_preload_length 0
		.amdhsa_user_sgpr_kernarg_preload_offset 0
		.amdhsa_user_sgpr_private_segment_size 0
		.amdhsa_wavefront_size32 1
		.amdhsa_uses_dynamic_stack 0
		.amdhsa_enable_private_segment 0
		.amdhsa_system_sgpr_workgroup_id_x 1
		.amdhsa_system_sgpr_workgroup_id_y 0
		.amdhsa_system_sgpr_workgroup_id_z 0
		.amdhsa_system_sgpr_workgroup_info 0
		.amdhsa_system_vgpr_workitem_id 0
		.amdhsa_next_free_vgpr 74
		.amdhsa_next_free_sgpr 14
		.amdhsa_named_barrier_count 0
		.amdhsa_reserve_vcc 1
		.amdhsa_float_round_mode_32 0
		.amdhsa_float_round_mode_16_64 0
		.amdhsa_float_denorm_mode_32 3
		.amdhsa_float_denorm_mode_16_64 3
		.amdhsa_fp16_overflow 0
		.amdhsa_memory_ordered 1
		.amdhsa_forward_progress 1
		.amdhsa_inst_pref_size 19
		.amdhsa_round_robin_scheduling 0
		.amdhsa_exception_fp_ieee_invalid_op 0
		.amdhsa_exception_fp_denorm_src 0
		.amdhsa_exception_fp_ieee_div_zero 0
		.amdhsa_exception_fp_ieee_overflow 0
		.amdhsa_exception_fp_ieee_underflow 0
		.amdhsa_exception_fp_ieee_inexact 0
		.amdhsa_exception_int_div_zero 0
	.end_amdhsa_kernel
	.section	.text._ZN9rocsparseL19gebsrmvn_4xn_kernelILj128ELj5ELj16EdEEvi20rocsparse_direction_NS_24const_host_device_scalarIT2_EEPKiS6_PKS3_S8_S4_PS3_21rocsparse_index_base_b,"axG",@progbits,_ZN9rocsparseL19gebsrmvn_4xn_kernelILj128ELj5ELj16EdEEvi20rocsparse_direction_NS_24const_host_device_scalarIT2_EEPKiS6_PKS3_S8_S4_PS3_21rocsparse_index_base_b,comdat
.Lfunc_end54:
	.size	_ZN9rocsparseL19gebsrmvn_4xn_kernelILj128ELj5ELj16EdEEvi20rocsparse_direction_NS_24const_host_device_scalarIT2_EEPKiS6_PKS3_S8_S4_PS3_21rocsparse_index_base_b, .Lfunc_end54-_ZN9rocsparseL19gebsrmvn_4xn_kernelILj128ELj5ELj16EdEEvi20rocsparse_direction_NS_24const_host_device_scalarIT2_EEPKiS6_PKS3_S8_S4_PS3_21rocsparse_index_base_b
                                        ; -- End function
	.set _ZN9rocsparseL19gebsrmvn_4xn_kernelILj128ELj5ELj16EdEEvi20rocsparse_direction_NS_24const_host_device_scalarIT2_EEPKiS6_PKS3_S8_S4_PS3_21rocsparse_index_base_b.num_vgpr, 74
	.set _ZN9rocsparseL19gebsrmvn_4xn_kernelILj128ELj5ELj16EdEEvi20rocsparse_direction_NS_24const_host_device_scalarIT2_EEPKiS6_PKS3_S8_S4_PS3_21rocsparse_index_base_b.num_agpr, 0
	.set _ZN9rocsparseL19gebsrmvn_4xn_kernelILj128ELj5ELj16EdEEvi20rocsparse_direction_NS_24const_host_device_scalarIT2_EEPKiS6_PKS3_S8_S4_PS3_21rocsparse_index_base_b.numbered_sgpr, 14
	.set _ZN9rocsparseL19gebsrmvn_4xn_kernelILj128ELj5ELj16EdEEvi20rocsparse_direction_NS_24const_host_device_scalarIT2_EEPKiS6_PKS3_S8_S4_PS3_21rocsparse_index_base_b.num_named_barrier, 0
	.set _ZN9rocsparseL19gebsrmvn_4xn_kernelILj128ELj5ELj16EdEEvi20rocsparse_direction_NS_24const_host_device_scalarIT2_EEPKiS6_PKS3_S8_S4_PS3_21rocsparse_index_base_b.private_seg_size, 0
	.set _ZN9rocsparseL19gebsrmvn_4xn_kernelILj128ELj5ELj16EdEEvi20rocsparse_direction_NS_24const_host_device_scalarIT2_EEPKiS6_PKS3_S8_S4_PS3_21rocsparse_index_base_b.uses_vcc, 1
	.set _ZN9rocsparseL19gebsrmvn_4xn_kernelILj128ELj5ELj16EdEEvi20rocsparse_direction_NS_24const_host_device_scalarIT2_EEPKiS6_PKS3_S8_S4_PS3_21rocsparse_index_base_b.uses_flat_scratch, 0
	.set _ZN9rocsparseL19gebsrmvn_4xn_kernelILj128ELj5ELj16EdEEvi20rocsparse_direction_NS_24const_host_device_scalarIT2_EEPKiS6_PKS3_S8_S4_PS3_21rocsparse_index_base_b.has_dyn_sized_stack, 0
	.set _ZN9rocsparseL19gebsrmvn_4xn_kernelILj128ELj5ELj16EdEEvi20rocsparse_direction_NS_24const_host_device_scalarIT2_EEPKiS6_PKS3_S8_S4_PS3_21rocsparse_index_base_b.has_recursion, 0
	.set _ZN9rocsparseL19gebsrmvn_4xn_kernelILj128ELj5ELj16EdEEvi20rocsparse_direction_NS_24const_host_device_scalarIT2_EEPKiS6_PKS3_S8_S4_PS3_21rocsparse_index_base_b.has_indirect_call, 0
	.section	.AMDGPU.csdata,"",@progbits
; Kernel info:
; codeLenInByte = 2332
; TotalNumSgprs: 16
; NumVgprs: 74
; ScratchSize: 0
; MemoryBound: 1
; FloatMode: 240
; IeeeMode: 1
; LDSByteSize: 0 bytes/workgroup (compile time only)
; SGPRBlocks: 0
; VGPRBlocks: 4
; NumSGPRsForWavesPerEU: 16
; NumVGPRsForWavesPerEU: 74
; NamedBarCnt: 0
; Occupancy: 12
; WaveLimiterHint : 1
; COMPUTE_PGM_RSRC2:SCRATCH_EN: 0
; COMPUTE_PGM_RSRC2:USER_SGPR: 2
; COMPUTE_PGM_RSRC2:TRAP_HANDLER: 0
; COMPUTE_PGM_RSRC2:TGID_X_EN: 1
; COMPUTE_PGM_RSRC2:TGID_Y_EN: 0
; COMPUTE_PGM_RSRC2:TGID_Z_EN: 0
; COMPUTE_PGM_RSRC2:TIDIG_COMP_CNT: 0
	.section	.text._ZN9rocsparseL19gebsrmvn_4xn_kernelILj128ELj5ELj32EdEEvi20rocsparse_direction_NS_24const_host_device_scalarIT2_EEPKiS6_PKS3_S8_S4_PS3_21rocsparse_index_base_b,"axG",@progbits,_ZN9rocsparseL19gebsrmvn_4xn_kernelILj128ELj5ELj32EdEEvi20rocsparse_direction_NS_24const_host_device_scalarIT2_EEPKiS6_PKS3_S8_S4_PS3_21rocsparse_index_base_b,comdat
	.globl	_ZN9rocsparseL19gebsrmvn_4xn_kernelILj128ELj5ELj32EdEEvi20rocsparse_direction_NS_24const_host_device_scalarIT2_EEPKiS6_PKS3_S8_S4_PS3_21rocsparse_index_base_b ; -- Begin function _ZN9rocsparseL19gebsrmvn_4xn_kernelILj128ELj5ELj32EdEEvi20rocsparse_direction_NS_24const_host_device_scalarIT2_EEPKiS6_PKS3_S8_S4_PS3_21rocsparse_index_base_b
	.p2align	8
	.type	_ZN9rocsparseL19gebsrmvn_4xn_kernelILj128ELj5ELj32EdEEvi20rocsparse_direction_NS_24const_host_device_scalarIT2_EEPKiS6_PKS3_S8_S4_PS3_21rocsparse_index_base_b,@function
_ZN9rocsparseL19gebsrmvn_4xn_kernelILj128ELj5ELj32EdEEvi20rocsparse_direction_NS_24const_host_device_scalarIT2_EEPKiS6_PKS3_S8_S4_PS3_21rocsparse_index_base_b: ; @_ZN9rocsparseL19gebsrmvn_4xn_kernelILj128ELj5ELj32EdEEvi20rocsparse_direction_NS_24const_host_device_scalarIT2_EEPKiS6_PKS3_S8_S4_PS3_21rocsparse_index_base_b
; %bb.0:
	s_clause 0x2
	s_load_b64 s[12:13], s[0:1], 0x40
	s_load_b64 s[4:5], s[0:1], 0x8
	;; [unrolled: 1-line block ×3, first 2 shown]
	s_wait_kmcnt 0x0
	s_bitcmp1_b32 s13, 0
	v_mov_b64_e32 v[2:3], s[4:5]
	s_cselect_b32 s6, -1, 0
	s_delay_alu instid0(SALU_CYCLE_1)
	s_and_b32 vcc_lo, exec_lo, s6
	s_xor_b32 s6, s6, -1
	s_cbranch_vccnz .LBB55_2
; %bb.1:
	v_mov_b32_e32 v1, 0
	flat_load_b64 v[2:3], v1, s[4:5]
.LBB55_2:
	v_mov_b64_e32 v[4:5], s[2:3]
	s_and_not1_b32 vcc_lo, exec_lo, s6
	s_cbranch_vccnz .LBB55_4
; %bb.3:
	s_wait_xcnt 0x0
	v_mov_b32_e32 v1, 0
	flat_load_b64 v[4:5], v1, s[2:3]
.LBB55_4:
	s_wait_loadcnt_dscnt 0x0
	v_cmp_neq_f64_e32 vcc_lo, 0, v[2:3]
	s_delay_alu instid0(VALU_DEP_2) | instskip(SKIP_1) | instid1(SALU_CYCLE_1)
	v_cmp_neq_f64_e64 s2, 1.0, v[4:5]
	s_or_b32 s2, vcc_lo, s2
	s_and_saveexec_b32 s3, s2
	s_cbranch_execz .LBB55_23
; %bb.5:
	s_load_b64 s[2:3], s[0:1], 0x0
	s_bfe_u32 s4, ttmp6, 0x4000c
	s_and_b32 s5, ttmp6, 15
	s_add_co_i32 s4, s4, 1
	s_getreg_b32 s6, hwreg(HW_REG_IB_STS2, 6, 4)
	s_mul_i32 s4, ttmp9, s4
	v_lshrrev_b32_e32 v1, 5, v0
	s_add_co_i32 s5, s5, s4
	s_cmp_eq_u32 s6, 0
	s_cselect_b32 s4, ttmp9, s5
	s_delay_alu instid0(VALU_DEP_1) | instid1(SALU_CYCLE_1)
	v_lshl_or_b32 v6, s4, 2, v1
	s_wait_kmcnt 0x0
	s_delay_alu instid0(VALU_DEP_1)
	v_cmp_gt_i32_e32 vcc_lo, s2, v6
	s_and_b32 exec_lo, exec_lo, vcc_lo
	s_cbranch_execz .LBB55_23
; %bb.6:
	s_load_b256 s[4:11], s[0:1], 0x10
	v_ashrrev_i32_e32 v7, 31, v6
	s_cmp_lg_u32 s3, 0
	s_wait_kmcnt 0x0
	s_delay_alu instid0(VALU_DEP_1)
	v_lshl_add_u64 v[8:9], v[6:7], 2, s[4:5]
	v_and_b32_e32 v7, 31, v0
	global_load_b64 v[8:9], v[8:9], off
	s_wait_loadcnt 0x0
	v_subrev_nc_u32_e32 v0, s12, v8
	v_subrev_nc_u32_e32 v18, s12, v9
	s_delay_alu instid0(VALU_DEP_2) | instskip(NEXT) | instid1(VALU_DEP_1)
	v_add_nc_u32_e32 v19, v0, v7
	v_cmp_lt_i32_e64 s2, v19, v18
	s_cbranch_scc0 .LBB55_12
; %bb.7:
	v_mov_b64_e32 v[0:1], 0
	v_mov_b64_e32 v[8:9], 0
	;; [unrolled: 1-line block ×4, first 2 shown]
	s_and_saveexec_b32 s3, s2
	s_cbranch_execz .LBB55_11
; %bb.8:
	v_mad_u32 v14, v19, 20, 16
	v_mov_b64_e32 v[0:1], 0
	v_mov_b64_e32 v[8:9], 0
	;; [unrolled: 1-line block ×4, first 2 shown]
	v_dual_mov_b32 v17, 0 :: v_dual_mov_b32 v20, v19
	s_mov_b32 s4, 0
.LBB55_9:                               ; =>This Inner Loop Header: Depth=1
	global_load_b32 v15, v20, s[6:7] scale_offset
	s_wait_xcnt 0x0
	v_add_nc_u32_e32 v20, 32, v20
	s_delay_alu instid0(VALU_DEP_1) | instskip(SKIP_3) | instid1(VALU_DEP_1)
	v_cmp_ge_i32_e32 vcc_lo, v20, v18
	s_or_b32 s4, vcc_lo, s4
	s_wait_loadcnt 0x0
	v_subrev_nc_u32_e32 v15, s12, v15
	v_lshl_add_u32 v21, v15, 2, v15
	s_delay_alu instid0(VALU_DEP_1) | instskip(NEXT) | instid1(VALU_DEP_1)
	v_dual_add_nc_u32 v16, -16, v14 :: v_dual_add_nc_u32 v15, 1, v21
	v_lshl_add_u64 v[30:31], v[16:17], 3, s[8:9]
	v_add_nc_u32_e32 v16, -12, v14
	s_clause 0x1
	global_load_b128 v[22:25], v[30:31], off offset:16
	global_load_b128 v[26:29], v[30:31], off
	global_load_b64 v[62:63], v21, s[10:11] scale_offset
	v_lshl_add_u64 v[38:39], v[16:17], 3, s[8:9]
	v_add_nc_u32_e32 v16, -8, v14
	s_clause 0x1
	global_load_b128 v[30:33], v[38:39], off offset:16
	global_load_b128 v[34:37], v[38:39], off
	global_load_b64 v[64:65], v15, s[10:11] scale_offset
	v_lshl_add_u64 v[46:47], v[16:17], 3, s[8:9]
	s_wait_xcnt 0x0
	v_dual_add_nc_u32 v15, 2, v21 :: v_dual_add_nc_u32 v16, -4, v14
	s_clause 0x1
	global_load_b128 v[38:41], v[46:47], off offset:16
	global_load_b128 v[42:45], v[46:47], off
	global_load_b64 v[66:67], v15, s[10:11] scale_offset
	v_lshl_add_u64 v[54:55], v[16:17], 3, s[8:9]
	s_wait_xcnt 0x0
	v_add_nc_u32_e32 v15, 3, v21
	s_clause 0x1
	global_load_b128 v[46:49], v[54:55], off offset:16
	global_load_b128 v[50:53], v[54:55], off
	global_load_b64 v[68:69], v15, s[10:11] scale_offset
	s_wait_xcnt 0x0
	v_mov_b32_e32 v15, v17
	s_delay_alu instid0(VALU_DEP_1)
	v_lshl_add_u64 v[70:71], v[14:15], 3, s[8:9]
	v_add_nc_u32_e32 v15, 4, v21
	v_add_nc_u32_e32 v14, 0x280, v14
	s_clause 0x1
	global_load_b128 v[54:57], v[70:71], off offset:16
	global_load_b128 v[58:61], v[70:71], off
	global_load_b64 v[72:73], v15, s[10:11] scale_offset
	s_wait_loadcnt 0xc
	v_fmac_f64_e32 v[0:1], v[26:27], v[62:63]
	v_fmac_f64_e32 v[12:13], v[28:29], v[62:63]
	;; [unrolled: 1-line block ×4, first 2 shown]
	s_wait_loadcnt 0x9
	s_delay_alu instid0(VALU_DEP_4) | instskip(NEXT) | instid1(VALU_DEP_4)
	v_fmac_f64_e32 v[0:1], v[34:35], v[64:65]
	v_fmac_f64_e32 v[12:13], v[36:37], v[64:65]
	s_delay_alu instid0(VALU_DEP_4) | instskip(NEXT) | instid1(VALU_DEP_4)
	v_fmac_f64_e32 v[10:11], v[30:31], v[64:65]
	v_fmac_f64_e32 v[8:9], v[32:33], v[64:65]
	s_wait_loadcnt 0x6
	s_delay_alu instid0(VALU_DEP_4) | instskip(NEXT) | instid1(VALU_DEP_4)
	v_fmac_f64_e32 v[0:1], v[42:43], v[66:67]
	v_fmac_f64_e32 v[12:13], v[44:45], v[66:67]
	s_delay_alu instid0(VALU_DEP_4) | instskip(NEXT) | instid1(VALU_DEP_4)
	v_fmac_f64_e32 v[10:11], v[38:39], v[66:67]
	v_fmac_f64_e32 v[8:9], v[40:41], v[66:67]
	;; [unrolled: 7-line block ×4, first 2 shown]
	s_and_not1_b32 exec_lo, exec_lo, s4
	s_cbranch_execnz .LBB55_9
; %bb.10:
	s_or_b32 exec_lo, exec_lo, s4
.LBB55_11:
	s_delay_alu instid0(SALU_CYCLE_1)
	s_or_b32 exec_lo, exec_lo, s3
	s_cbranch_execz .LBB55_13
	s_branch .LBB55_18
.LBB55_12:
                                        ; implicit-def: $vgpr0_vgpr1
                                        ; implicit-def: $vgpr8_vgpr9
                                        ; implicit-def: $vgpr10_vgpr11
                                        ; implicit-def: $vgpr12_vgpr13
.LBB55_13:
	v_mov_b64_e32 v[0:1], 0
	v_mov_b64_e32 v[8:9], 0
	;; [unrolled: 1-line block ×4, first 2 shown]
	s_and_saveexec_b32 s3, s2
	s_cbranch_execz .LBB55_17
; %bb.14:
	v_mad_u32 v16, v19, 20, 19
	v_mov_b64_e32 v[0:1], 0
	v_mov_b64_e32 v[8:9], 0
	;; [unrolled: 1-line block ×4, first 2 shown]
	v_mov_b32_e32 v15, 0
	s_mov_b32 s2, 0
.LBB55_15:                              ; =>This Inner Loop Header: Depth=1
	global_load_b32 v17, v19, s[6:7] scale_offset
	v_subrev_nc_u32_e32 v14, 19, v16
	v_dual_add_nc_u32 v24, -14, v16 :: v_dual_add_nc_u32 v25, -9, v16
	v_dual_add_nc_u32 v26, -4, v16 :: v_dual_add_nc_u32 v56, -6, v16
	s_delay_alu instid0(VALU_DEP_3) | instskip(SKIP_3) | instid1(VALU_DEP_1)
	v_lshl_add_u64 v[28:29], v[14:15], 3, s[8:9]
	v_dual_add_nc_u32 v60, -1, v16 :: v_dual_add_nc_u32 v66, -10, v16
	s_wait_xcnt 0x0
	v_dual_add_nc_u32 v19, 32, v19 :: v_dual_add_nc_u32 v67, -5, v16
	v_cmp_ge_i32_e32 vcc_lo, v19, v18
	s_or_b32 s2, vcc_lo, s2
	s_wait_loadcnt 0x0
	v_subrev_nc_u32_e32 v14, s12, v17
	v_add_nc_u32_e32 v17, -13, v16
	s_clause 0x3
	global_load_b64 v[30:31], v24, s[8:9] scale_offset
	global_load_b64 v[32:33], v25, s[8:9] scale_offset
	global_load_b64 v[34:35], v26, s[8:9] scale_offset
	global_load_b128 v[20:23], v[28:29], off
	s_wait_xcnt 0x2
	v_dual_add_nc_u32 v24, -8, v16 :: v_dual_add_nc_u32 v25, -3, v16
	v_lshl_add_u32 v14, v14, 2, v14
	global_load_b64 v[36:37], v14, s[10:11] scale_offset
	s_clause 0x1
	global_load_b64 v[38:39], v17, s[8:9] scale_offset
	global_load_b64 v[40:41], v24, s[8:9] scale_offset
	s_wait_xcnt 0x0
	v_dual_add_nc_u32 v17, 1, v14 :: v_dual_add_nc_u32 v24, -7, v16
	global_load_b64 v[42:43], v25, s[8:9] scale_offset
	global_load_b64 v[44:45], v17, s[10:11] scale_offset
	s_wait_xcnt 0x0
	v_dual_add_nc_u32 v17, -12, v16 :: v_dual_add_nc_u32 v25, -2, v16
	s_clause 0x2
	global_load_b64 v[46:47], v17, s[8:9] scale_offset
	global_load_b64 v[48:49], v24, s[8:9] scale_offset
	;; [unrolled: 1-line block ×3, first 2 shown]
	s_wait_xcnt 0x2
	v_add_nc_u32_e32 v17, 2, v14
	global_load_b128 v[24:27], v[28:29], off offset:16
	global_load_b64 v[52:53], v17, s[10:11] scale_offset
	s_wait_xcnt 0x0
	v_add_nc_u32_e32 v17, -11, v16
	s_clause 0x1
	global_load_b64 v[28:29], v17, s[8:9] scale_offset
	global_load_b64 v[54:55], v56, s[8:9] scale_offset
	s_wait_xcnt 0x1
	v_add_nc_u32_e32 v17, 3, v14
	global_load_b64 v[56:57], v60, s[8:9] scale_offset
	global_load_b64 v[58:59], v17, s[10:11] scale_offset
	s_wait_xcnt 0x0
	v_dual_add_nc_u32 v14, 4, v14 :: v_dual_add_nc_u32 v17, -15, v16
	s_clause 0x1
	global_load_b64 v[60:61], v16, s[8:9] scale_offset
	global_load_b64 v[62:63], v17, s[8:9] scale_offset
	s_wait_xcnt 0x1
	v_add_nc_u32_e32 v16, 0x280, v16
	s_wait_loadcnt 0xf
	v_fmac_f64_e32 v[12:13], v[30:31], v[36:37]
	s_clause 0x1
	global_load_b64 v[30:31], v66, s[8:9] scale_offset
	global_load_b64 v[64:65], v67, s[8:9] scale_offset
	v_fmac_f64_e32 v[10:11], v[32:33], v[36:37]
	global_load_b64 v[32:33], v14, s[10:11] scale_offset
	v_fmac_f64_e32 v[0:1], v[20:21], v[36:37]
	v_fmac_f64_e32 v[8:9], v[34:35], v[36:37]
	s_wait_loadcnt 0xe
	v_fmac_f64_e32 v[12:13], v[38:39], v[44:45]
	v_fmac_f64_e32 v[10:11], v[40:41], v[44:45]
	s_delay_alu instid0(VALU_DEP_4) | instskip(NEXT) | instid1(VALU_DEP_4)
	v_fmac_f64_e32 v[0:1], v[22:23], v[44:45]
	v_fmac_f64_e32 v[8:9], v[42:43], v[44:45]
	s_wait_loadcnt 0x9
	s_delay_alu instid0(VALU_DEP_4) | instskip(NEXT) | instid1(VALU_DEP_4)
	v_fmac_f64_e32 v[12:13], v[46:47], v[52:53]
	v_fmac_f64_e32 v[10:11], v[48:49], v[52:53]
	s_delay_alu instid0(VALU_DEP_4) | instskip(NEXT) | instid1(VALU_DEP_4)
	v_fmac_f64_e32 v[0:1], v[24:25], v[52:53]
	v_fmac_f64_e32 v[8:9], v[50:51], v[52:53]
	s_wait_loadcnt 0x5
	s_delay_alu instid0(VALU_DEP_4) | instskip(NEXT) | instid1(VALU_DEP_4)
	v_fmac_f64_e32 v[12:13], v[28:29], v[58:59]
	v_fmac_f64_e32 v[10:11], v[54:55], v[58:59]
	s_delay_alu instid0(VALU_DEP_4) | instskip(NEXT) | instid1(VALU_DEP_4)
	v_fmac_f64_e32 v[0:1], v[26:27], v[58:59]
	v_fmac_f64_e32 v[8:9], v[56:57], v[58:59]
	s_wait_loadcnt 0x0
	s_delay_alu instid0(VALU_DEP_2) | instskip(SKIP_2) | instid1(VALU_DEP_4)
	v_fmac_f64_e32 v[0:1], v[62:63], v[32:33]
	v_fmac_f64_e32 v[12:13], v[30:31], v[32:33]
	;; [unrolled: 1-line block ×4, first 2 shown]
	s_and_not1_b32 exec_lo, exec_lo, s2
	s_cbranch_execnz .LBB55_15
; %bb.16:
	s_or_b32 exec_lo, exec_lo, s2
.LBB55_17:
	s_delay_alu instid0(SALU_CYCLE_1)
	s_or_b32 exec_lo, exec_lo, s3
.LBB55_18:
	v_mbcnt_lo_u32_b32 v24, -1, 0
	s_delay_alu instid0(VALU_DEP_1) | instskip(NEXT) | instid1(VALU_DEP_1)
	v_xor_b32_e32 v14, 16, v24
	v_cmp_gt_i32_e32 vcc_lo, 32, v14
	v_cndmask_b32_e32 v14, v24, v14, vcc_lo
	s_delay_alu instid0(VALU_DEP_1)
	v_lshlrev_b32_e32 v21, 2, v14
	ds_bpermute_b32 v16, v21, v12
	ds_bpermute_b32 v17, v21, v13
	s_wait_dscnt 0x0
	v_add_f64_e32 v[12:13], v[12:13], v[16:17]
	ds_bpermute_b32 v14, v21, v0
	ds_bpermute_b32 v15, v21, v1
	;; [unrolled: 1-line block ×6, first 2 shown]
	s_wait_dscnt 0x4
	v_dual_add_f64 v[0:1], v[0:1], v[14:15] :: v_dual_bitop2_b32 v14, 8, v24 bitop3:0x14
	s_wait_dscnt 0x2
	v_add_f64_e32 v[10:11], v[10:11], v[18:19]
	s_delay_alu instid0(VALU_DEP_2) | instskip(SKIP_2) | instid1(VALU_DEP_1)
	v_cmp_gt_i32_e32 vcc_lo, 32, v14
	v_cndmask_b32_e32 v14, v24, v14, vcc_lo
	s_wait_dscnt 0x0
	v_dual_add_f64 v[8:9], v[8:9], v[20:21] :: v_dual_lshlrev_b32 v21, 2, v14
	ds_bpermute_b32 v16, v21, v12
	ds_bpermute_b32 v17, v21, v13
	ds_bpermute_b32 v14, v21, v0
	ds_bpermute_b32 v15, v21, v1
	ds_bpermute_b32 v18, v21, v10
	ds_bpermute_b32 v19, v21, v11
	ds_bpermute_b32 v20, v21, v8
	ds_bpermute_b32 v21, v21, v9
	s_wait_dscnt 0x4
	v_dual_add_f64 v[0:1], v[0:1], v[14:15] :: v_dual_bitop2_b32 v14, 4, v24 bitop3:0x14
	s_wait_dscnt 0x2
	v_add_f64_e32 v[10:11], v[10:11], v[18:19]
	s_delay_alu instid0(VALU_DEP_2) | instskip(SKIP_3) | instid1(VALU_DEP_2)
	v_cmp_gt_i32_e32 vcc_lo, 32, v14
	v_cndmask_b32_e32 v14, v24, v14, vcc_lo
	v_add_f64_e32 v[12:13], v[12:13], v[16:17]
	s_wait_dscnt 0x0
	v_dual_add_f64 v[8:9], v[8:9], v[20:21] :: v_dual_lshlrev_b32 v21, 2, v14
	ds_bpermute_b32 v14, v21, v0
	ds_bpermute_b32 v15, v21, v1
	;; [unrolled: 1-line block ×6, first 2 shown]
	s_wait_dscnt 0x4
	v_add_f64_e32 v[0:1], v[0:1], v[14:15]
	s_wait_dscnt 0x0
	v_add_f64_e32 v[14:15], v[12:13], v[16:17]
	v_dual_add_f64 v[16:17], v[10:11], v[18:19] :: v_dual_bitop2_b32 v10, 2, v24 bitop3:0x14
	s_delay_alu instid0(VALU_DEP_1) | instskip(SKIP_1) | instid1(VALU_DEP_1)
	v_cmp_gt_i32_e32 vcc_lo, 32, v10
	v_cndmask_b32_e32 v10, v24, v10, vcc_lo
	v_lshlrev_b32_e32 v12, 2, v10
	ds_bpermute_b32 v20, v21, v8
	ds_bpermute_b32 v21, v21, v9
	;; [unrolled: 1-line block ×6, first 2 shown]
	s_wait_dscnt 0x4
	v_add_f64_e32 v[8:9], v[8:9], v[20:21]
	ds_bpermute_b32 v20, v12, v16
	ds_bpermute_b32 v21, v12, v17
	ds_bpermute_b32 v22, v12, v8
	ds_bpermute_b32 v23, v12, v9
	s_wait_dscnt 0x6
	v_add_f64_e32 v[12:13], v[0:1], v[10:11]
	s_wait_dscnt 0x4
	v_dual_add_f64 v[10:11], v[14:15], v[18:19] :: v_dual_bitop2_b32 v14, 1, v24 bitop3:0x14
	s_wait_dscnt 0x2
	v_add_f64_e32 v[0:1], v[16:17], v[20:21]
	s_delay_alu instid0(VALU_DEP_2) | instskip(SKIP_2) | instid1(VALU_DEP_2)
	v_cmp_gt_i32_e32 vcc_lo, 32, v14
	v_cndmask_b32_e32 v14, v24, v14, vcc_lo
	v_cmp_eq_u32_e32 vcc_lo, 31, v7
	v_lshlrev_b32_e32 v15, 2, v14
	s_wait_dscnt 0x0
	v_add_f64_e32 v[8:9], v[8:9], v[22:23]
	ds_bpermute_b32 v20, v15, v12
	ds_bpermute_b32 v21, v15, v13
	;; [unrolled: 1-line block ×8, first 2 shown]
	s_and_b32 exec_lo, exec_lo, vcc_lo
	s_cbranch_execz .LBB55_23
; %bb.19:
	s_wait_dscnt 0x6
	v_add_f64_e32 v[12:13], v[12:13], v[20:21]
	s_wait_dscnt 0x4
	v_add_f64_e32 v[10:11], v[10:11], v[18:19]
	;; [unrolled: 2-line block ×4, first 2 shown]
	s_load_b64 s[0:1], s[0:1], 0x38
	s_mov_b32 s2, exec_lo
	v_cmpx_eq_f64_e32 0, v[4:5]
	s_xor_b32 s2, exec_lo, s2
	s_cbranch_execz .LBB55_21
; %bb.20:
	v_dual_mul_f64 v[12:13], v[2:3], v[12:13] :: v_dual_lshlrev_b32 v4, 2, v6
	v_mul_f64_e32 v[14:15], v[2:3], v[10:11]
	v_mul_f64_e32 v[0:1], v[2:3], v[0:1]
	;; [unrolled: 1-line block ×3, first 2 shown]
                                        ; implicit-def: $vgpr6
                                        ; implicit-def: $vgpr10_vgpr11
                                        ; implicit-def: $vgpr8_vgpr9
	s_delay_alu instid0(VALU_DEP_4) | instskip(SKIP_1) | instid1(VALU_DEP_1)
	v_ashrrev_i32_e32 v5, 31, v4
	s_wait_kmcnt 0x0
	v_lshl_add_u64 v[4:5], v[4:5], 3, s[0:1]
	s_clause 0x1
	global_store_b128 v[4:5], v[12:15], off
	global_store_b128 v[4:5], v[0:3], off offset:16
                                        ; implicit-def: $vgpr2_vgpr3
                                        ; implicit-def: $vgpr12_vgpr13
                                        ; implicit-def: $vgpr4_vgpr5
                                        ; implicit-def: $vgpr0_vgpr1
.LBB55_21:
	s_wait_xcnt 0x0
	s_and_not1_saveexec_b32 s2, s2
	s_cbranch_execz .LBB55_23
; %bb.22:
	v_dual_mul_f64 v[22:23], v[2:3], v[12:13] :: v_dual_lshlrev_b32 v6, 2, v6
	v_mul_f64_e32 v[24:25], v[2:3], v[10:11]
	v_mul_f64_e32 v[0:1], v[2:3], v[0:1]
	s_delay_alu instid0(VALU_DEP_3) | instskip(SKIP_1) | instid1(VALU_DEP_1)
	v_dual_mul_f64 v[2:3], v[2:3], v[8:9] :: v_dual_ashrrev_i32 v7, 31, v6
	s_wait_kmcnt 0x0
	v_lshl_add_u64 v[6:7], v[6:7], 3, s[0:1]
	s_clause 0x1
	global_load_b128 v[14:17], v[6:7], off
	global_load_b128 v[18:21], v[6:7], off offset:16
	s_wait_loadcnt 0x1
	v_fmac_f64_e32 v[22:23], v[4:5], v[14:15]
	v_fmac_f64_e32 v[24:25], v[4:5], v[16:17]
	s_wait_loadcnt 0x0
	v_fmac_f64_e32 v[0:1], v[4:5], v[18:19]
	v_fmac_f64_e32 v[2:3], v[4:5], v[20:21]
	s_clause 0x1
	global_store_b128 v[6:7], v[22:25], off
	global_store_b128 v[6:7], v[0:3], off offset:16
.LBB55_23:
	s_sendmsg sendmsg(MSG_DEALLOC_VGPRS)
	s_endpgm
	.section	.rodata,"a",@progbits
	.p2align	6, 0x0
	.amdhsa_kernel _ZN9rocsparseL19gebsrmvn_4xn_kernelILj128ELj5ELj32EdEEvi20rocsparse_direction_NS_24const_host_device_scalarIT2_EEPKiS6_PKS3_S8_S4_PS3_21rocsparse_index_base_b
		.amdhsa_group_segment_fixed_size 0
		.amdhsa_private_segment_fixed_size 0
		.amdhsa_kernarg_size 72
		.amdhsa_user_sgpr_count 2
		.amdhsa_user_sgpr_dispatch_ptr 0
		.amdhsa_user_sgpr_queue_ptr 0
		.amdhsa_user_sgpr_kernarg_segment_ptr 1
		.amdhsa_user_sgpr_dispatch_id 0
		.amdhsa_user_sgpr_kernarg_preload_length 0
		.amdhsa_user_sgpr_kernarg_preload_offset 0
		.amdhsa_user_sgpr_private_segment_size 0
		.amdhsa_wavefront_size32 1
		.amdhsa_uses_dynamic_stack 0
		.amdhsa_enable_private_segment 0
		.amdhsa_system_sgpr_workgroup_id_x 1
		.amdhsa_system_sgpr_workgroup_id_y 0
		.amdhsa_system_sgpr_workgroup_id_z 0
		.amdhsa_system_sgpr_workgroup_info 0
		.amdhsa_system_vgpr_workitem_id 0
		.amdhsa_next_free_vgpr 74
		.amdhsa_next_free_sgpr 14
		.amdhsa_named_barrier_count 0
		.amdhsa_reserve_vcc 1
		.amdhsa_float_round_mode_32 0
		.amdhsa_float_round_mode_16_64 0
		.amdhsa_float_denorm_mode_32 3
		.amdhsa_float_denorm_mode_16_64 3
		.amdhsa_fp16_overflow 0
		.amdhsa_memory_ordered 1
		.amdhsa_forward_progress 1
		.amdhsa_inst_pref_size 20
		.amdhsa_round_robin_scheduling 0
		.amdhsa_exception_fp_ieee_invalid_op 0
		.amdhsa_exception_fp_denorm_src 0
		.amdhsa_exception_fp_ieee_div_zero 0
		.amdhsa_exception_fp_ieee_overflow 0
		.amdhsa_exception_fp_ieee_underflow 0
		.amdhsa_exception_fp_ieee_inexact 0
		.amdhsa_exception_int_div_zero 0
	.end_amdhsa_kernel
	.section	.text._ZN9rocsparseL19gebsrmvn_4xn_kernelILj128ELj5ELj32EdEEvi20rocsparse_direction_NS_24const_host_device_scalarIT2_EEPKiS6_PKS3_S8_S4_PS3_21rocsparse_index_base_b,"axG",@progbits,_ZN9rocsparseL19gebsrmvn_4xn_kernelILj128ELj5ELj32EdEEvi20rocsparse_direction_NS_24const_host_device_scalarIT2_EEPKiS6_PKS3_S8_S4_PS3_21rocsparse_index_base_b,comdat
.Lfunc_end55:
	.size	_ZN9rocsparseL19gebsrmvn_4xn_kernelILj128ELj5ELj32EdEEvi20rocsparse_direction_NS_24const_host_device_scalarIT2_EEPKiS6_PKS3_S8_S4_PS3_21rocsparse_index_base_b, .Lfunc_end55-_ZN9rocsparseL19gebsrmvn_4xn_kernelILj128ELj5ELj32EdEEvi20rocsparse_direction_NS_24const_host_device_scalarIT2_EEPKiS6_PKS3_S8_S4_PS3_21rocsparse_index_base_b
                                        ; -- End function
	.set _ZN9rocsparseL19gebsrmvn_4xn_kernelILj128ELj5ELj32EdEEvi20rocsparse_direction_NS_24const_host_device_scalarIT2_EEPKiS6_PKS3_S8_S4_PS3_21rocsparse_index_base_b.num_vgpr, 74
	.set _ZN9rocsparseL19gebsrmvn_4xn_kernelILj128ELj5ELj32EdEEvi20rocsparse_direction_NS_24const_host_device_scalarIT2_EEPKiS6_PKS3_S8_S4_PS3_21rocsparse_index_base_b.num_agpr, 0
	.set _ZN9rocsparseL19gebsrmvn_4xn_kernelILj128ELj5ELj32EdEEvi20rocsparse_direction_NS_24const_host_device_scalarIT2_EEPKiS6_PKS3_S8_S4_PS3_21rocsparse_index_base_b.numbered_sgpr, 14
	.set _ZN9rocsparseL19gebsrmvn_4xn_kernelILj128ELj5ELj32EdEEvi20rocsparse_direction_NS_24const_host_device_scalarIT2_EEPKiS6_PKS3_S8_S4_PS3_21rocsparse_index_base_b.num_named_barrier, 0
	.set _ZN9rocsparseL19gebsrmvn_4xn_kernelILj128ELj5ELj32EdEEvi20rocsparse_direction_NS_24const_host_device_scalarIT2_EEPKiS6_PKS3_S8_S4_PS3_21rocsparse_index_base_b.private_seg_size, 0
	.set _ZN9rocsparseL19gebsrmvn_4xn_kernelILj128ELj5ELj32EdEEvi20rocsparse_direction_NS_24const_host_device_scalarIT2_EEPKiS6_PKS3_S8_S4_PS3_21rocsparse_index_base_b.uses_vcc, 1
	.set _ZN9rocsparseL19gebsrmvn_4xn_kernelILj128ELj5ELj32EdEEvi20rocsparse_direction_NS_24const_host_device_scalarIT2_EEPKiS6_PKS3_S8_S4_PS3_21rocsparse_index_base_b.uses_flat_scratch, 0
	.set _ZN9rocsparseL19gebsrmvn_4xn_kernelILj128ELj5ELj32EdEEvi20rocsparse_direction_NS_24const_host_device_scalarIT2_EEPKiS6_PKS3_S8_S4_PS3_21rocsparse_index_base_b.has_dyn_sized_stack, 0
	.set _ZN9rocsparseL19gebsrmvn_4xn_kernelILj128ELj5ELj32EdEEvi20rocsparse_direction_NS_24const_host_device_scalarIT2_EEPKiS6_PKS3_S8_S4_PS3_21rocsparse_index_base_b.has_recursion, 0
	.set _ZN9rocsparseL19gebsrmvn_4xn_kernelILj128ELj5ELj32EdEEvi20rocsparse_direction_NS_24const_host_device_scalarIT2_EEPKiS6_PKS3_S8_S4_PS3_21rocsparse_index_base_b.has_indirect_call, 0
	.section	.AMDGPU.csdata,"",@progbits
; Kernel info:
; codeLenInByte = 2452
; TotalNumSgprs: 16
; NumVgprs: 74
; ScratchSize: 0
; MemoryBound: 1
; FloatMode: 240
; IeeeMode: 1
; LDSByteSize: 0 bytes/workgroup (compile time only)
; SGPRBlocks: 0
; VGPRBlocks: 4
; NumSGPRsForWavesPerEU: 16
; NumVGPRsForWavesPerEU: 74
; NamedBarCnt: 0
; Occupancy: 12
; WaveLimiterHint : 1
; COMPUTE_PGM_RSRC2:SCRATCH_EN: 0
; COMPUTE_PGM_RSRC2:USER_SGPR: 2
; COMPUTE_PGM_RSRC2:TRAP_HANDLER: 0
; COMPUTE_PGM_RSRC2:TGID_X_EN: 1
; COMPUTE_PGM_RSRC2:TGID_Y_EN: 0
; COMPUTE_PGM_RSRC2:TGID_Z_EN: 0
; COMPUTE_PGM_RSRC2:TIDIG_COMP_CNT: 0
	.section	.text._ZN9rocsparseL19gebsrmvn_4xn_kernelILj128ELj5ELj64EdEEvi20rocsparse_direction_NS_24const_host_device_scalarIT2_EEPKiS6_PKS3_S8_S4_PS3_21rocsparse_index_base_b,"axG",@progbits,_ZN9rocsparseL19gebsrmvn_4xn_kernelILj128ELj5ELj64EdEEvi20rocsparse_direction_NS_24const_host_device_scalarIT2_EEPKiS6_PKS3_S8_S4_PS3_21rocsparse_index_base_b,comdat
	.globl	_ZN9rocsparseL19gebsrmvn_4xn_kernelILj128ELj5ELj64EdEEvi20rocsparse_direction_NS_24const_host_device_scalarIT2_EEPKiS6_PKS3_S8_S4_PS3_21rocsparse_index_base_b ; -- Begin function _ZN9rocsparseL19gebsrmvn_4xn_kernelILj128ELj5ELj64EdEEvi20rocsparse_direction_NS_24const_host_device_scalarIT2_EEPKiS6_PKS3_S8_S4_PS3_21rocsparse_index_base_b
	.p2align	8
	.type	_ZN9rocsparseL19gebsrmvn_4xn_kernelILj128ELj5ELj64EdEEvi20rocsparse_direction_NS_24const_host_device_scalarIT2_EEPKiS6_PKS3_S8_S4_PS3_21rocsparse_index_base_b,@function
_ZN9rocsparseL19gebsrmvn_4xn_kernelILj128ELj5ELj64EdEEvi20rocsparse_direction_NS_24const_host_device_scalarIT2_EEPKiS6_PKS3_S8_S4_PS3_21rocsparse_index_base_b: ; @_ZN9rocsparseL19gebsrmvn_4xn_kernelILj128ELj5ELj64EdEEvi20rocsparse_direction_NS_24const_host_device_scalarIT2_EEPKiS6_PKS3_S8_S4_PS3_21rocsparse_index_base_b
; %bb.0:
	s_clause 0x2
	s_load_b64 s[12:13], s[0:1], 0x40
	s_load_b64 s[4:5], s[0:1], 0x8
	;; [unrolled: 1-line block ×3, first 2 shown]
	s_wait_kmcnt 0x0
	s_bitcmp1_b32 s13, 0
	v_mov_b64_e32 v[2:3], s[4:5]
	s_cselect_b32 s6, -1, 0
	s_delay_alu instid0(SALU_CYCLE_1)
	s_and_b32 vcc_lo, exec_lo, s6
	s_xor_b32 s6, s6, -1
	s_cbranch_vccnz .LBB56_2
; %bb.1:
	v_mov_b32_e32 v1, 0
	flat_load_b64 v[2:3], v1, s[4:5]
.LBB56_2:
	v_mov_b64_e32 v[4:5], s[2:3]
	s_and_not1_b32 vcc_lo, exec_lo, s6
	s_cbranch_vccnz .LBB56_4
; %bb.3:
	s_wait_xcnt 0x0
	v_mov_b32_e32 v1, 0
	flat_load_b64 v[4:5], v1, s[2:3]
.LBB56_4:
	s_wait_loadcnt_dscnt 0x0
	v_cmp_neq_f64_e32 vcc_lo, 0, v[2:3]
	s_delay_alu instid0(VALU_DEP_2) | instskip(SKIP_1) | instid1(SALU_CYCLE_1)
	v_cmp_neq_f64_e64 s2, 1.0, v[4:5]
	s_or_b32 s2, vcc_lo, s2
	s_and_saveexec_b32 s3, s2
	s_cbranch_execz .LBB56_23
; %bb.5:
	s_load_b64 s[2:3], s[0:1], 0x0
	s_bfe_u32 s4, ttmp6, 0x4000c
	s_and_b32 s5, ttmp6, 15
	s_add_co_i32 s4, s4, 1
	s_getreg_b32 s6, hwreg(HW_REG_IB_STS2, 6, 4)
	s_mul_i32 s4, ttmp9, s4
	v_lshrrev_b32_e32 v1, 6, v0
	s_add_co_i32 s5, s5, s4
	s_cmp_eq_u32 s6, 0
	s_cselect_b32 s4, ttmp9, s5
	s_delay_alu instid0(VALU_DEP_1) | instid1(SALU_CYCLE_1)
	v_lshl_or_b32 v6, s4, 1, v1
	s_wait_kmcnt 0x0
	s_delay_alu instid0(VALU_DEP_1)
	v_cmp_gt_i32_e32 vcc_lo, s2, v6
	s_and_b32 exec_lo, exec_lo, vcc_lo
	s_cbranch_execz .LBB56_23
; %bb.6:
	s_load_b256 s[4:11], s[0:1], 0x10
	v_ashrrev_i32_e32 v7, 31, v6
	s_cmp_lg_u32 s3, 0
	s_wait_kmcnt 0x0
	s_delay_alu instid0(VALU_DEP_1)
	v_lshl_add_u64 v[8:9], v[6:7], 2, s[4:5]
	v_and_b32_e32 v7, 63, v0
	global_load_b64 v[8:9], v[8:9], off
	s_wait_loadcnt 0x0
	v_subrev_nc_u32_e32 v0, s12, v8
	v_subrev_nc_u32_e32 v18, s12, v9
	s_delay_alu instid0(VALU_DEP_2) | instskip(NEXT) | instid1(VALU_DEP_1)
	v_add_nc_u32_e32 v19, v0, v7
	v_cmp_lt_i32_e64 s2, v19, v18
	s_cbranch_scc0 .LBB56_12
; %bb.7:
	v_mov_b64_e32 v[0:1], 0
	v_mov_b64_e32 v[8:9], 0
	;; [unrolled: 1-line block ×4, first 2 shown]
	s_and_saveexec_b32 s3, s2
	s_cbranch_execz .LBB56_11
; %bb.8:
	v_mad_u32 v14, v19, 20, 16
	v_mov_b64_e32 v[0:1], 0
	v_mov_b64_e32 v[8:9], 0
	;; [unrolled: 1-line block ×4, first 2 shown]
	v_dual_mov_b32 v17, 0 :: v_dual_mov_b32 v20, v19
	s_mov_b32 s4, 0
.LBB56_9:                               ; =>This Inner Loop Header: Depth=1
	global_load_b32 v15, v20, s[6:7] scale_offset
	s_wait_xcnt 0x0
	v_add_nc_u32_e32 v20, 64, v20
	s_delay_alu instid0(VALU_DEP_1) | instskip(SKIP_3) | instid1(VALU_DEP_1)
	v_cmp_ge_i32_e32 vcc_lo, v20, v18
	s_or_b32 s4, vcc_lo, s4
	s_wait_loadcnt 0x0
	v_subrev_nc_u32_e32 v15, s12, v15
	v_lshl_add_u32 v21, v15, 2, v15
	s_delay_alu instid0(VALU_DEP_1) | instskip(NEXT) | instid1(VALU_DEP_1)
	v_dual_add_nc_u32 v16, -16, v14 :: v_dual_add_nc_u32 v15, 1, v21
	v_lshl_add_u64 v[30:31], v[16:17], 3, s[8:9]
	v_add_nc_u32_e32 v16, -12, v14
	s_clause 0x1
	global_load_b128 v[22:25], v[30:31], off offset:16
	global_load_b128 v[26:29], v[30:31], off
	global_load_b64 v[62:63], v21, s[10:11] scale_offset
	v_lshl_add_u64 v[38:39], v[16:17], 3, s[8:9]
	v_add_nc_u32_e32 v16, -8, v14
	s_clause 0x1
	global_load_b128 v[30:33], v[38:39], off offset:16
	global_load_b128 v[34:37], v[38:39], off
	global_load_b64 v[64:65], v15, s[10:11] scale_offset
	v_lshl_add_u64 v[46:47], v[16:17], 3, s[8:9]
	s_wait_xcnt 0x0
	v_dual_add_nc_u32 v15, 2, v21 :: v_dual_add_nc_u32 v16, -4, v14
	s_clause 0x1
	global_load_b128 v[38:41], v[46:47], off offset:16
	global_load_b128 v[42:45], v[46:47], off
	global_load_b64 v[66:67], v15, s[10:11] scale_offset
	v_lshl_add_u64 v[54:55], v[16:17], 3, s[8:9]
	s_wait_xcnt 0x0
	v_add_nc_u32_e32 v15, 3, v21
	s_clause 0x1
	global_load_b128 v[46:49], v[54:55], off offset:16
	global_load_b128 v[50:53], v[54:55], off
	global_load_b64 v[68:69], v15, s[10:11] scale_offset
	s_wait_xcnt 0x0
	v_mov_b32_e32 v15, v17
	s_delay_alu instid0(VALU_DEP_1)
	v_lshl_add_u64 v[70:71], v[14:15], 3, s[8:9]
	v_add_nc_u32_e32 v15, 4, v21
	v_add_nc_u32_e32 v14, 0x500, v14
	s_clause 0x1
	global_load_b128 v[54:57], v[70:71], off offset:16
	global_load_b128 v[58:61], v[70:71], off
	global_load_b64 v[72:73], v15, s[10:11] scale_offset
	s_wait_loadcnt 0xc
	v_fmac_f64_e32 v[0:1], v[26:27], v[62:63]
	v_fmac_f64_e32 v[12:13], v[28:29], v[62:63]
	;; [unrolled: 1-line block ×4, first 2 shown]
	s_wait_loadcnt 0x9
	s_delay_alu instid0(VALU_DEP_4) | instskip(NEXT) | instid1(VALU_DEP_4)
	v_fmac_f64_e32 v[0:1], v[34:35], v[64:65]
	v_fmac_f64_e32 v[12:13], v[36:37], v[64:65]
	s_delay_alu instid0(VALU_DEP_4) | instskip(NEXT) | instid1(VALU_DEP_4)
	v_fmac_f64_e32 v[10:11], v[30:31], v[64:65]
	v_fmac_f64_e32 v[8:9], v[32:33], v[64:65]
	s_wait_loadcnt 0x6
	s_delay_alu instid0(VALU_DEP_4) | instskip(NEXT) | instid1(VALU_DEP_4)
	v_fmac_f64_e32 v[0:1], v[42:43], v[66:67]
	v_fmac_f64_e32 v[12:13], v[44:45], v[66:67]
	s_delay_alu instid0(VALU_DEP_4) | instskip(NEXT) | instid1(VALU_DEP_4)
	v_fmac_f64_e32 v[10:11], v[38:39], v[66:67]
	v_fmac_f64_e32 v[8:9], v[40:41], v[66:67]
	;; [unrolled: 7-line block ×4, first 2 shown]
	s_and_not1_b32 exec_lo, exec_lo, s4
	s_cbranch_execnz .LBB56_9
; %bb.10:
	s_or_b32 exec_lo, exec_lo, s4
.LBB56_11:
	s_delay_alu instid0(SALU_CYCLE_1)
	s_or_b32 exec_lo, exec_lo, s3
	s_cbranch_execz .LBB56_13
	s_branch .LBB56_18
.LBB56_12:
                                        ; implicit-def: $vgpr0_vgpr1
                                        ; implicit-def: $vgpr8_vgpr9
                                        ; implicit-def: $vgpr10_vgpr11
                                        ; implicit-def: $vgpr12_vgpr13
.LBB56_13:
	v_mov_b64_e32 v[0:1], 0
	v_mov_b64_e32 v[8:9], 0
	;; [unrolled: 1-line block ×4, first 2 shown]
	s_and_saveexec_b32 s3, s2
	s_cbranch_execz .LBB56_17
; %bb.14:
	v_mad_u32 v16, v19, 20, 19
	v_mov_b64_e32 v[0:1], 0
	v_mov_b64_e32 v[8:9], 0
	;; [unrolled: 1-line block ×4, first 2 shown]
	v_mov_b32_e32 v15, 0
	s_mov_b32 s2, 0
.LBB56_15:                              ; =>This Inner Loop Header: Depth=1
	global_load_b32 v17, v19, s[6:7] scale_offset
	v_subrev_nc_u32_e32 v14, 19, v16
	v_dual_add_nc_u32 v24, -14, v16 :: v_dual_add_nc_u32 v25, -9, v16
	v_dual_add_nc_u32 v26, -4, v16 :: v_dual_add_nc_u32 v56, -6, v16
	s_delay_alu instid0(VALU_DEP_3) | instskip(SKIP_3) | instid1(VALU_DEP_1)
	v_lshl_add_u64 v[28:29], v[14:15], 3, s[8:9]
	v_dual_add_nc_u32 v60, -1, v16 :: v_dual_add_nc_u32 v66, -10, v16
	s_wait_xcnt 0x0
	v_dual_add_nc_u32 v19, 64, v19 :: v_dual_add_nc_u32 v67, -5, v16
	v_cmp_ge_i32_e32 vcc_lo, v19, v18
	s_or_b32 s2, vcc_lo, s2
	s_wait_loadcnt 0x0
	v_subrev_nc_u32_e32 v14, s12, v17
	v_add_nc_u32_e32 v17, -13, v16
	s_clause 0x3
	global_load_b64 v[30:31], v24, s[8:9] scale_offset
	global_load_b64 v[32:33], v25, s[8:9] scale_offset
	;; [unrolled: 1-line block ×3, first 2 shown]
	global_load_b128 v[20:23], v[28:29], off
	s_wait_xcnt 0x2
	v_dual_add_nc_u32 v24, -8, v16 :: v_dual_add_nc_u32 v25, -3, v16
	v_lshl_add_u32 v14, v14, 2, v14
	global_load_b64 v[36:37], v14, s[10:11] scale_offset
	s_clause 0x1
	global_load_b64 v[38:39], v17, s[8:9] scale_offset
	global_load_b64 v[40:41], v24, s[8:9] scale_offset
	s_wait_xcnt 0x0
	v_dual_add_nc_u32 v17, 1, v14 :: v_dual_add_nc_u32 v24, -7, v16
	global_load_b64 v[42:43], v25, s[8:9] scale_offset
	global_load_b64 v[44:45], v17, s[10:11] scale_offset
	s_wait_xcnt 0x0
	v_dual_add_nc_u32 v17, -12, v16 :: v_dual_add_nc_u32 v25, -2, v16
	s_clause 0x2
	global_load_b64 v[46:47], v17, s[8:9] scale_offset
	global_load_b64 v[48:49], v24, s[8:9] scale_offset
	;; [unrolled: 1-line block ×3, first 2 shown]
	s_wait_xcnt 0x2
	v_add_nc_u32_e32 v17, 2, v14
	global_load_b128 v[24:27], v[28:29], off offset:16
	global_load_b64 v[52:53], v17, s[10:11] scale_offset
	s_wait_xcnt 0x0
	v_add_nc_u32_e32 v17, -11, v16
	s_clause 0x1
	global_load_b64 v[28:29], v17, s[8:9] scale_offset
	global_load_b64 v[54:55], v56, s[8:9] scale_offset
	s_wait_xcnt 0x1
	v_add_nc_u32_e32 v17, 3, v14
	global_load_b64 v[56:57], v60, s[8:9] scale_offset
	global_load_b64 v[58:59], v17, s[10:11] scale_offset
	s_wait_xcnt 0x0
	v_dual_add_nc_u32 v14, 4, v14 :: v_dual_add_nc_u32 v17, -15, v16
	s_clause 0x1
	global_load_b64 v[60:61], v16, s[8:9] scale_offset
	global_load_b64 v[62:63], v17, s[8:9] scale_offset
	s_wait_xcnt 0x1
	v_add_nc_u32_e32 v16, 0x500, v16
	s_wait_loadcnt 0xf
	v_fmac_f64_e32 v[12:13], v[30:31], v[36:37]
	s_clause 0x1
	global_load_b64 v[30:31], v66, s[8:9] scale_offset
	global_load_b64 v[64:65], v67, s[8:9] scale_offset
	v_fmac_f64_e32 v[10:11], v[32:33], v[36:37]
	global_load_b64 v[32:33], v14, s[10:11] scale_offset
	v_fmac_f64_e32 v[0:1], v[20:21], v[36:37]
	v_fmac_f64_e32 v[8:9], v[34:35], v[36:37]
	s_wait_loadcnt 0xe
	v_fmac_f64_e32 v[12:13], v[38:39], v[44:45]
	v_fmac_f64_e32 v[10:11], v[40:41], v[44:45]
	s_delay_alu instid0(VALU_DEP_4) | instskip(NEXT) | instid1(VALU_DEP_4)
	v_fmac_f64_e32 v[0:1], v[22:23], v[44:45]
	v_fmac_f64_e32 v[8:9], v[42:43], v[44:45]
	s_wait_loadcnt 0x9
	s_delay_alu instid0(VALU_DEP_4) | instskip(NEXT) | instid1(VALU_DEP_4)
	v_fmac_f64_e32 v[12:13], v[46:47], v[52:53]
	v_fmac_f64_e32 v[10:11], v[48:49], v[52:53]
	s_delay_alu instid0(VALU_DEP_4) | instskip(NEXT) | instid1(VALU_DEP_4)
	v_fmac_f64_e32 v[0:1], v[24:25], v[52:53]
	v_fmac_f64_e32 v[8:9], v[50:51], v[52:53]
	s_wait_loadcnt 0x5
	s_delay_alu instid0(VALU_DEP_4) | instskip(NEXT) | instid1(VALU_DEP_4)
	v_fmac_f64_e32 v[12:13], v[28:29], v[58:59]
	v_fmac_f64_e32 v[10:11], v[54:55], v[58:59]
	s_delay_alu instid0(VALU_DEP_4) | instskip(NEXT) | instid1(VALU_DEP_4)
	v_fmac_f64_e32 v[0:1], v[26:27], v[58:59]
	v_fmac_f64_e32 v[8:9], v[56:57], v[58:59]
	s_wait_loadcnt 0x0
	s_delay_alu instid0(VALU_DEP_2) | instskip(SKIP_2) | instid1(VALU_DEP_4)
	v_fmac_f64_e32 v[0:1], v[62:63], v[32:33]
	v_fmac_f64_e32 v[12:13], v[30:31], v[32:33]
	;; [unrolled: 1-line block ×4, first 2 shown]
	s_and_not1_b32 exec_lo, exec_lo, s2
	s_cbranch_execnz .LBB56_15
; %bb.16:
	s_or_b32 exec_lo, exec_lo, s2
.LBB56_17:
	s_delay_alu instid0(SALU_CYCLE_1)
	s_or_b32 exec_lo, exec_lo, s3
.LBB56_18:
	v_mbcnt_lo_u32_b32 v24, -1, 0
	s_delay_alu instid0(VALU_DEP_1) | instskip(NEXT) | instid1(VALU_DEP_1)
	v_or_b32_e32 v14, 32, v24
	v_cmp_gt_i32_e32 vcc_lo, 32, v14
	v_cndmask_b32_e32 v14, v24, v14, vcc_lo
	s_delay_alu instid0(VALU_DEP_1)
	v_lshlrev_b32_e32 v21, 2, v14
	ds_bpermute_b32 v16, v21, v12
	ds_bpermute_b32 v17, v21, v13
	s_wait_dscnt 0x0
	v_add_f64_e32 v[12:13], v[12:13], v[16:17]
	ds_bpermute_b32 v14, v21, v0
	ds_bpermute_b32 v15, v21, v1
	;; [unrolled: 1-line block ×6, first 2 shown]
	s_wait_dscnt 0x4
	v_dual_add_f64 v[0:1], v[0:1], v[14:15] :: v_dual_bitop2_b32 v14, 16, v24 bitop3:0x14
	s_wait_dscnt 0x2
	v_add_f64_e32 v[10:11], v[10:11], v[18:19]
	s_delay_alu instid0(VALU_DEP_2) | instskip(SKIP_2) | instid1(VALU_DEP_1)
	v_cmp_gt_i32_e32 vcc_lo, 32, v14
	v_cndmask_b32_e32 v14, v24, v14, vcc_lo
	s_wait_dscnt 0x0
	v_dual_add_f64 v[8:9], v[8:9], v[20:21] :: v_dual_lshlrev_b32 v21, 2, v14
	ds_bpermute_b32 v16, v21, v12
	ds_bpermute_b32 v17, v21, v13
	;; [unrolled: 1-line block ×8, first 2 shown]
	s_wait_dscnt 0x4
	v_dual_add_f64 v[0:1], v[0:1], v[14:15] :: v_dual_bitop2_b32 v14, 8, v24 bitop3:0x14
	s_wait_dscnt 0x2
	v_add_f64_e32 v[10:11], v[10:11], v[18:19]
	s_delay_alu instid0(VALU_DEP_2) | instskip(SKIP_3) | instid1(VALU_DEP_2)
	v_cmp_gt_i32_e32 vcc_lo, 32, v14
	v_cndmask_b32_e32 v14, v24, v14, vcc_lo
	v_add_f64_e32 v[12:13], v[12:13], v[16:17]
	s_wait_dscnt 0x0
	v_dual_add_f64 v[8:9], v[8:9], v[20:21] :: v_dual_lshlrev_b32 v21, 2, v14
	ds_bpermute_b32 v14, v21, v0
	ds_bpermute_b32 v15, v21, v1
	;; [unrolled: 1-line block ×5, first 2 shown]
	s_wait_dscnt 0x3
	v_dual_add_f64 v[0:1], v[0:1], v[14:15] :: v_dual_bitop2_b32 v14, 4, v24 bitop3:0x14
	ds_bpermute_b32 v18, v21, v10
	ds_bpermute_b32 v19, v21, v11
	;; [unrolled: 1-line block ×3, first 2 shown]
	v_cmp_gt_i32_e32 vcc_lo, 32, v14
	v_cndmask_b32_e32 v14, v24, v14, vcc_lo
	s_wait_dscnt 0x4
	v_add_f64_e32 v[12:13], v[12:13], v[16:17]
	s_wait_dscnt 0x1
	v_add_f64_e32 v[10:11], v[10:11], v[18:19]
	s_wait_dscnt 0x0
	v_dual_add_f64 v[8:9], v[8:9], v[20:21] :: v_dual_lshlrev_b32 v21, 2, v14
	ds_bpermute_b32 v14, v21, v0
	ds_bpermute_b32 v15, v21, v1
	;; [unrolled: 1-line block ×4, first 2 shown]
	s_wait_dscnt 0x2
	v_add_f64_e32 v[0:1], v[0:1], v[14:15]
	ds_bpermute_b32 v18, v21, v10
	ds_bpermute_b32 v19, v21, v11
	s_wait_dscnt 0x2
	v_add_f64_e32 v[14:15], v[12:13], v[16:17]
	s_wait_dscnt 0x0
	v_dual_add_f64 v[16:17], v[10:11], v[18:19] :: v_dual_bitop2_b32 v10, 2, v24 bitop3:0x14
	s_delay_alu instid0(VALU_DEP_1) | instskip(SKIP_1) | instid1(VALU_DEP_1)
	v_cmp_gt_i32_e32 vcc_lo, 32, v10
	v_cndmask_b32_e32 v10, v24, v10, vcc_lo
	v_lshlrev_b32_e32 v12, 2, v10
	ds_bpermute_b32 v20, v21, v8
	ds_bpermute_b32 v21, v21, v9
	;; [unrolled: 1-line block ×6, first 2 shown]
	s_wait_dscnt 0x4
	v_add_f64_e32 v[8:9], v[8:9], v[20:21]
	ds_bpermute_b32 v20, v12, v16
	ds_bpermute_b32 v21, v12, v17
	;; [unrolled: 1-line block ×4, first 2 shown]
	s_wait_dscnt 0x6
	v_add_f64_e32 v[12:13], v[0:1], v[10:11]
	s_wait_dscnt 0x4
	v_add_f64_e32 v[10:11], v[14:15], v[18:19]
	;; [unrolled: 2-line block ×3, first 2 shown]
	v_xor_b32_e32 v14, 1, v24
	s_delay_alu instid0(VALU_DEP_1) | instskip(SKIP_2) | instid1(VALU_DEP_2)
	v_cmp_gt_i32_e32 vcc_lo, 32, v14
	v_cndmask_b32_e32 v14, v24, v14, vcc_lo
	v_cmp_eq_u32_e32 vcc_lo, 63, v7
	v_lshlrev_b32_e32 v15, 2, v14
	s_wait_dscnt 0x0
	v_add_f64_e32 v[8:9], v[8:9], v[22:23]
	ds_bpermute_b32 v20, v15, v12
	ds_bpermute_b32 v21, v15, v13
	ds_bpermute_b32 v18, v15, v10
	ds_bpermute_b32 v19, v15, v11
	ds_bpermute_b32 v16, v15, v0
	ds_bpermute_b32 v17, v15, v1
	ds_bpermute_b32 v14, v15, v8
	ds_bpermute_b32 v15, v15, v9
	s_and_b32 exec_lo, exec_lo, vcc_lo
	s_cbranch_execz .LBB56_23
; %bb.19:
	s_wait_dscnt 0x6
	v_add_f64_e32 v[12:13], v[12:13], v[20:21]
	s_wait_dscnt 0x4
	v_add_f64_e32 v[10:11], v[10:11], v[18:19]
	;; [unrolled: 2-line block ×4, first 2 shown]
	s_load_b64 s[0:1], s[0:1], 0x38
	s_mov_b32 s2, exec_lo
	v_cmpx_eq_f64_e32 0, v[4:5]
	s_xor_b32 s2, exec_lo, s2
	s_cbranch_execz .LBB56_21
; %bb.20:
	v_dual_mul_f64 v[12:13], v[2:3], v[12:13] :: v_dual_lshlrev_b32 v4, 2, v6
	v_mul_f64_e32 v[14:15], v[2:3], v[10:11]
	v_mul_f64_e32 v[0:1], v[2:3], v[0:1]
	;; [unrolled: 1-line block ×3, first 2 shown]
                                        ; implicit-def: $vgpr6
                                        ; implicit-def: $vgpr10_vgpr11
                                        ; implicit-def: $vgpr8_vgpr9
	s_delay_alu instid0(VALU_DEP_4) | instskip(SKIP_1) | instid1(VALU_DEP_1)
	v_ashrrev_i32_e32 v5, 31, v4
	s_wait_kmcnt 0x0
	v_lshl_add_u64 v[4:5], v[4:5], 3, s[0:1]
	s_clause 0x1
	global_store_b128 v[4:5], v[12:15], off
	global_store_b128 v[4:5], v[0:3], off offset:16
                                        ; implicit-def: $vgpr2_vgpr3
                                        ; implicit-def: $vgpr12_vgpr13
                                        ; implicit-def: $vgpr4_vgpr5
                                        ; implicit-def: $vgpr0_vgpr1
.LBB56_21:
	s_wait_xcnt 0x0
	s_and_not1_saveexec_b32 s2, s2
	s_cbranch_execz .LBB56_23
; %bb.22:
	v_dual_mul_f64 v[22:23], v[2:3], v[12:13] :: v_dual_lshlrev_b32 v6, 2, v6
	v_mul_f64_e32 v[24:25], v[2:3], v[10:11]
	v_mul_f64_e32 v[0:1], v[2:3], v[0:1]
	s_delay_alu instid0(VALU_DEP_3) | instskip(SKIP_1) | instid1(VALU_DEP_1)
	v_dual_mul_f64 v[2:3], v[2:3], v[8:9] :: v_dual_ashrrev_i32 v7, 31, v6
	s_wait_kmcnt 0x0
	v_lshl_add_u64 v[6:7], v[6:7], 3, s[0:1]
	s_clause 0x1
	global_load_b128 v[14:17], v[6:7], off
	global_load_b128 v[18:21], v[6:7], off offset:16
	s_wait_loadcnt 0x1
	v_fmac_f64_e32 v[22:23], v[4:5], v[14:15]
	v_fmac_f64_e32 v[24:25], v[4:5], v[16:17]
	s_wait_loadcnt 0x0
	v_fmac_f64_e32 v[0:1], v[4:5], v[18:19]
	v_fmac_f64_e32 v[2:3], v[4:5], v[20:21]
	s_clause 0x1
	global_store_b128 v[6:7], v[22:25], off
	global_store_b128 v[6:7], v[0:3], off offset:16
.LBB56_23:
	s_sendmsg sendmsg(MSG_DEALLOC_VGPRS)
	s_endpgm
	.section	.rodata,"a",@progbits
	.p2align	6, 0x0
	.amdhsa_kernel _ZN9rocsparseL19gebsrmvn_4xn_kernelILj128ELj5ELj64EdEEvi20rocsparse_direction_NS_24const_host_device_scalarIT2_EEPKiS6_PKS3_S8_S4_PS3_21rocsparse_index_base_b
		.amdhsa_group_segment_fixed_size 0
		.amdhsa_private_segment_fixed_size 0
		.amdhsa_kernarg_size 72
		.amdhsa_user_sgpr_count 2
		.amdhsa_user_sgpr_dispatch_ptr 0
		.amdhsa_user_sgpr_queue_ptr 0
		.amdhsa_user_sgpr_kernarg_segment_ptr 1
		.amdhsa_user_sgpr_dispatch_id 0
		.amdhsa_user_sgpr_kernarg_preload_length 0
		.amdhsa_user_sgpr_kernarg_preload_offset 0
		.amdhsa_user_sgpr_private_segment_size 0
		.amdhsa_wavefront_size32 1
		.amdhsa_uses_dynamic_stack 0
		.amdhsa_enable_private_segment 0
		.amdhsa_system_sgpr_workgroup_id_x 1
		.amdhsa_system_sgpr_workgroup_id_y 0
		.amdhsa_system_sgpr_workgroup_id_z 0
		.amdhsa_system_sgpr_workgroup_info 0
		.amdhsa_system_vgpr_workitem_id 0
		.amdhsa_next_free_vgpr 74
		.amdhsa_next_free_sgpr 14
		.amdhsa_named_barrier_count 0
		.amdhsa_reserve_vcc 1
		.amdhsa_float_round_mode_32 0
		.amdhsa_float_round_mode_16_64 0
		.amdhsa_float_denorm_mode_32 3
		.amdhsa_float_denorm_mode_16_64 3
		.amdhsa_fp16_overflow 0
		.amdhsa_memory_ordered 1
		.amdhsa_forward_progress 1
		.amdhsa_inst_pref_size 21
		.amdhsa_round_robin_scheduling 0
		.amdhsa_exception_fp_ieee_invalid_op 0
		.amdhsa_exception_fp_denorm_src 0
		.amdhsa_exception_fp_ieee_div_zero 0
		.amdhsa_exception_fp_ieee_overflow 0
		.amdhsa_exception_fp_ieee_underflow 0
		.amdhsa_exception_fp_ieee_inexact 0
		.amdhsa_exception_int_div_zero 0
	.end_amdhsa_kernel
	.section	.text._ZN9rocsparseL19gebsrmvn_4xn_kernelILj128ELj5ELj64EdEEvi20rocsparse_direction_NS_24const_host_device_scalarIT2_EEPKiS6_PKS3_S8_S4_PS3_21rocsparse_index_base_b,"axG",@progbits,_ZN9rocsparseL19gebsrmvn_4xn_kernelILj128ELj5ELj64EdEEvi20rocsparse_direction_NS_24const_host_device_scalarIT2_EEPKiS6_PKS3_S8_S4_PS3_21rocsparse_index_base_b,comdat
.Lfunc_end56:
	.size	_ZN9rocsparseL19gebsrmvn_4xn_kernelILj128ELj5ELj64EdEEvi20rocsparse_direction_NS_24const_host_device_scalarIT2_EEPKiS6_PKS3_S8_S4_PS3_21rocsparse_index_base_b, .Lfunc_end56-_ZN9rocsparseL19gebsrmvn_4xn_kernelILj128ELj5ELj64EdEEvi20rocsparse_direction_NS_24const_host_device_scalarIT2_EEPKiS6_PKS3_S8_S4_PS3_21rocsparse_index_base_b
                                        ; -- End function
	.set _ZN9rocsparseL19gebsrmvn_4xn_kernelILj128ELj5ELj64EdEEvi20rocsparse_direction_NS_24const_host_device_scalarIT2_EEPKiS6_PKS3_S8_S4_PS3_21rocsparse_index_base_b.num_vgpr, 74
	.set _ZN9rocsparseL19gebsrmvn_4xn_kernelILj128ELj5ELj64EdEEvi20rocsparse_direction_NS_24const_host_device_scalarIT2_EEPKiS6_PKS3_S8_S4_PS3_21rocsparse_index_base_b.num_agpr, 0
	.set _ZN9rocsparseL19gebsrmvn_4xn_kernelILj128ELj5ELj64EdEEvi20rocsparse_direction_NS_24const_host_device_scalarIT2_EEPKiS6_PKS3_S8_S4_PS3_21rocsparse_index_base_b.numbered_sgpr, 14
	.set _ZN9rocsparseL19gebsrmvn_4xn_kernelILj128ELj5ELj64EdEEvi20rocsparse_direction_NS_24const_host_device_scalarIT2_EEPKiS6_PKS3_S8_S4_PS3_21rocsparse_index_base_b.num_named_barrier, 0
	.set _ZN9rocsparseL19gebsrmvn_4xn_kernelILj128ELj5ELj64EdEEvi20rocsparse_direction_NS_24const_host_device_scalarIT2_EEPKiS6_PKS3_S8_S4_PS3_21rocsparse_index_base_b.private_seg_size, 0
	.set _ZN9rocsparseL19gebsrmvn_4xn_kernelILj128ELj5ELj64EdEEvi20rocsparse_direction_NS_24const_host_device_scalarIT2_EEPKiS6_PKS3_S8_S4_PS3_21rocsparse_index_base_b.uses_vcc, 1
	.set _ZN9rocsparseL19gebsrmvn_4xn_kernelILj128ELj5ELj64EdEEvi20rocsparse_direction_NS_24const_host_device_scalarIT2_EEPKiS6_PKS3_S8_S4_PS3_21rocsparse_index_base_b.uses_flat_scratch, 0
	.set _ZN9rocsparseL19gebsrmvn_4xn_kernelILj128ELj5ELj64EdEEvi20rocsparse_direction_NS_24const_host_device_scalarIT2_EEPKiS6_PKS3_S8_S4_PS3_21rocsparse_index_base_b.has_dyn_sized_stack, 0
	.set _ZN9rocsparseL19gebsrmvn_4xn_kernelILj128ELj5ELj64EdEEvi20rocsparse_direction_NS_24const_host_device_scalarIT2_EEPKiS6_PKS3_S8_S4_PS3_21rocsparse_index_base_b.has_recursion, 0
	.set _ZN9rocsparseL19gebsrmvn_4xn_kernelILj128ELj5ELj64EdEEvi20rocsparse_direction_NS_24const_host_device_scalarIT2_EEPKiS6_PKS3_S8_S4_PS3_21rocsparse_index_base_b.has_indirect_call, 0
	.section	.AMDGPU.csdata,"",@progbits
; Kernel info:
; codeLenInByte = 2572
; TotalNumSgprs: 16
; NumVgprs: 74
; ScratchSize: 0
; MemoryBound: 1
; FloatMode: 240
; IeeeMode: 1
; LDSByteSize: 0 bytes/workgroup (compile time only)
; SGPRBlocks: 0
; VGPRBlocks: 4
; NumSGPRsForWavesPerEU: 16
; NumVGPRsForWavesPerEU: 74
; NamedBarCnt: 0
; Occupancy: 12
; WaveLimiterHint : 1
; COMPUTE_PGM_RSRC2:SCRATCH_EN: 0
; COMPUTE_PGM_RSRC2:USER_SGPR: 2
; COMPUTE_PGM_RSRC2:TRAP_HANDLER: 0
; COMPUTE_PGM_RSRC2:TGID_X_EN: 1
; COMPUTE_PGM_RSRC2:TGID_Y_EN: 0
; COMPUTE_PGM_RSRC2:TGID_Z_EN: 0
; COMPUTE_PGM_RSRC2:TIDIG_COMP_CNT: 0
	.section	.text._ZN9rocsparseL19gebsrmvn_4xn_kernelILj128ELj6ELj4EdEEvi20rocsparse_direction_NS_24const_host_device_scalarIT2_EEPKiS6_PKS3_S8_S4_PS3_21rocsparse_index_base_b,"axG",@progbits,_ZN9rocsparseL19gebsrmvn_4xn_kernelILj128ELj6ELj4EdEEvi20rocsparse_direction_NS_24const_host_device_scalarIT2_EEPKiS6_PKS3_S8_S4_PS3_21rocsparse_index_base_b,comdat
	.globl	_ZN9rocsparseL19gebsrmvn_4xn_kernelILj128ELj6ELj4EdEEvi20rocsparse_direction_NS_24const_host_device_scalarIT2_EEPKiS6_PKS3_S8_S4_PS3_21rocsparse_index_base_b ; -- Begin function _ZN9rocsparseL19gebsrmvn_4xn_kernelILj128ELj6ELj4EdEEvi20rocsparse_direction_NS_24const_host_device_scalarIT2_EEPKiS6_PKS3_S8_S4_PS3_21rocsparse_index_base_b
	.p2align	8
	.type	_ZN9rocsparseL19gebsrmvn_4xn_kernelILj128ELj6ELj4EdEEvi20rocsparse_direction_NS_24const_host_device_scalarIT2_EEPKiS6_PKS3_S8_S4_PS3_21rocsparse_index_base_b,@function
_ZN9rocsparseL19gebsrmvn_4xn_kernelILj128ELj6ELj4EdEEvi20rocsparse_direction_NS_24const_host_device_scalarIT2_EEPKiS6_PKS3_S8_S4_PS3_21rocsparse_index_base_b: ; @_ZN9rocsparseL19gebsrmvn_4xn_kernelILj128ELj6ELj4EdEEvi20rocsparse_direction_NS_24const_host_device_scalarIT2_EEPKiS6_PKS3_S8_S4_PS3_21rocsparse_index_base_b
; %bb.0:
	s_clause 0x2
	s_load_b64 s[12:13], s[0:1], 0x40
	s_load_b64 s[4:5], s[0:1], 0x8
	;; [unrolled: 1-line block ×3, first 2 shown]
	s_wait_kmcnt 0x0
	s_bitcmp1_b32 s13, 0
	v_mov_b64_e32 v[2:3], s[4:5]
	s_cselect_b32 s6, -1, 0
	s_delay_alu instid0(SALU_CYCLE_1)
	s_and_b32 vcc_lo, exec_lo, s6
	s_xor_b32 s6, s6, -1
	s_cbranch_vccnz .LBB57_2
; %bb.1:
	v_mov_b32_e32 v1, 0
	flat_load_b64 v[2:3], v1, s[4:5]
.LBB57_2:
	v_mov_b64_e32 v[4:5], s[2:3]
	s_and_not1_b32 vcc_lo, exec_lo, s6
	s_cbranch_vccnz .LBB57_4
; %bb.3:
	s_wait_xcnt 0x0
	v_mov_b32_e32 v1, 0
	flat_load_b64 v[4:5], v1, s[2:3]
.LBB57_4:
	s_wait_loadcnt_dscnt 0x0
	v_cmp_neq_f64_e32 vcc_lo, 0, v[2:3]
	s_delay_alu instid0(VALU_DEP_2) | instskip(SKIP_1) | instid1(SALU_CYCLE_1)
	v_cmp_neq_f64_e64 s2, 1.0, v[4:5]
	s_or_b32 s2, vcc_lo, s2
	s_and_saveexec_b32 s3, s2
	s_cbranch_execz .LBB57_23
; %bb.5:
	s_load_b64 s[2:3], s[0:1], 0x0
	s_bfe_u32 s4, ttmp6, 0x4000c
	s_and_b32 s5, ttmp6, 15
	s_add_co_i32 s4, s4, 1
	s_getreg_b32 s6, hwreg(HW_REG_IB_STS2, 6, 4)
	s_mul_i32 s4, ttmp9, s4
	v_lshrrev_b32_e32 v1, 2, v0
	s_add_co_i32 s5, s5, s4
	s_cmp_eq_u32 s6, 0
	s_cselect_b32 s4, ttmp9, s5
	s_delay_alu instid0(VALU_DEP_1) | instid1(SALU_CYCLE_1)
	v_lshl_or_b32 v6, s4, 5, v1
	s_wait_kmcnt 0x0
	s_delay_alu instid0(VALU_DEP_1)
	v_cmp_gt_i32_e32 vcc_lo, s2, v6
	s_and_b32 exec_lo, exec_lo, vcc_lo
	s_cbranch_execz .LBB57_23
; %bb.6:
	s_load_b256 s[4:11], s[0:1], 0x10
	v_ashrrev_i32_e32 v7, 31, v6
	s_cmp_lg_u32 s3, 0
	s_wait_kmcnt 0x0
	s_delay_alu instid0(VALU_DEP_1)
	v_lshl_add_u64 v[8:9], v[6:7], 2, s[4:5]
	v_and_b32_e32 v7, 3, v0
	global_load_b64 v[8:9], v[8:9], off
	s_wait_loadcnt 0x0
	v_subrev_nc_u32_e32 v0, s12, v8
	v_subrev_nc_u32_e32 v18, s12, v9
	s_delay_alu instid0(VALU_DEP_2) | instskip(NEXT) | instid1(VALU_DEP_1)
	v_add_nc_u32_e32 v19, v0, v7
	v_cmp_lt_i32_e64 s2, v19, v18
	s_cbranch_scc0 .LBB57_12
; %bb.7:
	v_mov_b64_e32 v[0:1], 0
	v_mov_b64_e32 v[8:9], 0
	;; [unrolled: 1-line block ×4, first 2 shown]
	s_and_saveexec_b32 s3, s2
	s_cbranch_execz .LBB57_11
; %bb.8:
	v_mad_u32 v14, v19, 24, 20
	v_mov_b64_e32 v[0:1], 0
	v_mov_b64_e32 v[8:9], 0
	;; [unrolled: 1-line block ×4, first 2 shown]
	v_dual_mov_b32 v17, 0 :: v_dual_mov_b32 v20, v19
	s_mov_b32 s4, 0
.LBB57_9:                               ; =>This Inner Loop Header: Depth=1
	global_load_b32 v15, v20, s[6:7] scale_offset
	v_subrev_nc_u32_e32 v16, 20, v14
	s_wait_xcnt 0x0
	v_dual_mov_b32 v63, v17 :: v_dual_add_nc_u32 v20, 4, v20
	s_delay_alu instid0(VALU_DEP_2) | instskip(SKIP_1) | instid1(VALU_DEP_3)
	v_lshl_add_u64 v[42:43], v[16:17], 3, s[8:9]
	v_add_nc_u32_e32 v16, -12, v14
	v_cmp_ge_i32_e32 vcc_lo, v20, v18
	global_load_b128 v[22:25], v[42:43], off offset:16
	v_lshl_add_u64 v[54:55], v[16:17], 3, s[8:9]
	s_or_b32 s4, vcc_lo, s4
	s_wait_loadcnt 0x1
	v_subrev_nc_u32_e32 v15, s12, v15
	s_delay_alu instid0(VALU_DEP_1) | instskip(SKIP_1) | instid1(VALU_DEP_1)
	v_mul_lo_u32 v62, v15, 6
	v_mov_b32_e32 v15, v17
	v_lshl_add_u64 v[82:83], v[14:15], 3, s[8:9]
	s_delay_alu instid0(VALU_DEP_3)
	v_lshl_add_u64 v[44:45], v[62:63], 3, s[10:11]
	global_load_b128 v[26:29], v[42:43], off
	global_load_b128 v[30:33], v[44:45], off
	s_clause 0x1
	global_load_b128 v[34:37], v[42:43], off offset:32
	global_load_b128 v[38:41], v[42:43], off offset:48
	v_add_nc_u32_e32 v16, 2, v62
	global_load_b128 v[42:45], v[54:55], off offset:16
	v_lshl_add_u64 v[56:57], v[16:17], 3, s[10:11]
	global_load_b128 v[46:49], v[54:55], off
	global_load_b128 v[50:53], v[56:57], off
	v_add_nc_u32_e32 v16, -8, v14
	s_delay_alu instid0(VALU_DEP_1)
	v_lshl_add_u64 v[64:65], v[16:17], 3, s[8:9]
	s_clause 0x1
	global_load_b128 v[54:57], v[64:65], off
	global_load_b128 v[58:61], v[64:65], off offset:16
	v_add_nc_u32_e32 v16, -4, v14
	v_add_nc_u32_e32 v14, 0x60, v14
	s_delay_alu instid0(VALU_DEP_2) | instskip(SKIP_1) | instid1(VALU_DEP_1)
	v_lshl_add_u64 v[74:75], v[16:17], 3, s[8:9]
	v_add_nc_u32_e32 v16, 4, v62
	v_lshl_add_u64 v[76:77], v[16:17], 3, s[10:11]
	s_clause 0x1
	global_load_b128 v[62:65], v[74:75], off offset:16
	global_load_b128 v[66:69], v[74:75], off
	global_load_b128 v[70:73], v[76:77], off
	s_clause 0x1
	global_load_b128 v[74:77], v[82:83], off
	global_load_b128 v[78:81], v[82:83], off offset:16
	s_wait_loadcnt 0xc
	v_fmac_f64_e32 v[0:1], v[26:27], v[30:31]
	v_fmac_f64_e32 v[12:13], v[28:29], v[30:31]
	;; [unrolled: 1-line block ×4, first 2 shown]
	s_wait_loadcnt 0xb
	s_delay_alu instid0(VALU_DEP_4) | instskip(NEXT) | instid1(VALU_DEP_4)
	v_fmac_f64_e32 v[0:1], v[34:35], v[32:33]
	v_fmac_f64_e32 v[12:13], v[36:37], v[32:33]
	s_wait_loadcnt 0xa
	s_delay_alu instid0(VALU_DEP_4) | instskip(NEXT) | instid1(VALU_DEP_4)
	v_fmac_f64_e32 v[10:11], v[38:39], v[32:33]
	v_fmac_f64_e32 v[8:9], v[40:41], v[32:33]
	;; [unrolled: 4-line block ×3, first 2 shown]
	s_delay_alu instid0(VALU_DEP_4) | instskip(NEXT) | instid1(VALU_DEP_4)
	v_fmac_f64_e32 v[10:11], v[42:43], v[50:51]
	v_fmac_f64_e32 v[8:9], v[44:45], v[50:51]
	s_wait_loadcnt 0x6
	s_delay_alu instid0(VALU_DEP_4) | instskip(NEXT) | instid1(VALU_DEP_4)
	v_fmac_f64_e32 v[0:1], v[54:55], v[52:53]
	v_fmac_f64_e32 v[12:13], v[56:57], v[52:53]
	s_wait_loadcnt 0x5
	;; [unrolled: 4-line block ×3, first 2 shown]
	s_delay_alu instid0(VALU_DEP_4) | instskip(NEXT) | instid1(VALU_DEP_4)
	v_fmac_f64_e32 v[0:1], v[66:67], v[70:71]
	v_fmac_f64_e32 v[12:13], v[68:69], v[70:71]
	s_delay_alu instid0(VALU_DEP_4) | instskip(NEXT) | instid1(VALU_DEP_4)
	v_fmac_f64_e32 v[10:11], v[62:63], v[70:71]
	v_fmac_f64_e32 v[8:9], v[64:65], v[70:71]
	s_wait_loadcnt 0x1
	s_delay_alu instid0(VALU_DEP_4) | instskip(NEXT) | instid1(VALU_DEP_4)
	v_fmac_f64_e32 v[0:1], v[74:75], v[72:73]
	v_fmac_f64_e32 v[12:13], v[76:77], v[72:73]
	s_wait_loadcnt 0x0
	s_delay_alu instid0(VALU_DEP_4) | instskip(NEXT) | instid1(VALU_DEP_4)
	v_fmac_f64_e32 v[10:11], v[78:79], v[72:73]
	v_fmac_f64_e32 v[8:9], v[80:81], v[72:73]
	s_and_not1_b32 exec_lo, exec_lo, s4
	s_cbranch_execnz .LBB57_9
; %bb.10:
	s_or_b32 exec_lo, exec_lo, s4
.LBB57_11:
	s_delay_alu instid0(SALU_CYCLE_1)
	s_or_b32 exec_lo, exec_lo, s3
	s_cbranch_execz .LBB57_13
	s_branch .LBB57_18
.LBB57_12:
                                        ; implicit-def: $vgpr0_vgpr1
                                        ; implicit-def: $vgpr8_vgpr9
                                        ; implicit-def: $vgpr10_vgpr11
                                        ; implicit-def: $vgpr12_vgpr13
.LBB57_13:
	v_mov_b64_e32 v[0:1], 0
	v_mov_b64_e32 v[8:9], 0
	;; [unrolled: 1-line block ×4, first 2 shown]
	s_and_saveexec_b32 s3, s2
	s_cbranch_execz .LBB57_17
; %bb.14:
	v_mad_u32 v16, v19, 24, 23
	v_mov_b64_e32 v[0:1], 0
	v_mov_b64_e32 v[8:9], 0
	;; [unrolled: 1-line block ×4, first 2 shown]
	v_mov_b32_e32 v15, 0
	s_mov_b32 s2, 0
.LBB57_15:                              ; =>This Inner Loop Header: Depth=1
	global_load_b32 v17, v19, s[6:7] scale_offset
	v_subrev_nc_u32_e32 v14, 23, v16
	v_dual_mov_b32 v41, v15 :: v_dual_add_nc_u32 v28, -11, v16
	s_wait_xcnt 0x0
	v_dual_add_nc_u32 v29, -5, v16 :: v_dual_add_nc_u32 v19, 4, v19
	s_delay_alu instid0(VALU_DEP_3)
	v_lshl_add_u64 v[48:49], v[14:15], 3, s[8:9]
	v_add_nc_u32_e32 v14, -10, v16
	s_clause 0x3
	global_load_b64 v[50:51], v28, s[8:9] scale_offset
	global_load_b64 v[52:53], v29, s[8:9] scale_offset
	global_load_b128 v[20:23], v[48:49], off offset:48
	global_load_b128 v[24:27], v[48:49], off offset:16
	v_cmp_ge_i32_e32 vcc_lo, v19, v18
	s_or_b32 s2, vcc_lo, s2
	s_wait_loadcnt 0x4
	v_subrev_nc_u32_e32 v17, s12, v17
	s_delay_alu instid0(VALU_DEP_1) | instskip(SKIP_1) | instid1(VALU_DEP_2)
	v_mul_lo_u32 v40, v17, 6
	v_add_nc_u32_e32 v17, -4, v16
	v_lshl_add_u64 v[36:37], v[40:41], 3, s[10:11]
	global_load_b128 v[28:31], v[48:49], off
	global_load_b128 v[32:35], v[36:37], off
	s_clause 0x1
	global_load_b64 v[54:55], v14, s[8:9] scale_offset
	global_load_b64 v[56:57], v17, s[8:9] scale_offset
	s_wait_xcnt 0x0
	v_dual_add_nc_u32 v14, -15, v16 :: v_dual_add_nc_u32 v17, -9, v16
	v_add_nc_u32_e32 v41, -3, v16
	s_clause 0x1
	global_load_b64 v[58:59], v14, s[8:9] scale_offset
	global_load_b64 v[60:61], v17, s[8:9] scale_offset
	s_wait_xcnt 0x1
	v_add_nc_u32_e32 v14, 2, v40
	s_wait_xcnt 0x0
	v_add_nc_u32_e32 v17, -8, v16
	s_delay_alu instid0(VALU_DEP_2)
	v_lshl_add_u64 v[42:43], v[14:15], 3, s[10:11]
	global_load_b64 v[62:63], v41, s[8:9] scale_offset
	global_load_b128 v[36:39], v[42:43], off
	s_wait_xcnt 0x1
	v_dual_add_nc_u32 v14, -14, v16 :: v_dual_add_nc_u32 v41, -2, v16
	s_clause 0x2
	global_load_b64 v[64:65], v14, s[8:9] scale_offset
	global_load_b64 v[66:67], v17, s[8:9] scale_offset
	;; [unrolled: 1-line block ×3, first 2 shown]
	s_wait_xcnt 0x1
	v_dual_add_nc_u32 v14, -13, v16 :: v_dual_add_nc_u32 v17, -7, v16
	s_wait_xcnt 0x0
	v_add_nc_u32_e32 v41, -1, v16
	s_clause 0x1
	global_load_b64 v[70:71], v14, s[8:9] scale_offset
	global_load_b64 v[72:73], v17, s[8:9] scale_offset
	s_wait_xcnt 0x1
	v_add_nc_u32_e32 v14, 4, v40
	global_load_b64 v[74:75], v41, s[8:9] scale_offset
	s_wait_xcnt 0x1
	v_add_nc_u32_e32 v17, -6, v16
	v_lshl_add_u64 v[76:77], v[14:15], 3, s[10:11]
	global_load_b128 v[40:43], v[48:49], off offset:32
	global_load_b128 v[44:47], v[76:77], off
	v_add_nc_u32_e32 v14, -12, v16
	s_clause 0x2
	global_load_b64 v[48:49], v14, s[8:9] scale_offset
	global_load_b64 v[76:77], v17, s[8:9] scale_offset
	;; [unrolled: 1-line block ×3, first 2 shown]
	s_wait_xcnt 0x0
	v_add_nc_u32_e32 v16, 0x60, v16
	s_wait_loadcnt 0x11
	v_fmac_f64_e32 v[0:1], v[28:29], v[32:33]
	v_fmac_f64_e32 v[12:13], v[20:21], v[32:33]
	v_fmac_f64_e32 v[10:11], v[50:51], v[32:33]
	v_fmac_f64_e32 v[8:9], v[52:53], v[32:33]
	s_delay_alu instid0(VALU_DEP_4) | instskip(NEXT) | instid1(VALU_DEP_4)
	v_fmac_f64_e32 v[0:1], v[30:31], v[34:35]
	v_fmac_f64_e32 v[12:13], v[22:23], v[34:35]
	s_wait_loadcnt 0x10
	s_delay_alu instid0(VALU_DEP_4) | instskip(SKIP_1) | instid1(VALU_DEP_4)
	v_fmac_f64_e32 v[10:11], v[54:55], v[34:35]
	s_wait_loadcnt 0xf
	v_fmac_f64_e32 v[8:9], v[56:57], v[34:35]
	s_wait_loadcnt 0xb
	s_delay_alu instid0(VALU_DEP_4) | instskip(NEXT) | instid1(VALU_DEP_4)
	v_fmac_f64_e32 v[0:1], v[24:25], v[36:37]
	v_fmac_f64_e32 v[12:13], v[58:59], v[36:37]
	s_delay_alu instid0(VALU_DEP_4) | instskip(NEXT) | instid1(VALU_DEP_4)
	v_fmac_f64_e32 v[10:11], v[60:61], v[36:37]
	v_fmac_f64_e32 v[8:9], v[62:63], v[36:37]
	s_delay_alu instid0(VALU_DEP_4) | instskip(SKIP_1) | instid1(VALU_DEP_4)
	v_fmac_f64_e32 v[0:1], v[26:27], v[38:39]
	s_wait_loadcnt 0xa
	v_fmac_f64_e32 v[12:13], v[64:65], v[38:39]
	s_wait_loadcnt 0x9
	s_delay_alu instid0(VALU_DEP_4) | instskip(SKIP_1) | instid1(VALU_DEP_4)
	v_fmac_f64_e32 v[10:11], v[66:67], v[38:39]
	s_wait_loadcnt 0x8
	v_fmac_f64_e32 v[8:9], v[68:69], v[38:39]
	s_wait_loadcnt 0x3
	s_delay_alu instid0(VALU_DEP_4) | instskip(NEXT) | instid1(VALU_DEP_4)
	v_fmac_f64_e32 v[0:1], v[40:41], v[44:45]
	v_fmac_f64_e32 v[12:13], v[70:71], v[44:45]
	s_delay_alu instid0(VALU_DEP_4) | instskip(NEXT) | instid1(VALU_DEP_4)
	v_fmac_f64_e32 v[10:11], v[72:73], v[44:45]
	v_fmac_f64_e32 v[8:9], v[74:75], v[44:45]
	s_delay_alu instid0(VALU_DEP_4) | instskip(SKIP_1) | instid1(VALU_DEP_4)
	v_fmac_f64_e32 v[0:1], v[42:43], v[46:47]
	s_wait_loadcnt 0x2
	v_fmac_f64_e32 v[12:13], v[48:49], v[46:47]
	s_wait_loadcnt 0x1
	s_delay_alu instid0(VALU_DEP_4) | instskip(SKIP_1) | instid1(VALU_DEP_4)
	v_fmac_f64_e32 v[10:11], v[76:77], v[46:47]
	s_wait_loadcnt 0x0
	v_fmac_f64_e32 v[8:9], v[78:79], v[46:47]
	s_and_not1_b32 exec_lo, exec_lo, s2
	s_cbranch_execnz .LBB57_15
; %bb.16:
	s_or_b32 exec_lo, exec_lo, s2
.LBB57_17:
	s_delay_alu instid0(SALU_CYCLE_1)
	s_or_b32 exec_lo, exec_lo, s3
.LBB57_18:
	v_mbcnt_lo_u32_b32 v24, -1, 0
	s_delay_alu instid0(VALU_DEP_1) | instskip(NEXT) | instid1(VALU_DEP_1)
	v_xor_b32_e32 v14, 2, v24
	v_cmp_gt_i32_e32 vcc_lo, 32, v14
	v_cndmask_b32_e32 v14, v24, v14, vcc_lo
	s_delay_alu instid0(VALU_DEP_1)
	v_lshlrev_b32_e32 v16, 2, v14
	ds_bpermute_b32 v14, v16, v0
	ds_bpermute_b32 v15, v16, v1
	;; [unrolled: 1-line block ×8, first 2 shown]
	s_wait_dscnt 0x6
	v_add_f64_e32 v[16:17], v[0:1], v[14:15]
	s_wait_dscnt 0x4
	v_add_f64_e32 v[14:15], v[12:13], v[18:19]
	;; [unrolled: 2-line block ×3, first 2 shown]
	s_wait_dscnt 0x0
	v_dual_add_f64 v[8:9], v[8:9], v[22:23] :: v_dual_bitop2_b32 v10, 1, v24 bitop3:0x14
	s_delay_alu instid0(VALU_DEP_1) | instskip(SKIP_2) | instid1(VALU_DEP_2)
	v_cmp_gt_i32_e32 vcc_lo, 32, v10
	v_cndmask_b32_e32 v10, v24, v10, vcc_lo
	v_cmp_eq_u32_e32 vcc_lo, 3, v7
	v_lshlrev_b32_e32 v19, 2, v10
	ds_bpermute_b32 v12, v19, v16
	ds_bpermute_b32 v13, v19, v17
	;; [unrolled: 1-line block ×8, first 2 shown]
	s_and_b32 exec_lo, exec_lo, vcc_lo
	s_cbranch_execz .LBB57_23
; %bb.19:
	s_wait_dscnt 0x6
	v_add_f64_e32 v[12:13], v[16:17], v[12:13]
	s_wait_dscnt 0x4
	v_add_f64_e32 v[10:11], v[14:15], v[10:11]
	;; [unrolled: 2-line block ×4, first 2 shown]
	s_load_b64 s[0:1], s[0:1], 0x38
	s_mov_b32 s2, exec_lo
	v_cmpx_eq_f64_e32 0, v[4:5]
	s_xor_b32 s2, exec_lo, s2
	s_cbranch_execz .LBB57_21
; %bb.20:
	v_dual_mul_f64 v[12:13], v[2:3], v[12:13] :: v_dual_lshlrev_b32 v4, 2, v6
	v_mul_f64_e32 v[14:15], v[2:3], v[10:11]
	v_mul_f64_e32 v[0:1], v[2:3], v[0:1]
	;; [unrolled: 1-line block ×3, first 2 shown]
                                        ; implicit-def: $vgpr6
                                        ; implicit-def: $vgpr10_vgpr11
                                        ; implicit-def: $vgpr8_vgpr9
	s_delay_alu instid0(VALU_DEP_4) | instskip(SKIP_1) | instid1(VALU_DEP_1)
	v_ashrrev_i32_e32 v5, 31, v4
	s_wait_kmcnt 0x0
	v_lshl_add_u64 v[4:5], v[4:5], 3, s[0:1]
	s_clause 0x1
	global_store_b128 v[4:5], v[12:15], off
	global_store_b128 v[4:5], v[0:3], off offset:16
                                        ; implicit-def: $vgpr2_vgpr3
                                        ; implicit-def: $vgpr12_vgpr13
                                        ; implicit-def: $vgpr4_vgpr5
                                        ; implicit-def: $vgpr0_vgpr1
.LBB57_21:
	s_wait_xcnt 0x0
	s_and_not1_saveexec_b32 s2, s2
	s_cbranch_execz .LBB57_23
; %bb.22:
	v_dual_mul_f64 v[22:23], v[2:3], v[12:13] :: v_dual_lshlrev_b32 v6, 2, v6
	v_mul_f64_e32 v[24:25], v[2:3], v[10:11]
	v_mul_f64_e32 v[0:1], v[2:3], v[0:1]
	s_delay_alu instid0(VALU_DEP_3) | instskip(SKIP_1) | instid1(VALU_DEP_1)
	v_dual_mul_f64 v[2:3], v[2:3], v[8:9] :: v_dual_ashrrev_i32 v7, 31, v6
	s_wait_kmcnt 0x0
	v_lshl_add_u64 v[6:7], v[6:7], 3, s[0:1]
	s_clause 0x1
	global_load_b128 v[14:17], v[6:7], off
	global_load_b128 v[18:21], v[6:7], off offset:16
	s_wait_loadcnt 0x1
	v_fmac_f64_e32 v[22:23], v[4:5], v[14:15]
	v_fmac_f64_e32 v[24:25], v[4:5], v[16:17]
	s_wait_loadcnt 0x0
	v_fmac_f64_e32 v[0:1], v[4:5], v[18:19]
	v_fmac_f64_e32 v[2:3], v[4:5], v[20:21]
	s_clause 0x1
	global_store_b128 v[6:7], v[22:25], off
	global_store_b128 v[6:7], v[0:3], off offset:16
.LBB57_23:
	s_sendmsg sendmsg(MSG_DEALLOC_VGPRS)
	s_endpgm
	.section	.rodata,"a",@progbits
	.p2align	6, 0x0
	.amdhsa_kernel _ZN9rocsparseL19gebsrmvn_4xn_kernelILj128ELj6ELj4EdEEvi20rocsparse_direction_NS_24const_host_device_scalarIT2_EEPKiS6_PKS3_S8_S4_PS3_21rocsparse_index_base_b
		.amdhsa_group_segment_fixed_size 0
		.amdhsa_private_segment_fixed_size 0
		.amdhsa_kernarg_size 72
		.amdhsa_user_sgpr_count 2
		.amdhsa_user_sgpr_dispatch_ptr 0
		.amdhsa_user_sgpr_queue_ptr 0
		.amdhsa_user_sgpr_kernarg_segment_ptr 1
		.amdhsa_user_sgpr_dispatch_id 0
		.amdhsa_user_sgpr_kernarg_preload_length 0
		.amdhsa_user_sgpr_kernarg_preload_offset 0
		.amdhsa_user_sgpr_private_segment_size 0
		.amdhsa_wavefront_size32 1
		.amdhsa_uses_dynamic_stack 0
		.amdhsa_enable_private_segment 0
		.amdhsa_system_sgpr_workgroup_id_x 1
		.amdhsa_system_sgpr_workgroup_id_y 0
		.amdhsa_system_sgpr_workgroup_id_z 0
		.amdhsa_system_sgpr_workgroup_info 0
		.amdhsa_system_vgpr_workitem_id 0
		.amdhsa_next_free_vgpr 84
		.amdhsa_next_free_sgpr 14
		.amdhsa_named_barrier_count 0
		.amdhsa_reserve_vcc 1
		.amdhsa_float_round_mode_32 0
		.amdhsa_float_round_mode_16_64 0
		.amdhsa_float_denorm_mode_32 3
		.amdhsa_float_denorm_mode_16_64 3
		.amdhsa_fp16_overflow 0
		.amdhsa_memory_ordered 1
		.amdhsa_forward_progress 1
		.amdhsa_inst_pref_size 18
		.amdhsa_round_robin_scheduling 0
		.amdhsa_exception_fp_ieee_invalid_op 0
		.amdhsa_exception_fp_denorm_src 0
		.amdhsa_exception_fp_ieee_div_zero 0
		.amdhsa_exception_fp_ieee_overflow 0
		.amdhsa_exception_fp_ieee_underflow 0
		.amdhsa_exception_fp_ieee_inexact 0
		.amdhsa_exception_int_div_zero 0
	.end_amdhsa_kernel
	.section	.text._ZN9rocsparseL19gebsrmvn_4xn_kernelILj128ELj6ELj4EdEEvi20rocsparse_direction_NS_24const_host_device_scalarIT2_EEPKiS6_PKS3_S8_S4_PS3_21rocsparse_index_base_b,"axG",@progbits,_ZN9rocsparseL19gebsrmvn_4xn_kernelILj128ELj6ELj4EdEEvi20rocsparse_direction_NS_24const_host_device_scalarIT2_EEPKiS6_PKS3_S8_S4_PS3_21rocsparse_index_base_b,comdat
.Lfunc_end57:
	.size	_ZN9rocsparseL19gebsrmvn_4xn_kernelILj128ELj6ELj4EdEEvi20rocsparse_direction_NS_24const_host_device_scalarIT2_EEPKiS6_PKS3_S8_S4_PS3_21rocsparse_index_base_b, .Lfunc_end57-_ZN9rocsparseL19gebsrmvn_4xn_kernelILj128ELj6ELj4EdEEvi20rocsparse_direction_NS_24const_host_device_scalarIT2_EEPKiS6_PKS3_S8_S4_PS3_21rocsparse_index_base_b
                                        ; -- End function
	.set _ZN9rocsparseL19gebsrmvn_4xn_kernelILj128ELj6ELj4EdEEvi20rocsparse_direction_NS_24const_host_device_scalarIT2_EEPKiS6_PKS3_S8_S4_PS3_21rocsparse_index_base_b.num_vgpr, 84
	.set _ZN9rocsparseL19gebsrmvn_4xn_kernelILj128ELj6ELj4EdEEvi20rocsparse_direction_NS_24const_host_device_scalarIT2_EEPKiS6_PKS3_S8_S4_PS3_21rocsparse_index_base_b.num_agpr, 0
	.set _ZN9rocsparseL19gebsrmvn_4xn_kernelILj128ELj6ELj4EdEEvi20rocsparse_direction_NS_24const_host_device_scalarIT2_EEPKiS6_PKS3_S8_S4_PS3_21rocsparse_index_base_b.numbered_sgpr, 14
	.set _ZN9rocsparseL19gebsrmvn_4xn_kernelILj128ELj6ELj4EdEEvi20rocsparse_direction_NS_24const_host_device_scalarIT2_EEPKiS6_PKS3_S8_S4_PS3_21rocsparse_index_base_b.num_named_barrier, 0
	.set _ZN9rocsparseL19gebsrmvn_4xn_kernelILj128ELj6ELj4EdEEvi20rocsparse_direction_NS_24const_host_device_scalarIT2_EEPKiS6_PKS3_S8_S4_PS3_21rocsparse_index_base_b.private_seg_size, 0
	.set _ZN9rocsparseL19gebsrmvn_4xn_kernelILj128ELj6ELj4EdEEvi20rocsparse_direction_NS_24const_host_device_scalarIT2_EEPKiS6_PKS3_S8_S4_PS3_21rocsparse_index_base_b.uses_vcc, 1
	.set _ZN9rocsparseL19gebsrmvn_4xn_kernelILj128ELj6ELj4EdEEvi20rocsparse_direction_NS_24const_host_device_scalarIT2_EEPKiS6_PKS3_S8_S4_PS3_21rocsparse_index_base_b.uses_flat_scratch, 0
	.set _ZN9rocsparseL19gebsrmvn_4xn_kernelILj128ELj6ELj4EdEEvi20rocsparse_direction_NS_24const_host_device_scalarIT2_EEPKiS6_PKS3_S8_S4_PS3_21rocsparse_index_base_b.has_dyn_sized_stack, 0
	.set _ZN9rocsparseL19gebsrmvn_4xn_kernelILj128ELj6ELj4EdEEvi20rocsparse_direction_NS_24const_host_device_scalarIT2_EEPKiS6_PKS3_S8_S4_PS3_21rocsparse_index_base_b.has_recursion, 0
	.set _ZN9rocsparseL19gebsrmvn_4xn_kernelILj128ELj6ELj4EdEEvi20rocsparse_direction_NS_24const_host_device_scalarIT2_EEPKiS6_PKS3_S8_S4_PS3_21rocsparse_index_base_b.has_indirect_call, 0
	.section	.AMDGPU.csdata,"",@progbits
; Kernel info:
; codeLenInByte = 2208
; TotalNumSgprs: 16
; NumVgprs: 84
; ScratchSize: 0
; MemoryBound: 1
; FloatMode: 240
; IeeeMode: 1
; LDSByteSize: 0 bytes/workgroup (compile time only)
; SGPRBlocks: 0
; VGPRBlocks: 5
; NumSGPRsForWavesPerEU: 16
; NumVGPRsForWavesPerEU: 84
; NamedBarCnt: 0
; Occupancy: 10
; WaveLimiterHint : 1
; COMPUTE_PGM_RSRC2:SCRATCH_EN: 0
; COMPUTE_PGM_RSRC2:USER_SGPR: 2
; COMPUTE_PGM_RSRC2:TRAP_HANDLER: 0
; COMPUTE_PGM_RSRC2:TGID_X_EN: 1
; COMPUTE_PGM_RSRC2:TGID_Y_EN: 0
; COMPUTE_PGM_RSRC2:TGID_Z_EN: 0
; COMPUTE_PGM_RSRC2:TIDIG_COMP_CNT: 0
	.section	.text._ZN9rocsparseL19gebsrmvn_4xn_kernelILj128ELj6ELj8EdEEvi20rocsparse_direction_NS_24const_host_device_scalarIT2_EEPKiS6_PKS3_S8_S4_PS3_21rocsparse_index_base_b,"axG",@progbits,_ZN9rocsparseL19gebsrmvn_4xn_kernelILj128ELj6ELj8EdEEvi20rocsparse_direction_NS_24const_host_device_scalarIT2_EEPKiS6_PKS3_S8_S4_PS3_21rocsparse_index_base_b,comdat
	.globl	_ZN9rocsparseL19gebsrmvn_4xn_kernelILj128ELj6ELj8EdEEvi20rocsparse_direction_NS_24const_host_device_scalarIT2_EEPKiS6_PKS3_S8_S4_PS3_21rocsparse_index_base_b ; -- Begin function _ZN9rocsparseL19gebsrmvn_4xn_kernelILj128ELj6ELj8EdEEvi20rocsparse_direction_NS_24const_host_device_scalarIT2_EEPKiS6_PKS3_S8_S4_PS3_21rocsparse_index_base_b
	.p2align	8
	.type	_ZN9rocsparseL19gebsrmvn_4xn_kernelILj128ELj6ELj8EdEEvi20rocsparse_direction_NS_24const_host_device_scalarIT2_EEPKiS6_PKS3_S8_S4_PS3_21rocsparse_index_base_b,@function
_ZN9rocsparseL19gebsrmvn_4xn_kernelILj128ELj6ELj8EdEEvi20rocsparse_direction_NS_24const_host_device_scalarIT2_EEPKiS6_PKS3_S8_S4_PS3_21rocsparse_index_base_b: ; @_ZN9rocsparseL19gebsrmvn_4xn_kernelILj128ELj6ELj8EdEEvi20rocsparse_direction_NS_24const_host_device_scalarIT2_EEPKiS6_PKS3_S8_S4_PS3_21rocsparse_index_base_b
; %bb.0:
	s_clause 0x2
	s_load_b64 s[12:13], s[0:1], 0x40
	s_load_b64 s[4:5], s[0:1], 0x8
	;; [unrolled: 1-line block ×3, first 2 shown]
	s_wait_kmcnt 0x0
	s_bitcmp1_b32 s13, 0
	v_mov_b64_e32 v[2:3], s[4:5]
	s_cselect_b32 s6, -1, 0
	s_delay_alu instid0(SALU_CYCLE_1)
	s_and_b32 vcc_lo, exec_lo, s6
	s_xor_b32 s6, s6, -1
	s_cbranch_vccnz .LBB58_2
; %bb.1:
	v_mov_b32_e32 v1, 0
	flat_load_b64 v[2:3], v1, s[4:5]
.LBB58_2:
	v_mov_b64_e32 v[4:5], s[2:3]
	s_and_not1_b32 vcc_lo, exec_lo, s6
	s_cbranch_vccnz .LBB58_4
; %bb.3:
	s_wait_xcnt 0x0
	v_mov_b32_e32 v1, 0
	flat_load_b64 v[4:5], v1, s[2:3]
.LBB58_4:
	s_wait_loadcnt_dscnt 0x0
	v_cmp_neq_f64_e32 vcc_lo, 0, v[2:3]
	s_delay_alu instid0(VALU_DEP_2) | instskip(SKIP_1) | instid1(SALU_CYCLE_1)
	v_cmp_neq_f64_e64 s2, 1.0, v[4:5]
	s_or_b32 s2, vcc_lo, s2
	s_and_saveexec_b32 s3, s2
	s_cbranch_execz .LBB58_23
; %bb.5:
	s_load_b64 s[2:3], s[0:1], 0x0
	s_bfe_u32 s4, ttmp6, 0x4000c
	s_and_b32 s5, ttmp6, 15
	s_add_co_i32 s4, s4, 1
	s_getreg_b32 s6, hwreg(HW_REG_IB_STS2, 6, 4)
	s_mul_i32 s4, ttmp9, s4
	v_lshrrev_b32_e32 v1, 3, v0
	s_add_co_i32 s5, s5, s4
	s_cmp_eq_u32 s6, 0
	s_cselect_b32 s4, ttmp9, s5
	s_delay_alu instid0(VALU_DEP_1) | instid1(SALU_CYCLE_1)
	v_lshl_or_b32 v6, s4, 4, v1
	s_wait_kmcnt 0x0
	s_delay_alu instid0(VALU_DEP_1)
	v_cmp_gt_i32_e32 vcc_lo, s2, v6
	s_and_b32 exec_lo, exec_lo, vcc_lo
	s_cbranch_execz .LBB58_23
; %bb.6:
	s_load_b256 s[4:11], s[0:1], 0x10
	v_ashrrev_i32_e32 v7, 31, v6
	s_cmp_lg_u32 s3, 0
	s_wait_kmcnt 0x0
	s_delay_alu instid0(VALU_DEP_1)
	v_lshl_add_u64 v[8:9], v[6:7], 2, s[4:5]
	v_and_b32_e32 v7, 7, v0
	global_load_b64 v[8:9], v[8:9], off
	s_wait_loadcnt 0x0
	v_subrev_nc_u32_e32 v0, s12, v8
	v_subrev_nc_u32_e32 v18, s12, v9
	s_delay_alu instid0(VALU_DEP_2) | instskip(NEXT) | instid1(VALU_DEP_1)
	v_add_nc_u32_e32 v19, v0, v7
	v_cmp_lt_i32_e64 s2, v19, v18
	s_cbranch_scc0 .LBB58_12
; %bb.7:
	v_mov_b64_e32 v[0:1], 0
	v_mov_b64_e32 v[8:9], 0
	;; [unrolled: 1-line block ×4, first 2 shown]
	s_and_saveexec_b32 s3, s2
	s_cbranch_execz .LBB58_11
; %bb.8:
	v_mad_u32 v14, v19, 24, 20
	v_mov_b64_e32 v[0:1], 0
	v_mov_b64_e32 v[8:9], 0
	;; [unrolled: 1-line block ×4, first 2 shown]
	v_dual_mov_b32 v17, 0 :: v_dual_mov_b32 v20, v19
	s_mov_b32 s4, 0
.LBB58_9:                               ; =>This Inner Loop Header: Depth=1
	global_load_b32 v15, v20, s[6:7] scale_offset
	v_subrev_nc_u32_e32 v16, 20, v14
	s_wait_xcnt 0x0
	v_dual_mov_b32 v63, v17 :: v_dual_add_nc_u32 v20, 8, v20
	s_delay_alu instid0(VALU_DEP_2) | instskip(SKIP_1) | instid1(VALU_DEP_3)
	v_lshl_add_u64 v[42:43], v[16:17], 3, s[8:9]
	v_add_nc_u32_e32 v16, -12, v14
	v_cmp_ge_i32_e32 vcc_lo, v20, v18
	global_load_b128 v[22:25], v[42:43], off offset:16
	v_lshl_add_u64 v[54:55], v[16:17], 3, s[8:9]
	s_or_b32 s4, vcc_lo, s4
	s_wait_loadcnt 0x1
	v_subrev_nc_u32_e32 v15, s12, v15
	s_delay_alu instid0(VALU_DEP_1) | instskip(SKIP_1) | instid1(VALU_DEP_1)
	v_mul_lo_u32 v62, v15, 6
	v_mov_b32_e32 v15, v17
	v_lshl_add_u64 v[82:83], v[14:15], 3, s[8:9]
	s_delay_alu instid0(VALU_DEP_3)
	v_lshl_add_u64 v[44:45], v[62:63], 3, s[10:11]
	global_load_b128 v[26:29], v[42:43], off
	global_load_b128 v[30:33], v[44:45], off
	s_clause 0x1
	global_load_b128 v[34:37], v[42:43], off offset:32
	global_load_b128 v[38:41], v[42:43], off offset:48
	v_add_nc_u32_e32 v16, 2, v62
	global_load_b128 v[42:45], v[54:55], off offset:16
	v_lshl_add_u64 v[56:57], v[16:17], 3, s[10:11]
	global_load_b128 v[46:49], v[54:55], off
	global_load_b128 v[50:53], v[56:57], off
	v_add_nc_u32_e32 v16, -8, v14
	s_delay_alu instid0(VALU_DEP_1)
	v_lshl_add_u64 v[64:65], v[16:17], 3, s[8:9]
	s_clause 0x1
	global_load_b128 v[54:57], v[64:65], off
	global_load_b128 v[58:61], v[64:65], off offset:16
	v_add_nc_u32_e32 v16, -4, v14
	v_add_nc_u32_e32 v14, 0xc0, v14
	s_delay_alu instid0(VALU_DEP_2) | instskip(SKIP_1) | instid1(VALU_DEP_1)
	v_lshl_add_u64 v[74:75], v[16:17], 3, s[8:9]
	v_add_nc_u32_e32 v16, 4, v62
	v_lshl_add_u64 v[76:77], v[16:17], 3, s[10:11]
	s_clause 0x1
	global_load_b128 v[62:65], v[74:75], off offset:16
	global_load_b128 v[66:69], v[74:75], off
	global_load_b128 v[70:73], v[76:77], off
	s_clause 0x1
	global_load_b128 v[74:77], v[82:83], off
	global_load_b128 v[78:81], v[82:83], off offset:16
	s_wait_loadcnt 0xc
	v_fmac_f64_e32 v[0:1], v[26:27], v[30:31]
	v_fmac_f64_e32 v[12:13], v[28:29], v[30:31]
	;; [unrolled: 1-line block ×4, first 2 shown]
	s_wait_loadcnt 0xb
	s_delay_alu instid0(VALU_DEP_4) | instskip(NEXT) | instid1(VALU_DEP_4)
	v_fmac_f64_e32 v[0:1], v[34:35], v[32:33]
	v_fmac_f64_e32 v[12:13], v[36:37], v[32:33]
	s_wait_loadcnt 0xa
	s_delay_alu instid0(VALU_DEP_4) | instskip(NEXT) | instid1(VALU_DEP_4)
	v_fmac_f64_e32 v[10:11], v[38:39], v[32:33]
	v_fmac_f64_e32 v[8:9], v[40:41], v[32:33]
	;; [unrolled: 4-line block ×3, first 2 shown]
	s_delay_alu instid0(VALU_DEP_4) | instskip(NEXT) | instid1(VALU_DEP_4)
	v_fmac_f64_e32 v[10:11], v[42:43], v[50:51]
	v_fmac_f64_e32 v[8:9], v[44:45], v[50:51]
	s_wait_loadcnt 0x6
	s_delay_alu instid0(VALU_DEP_4) | instskip(NEXT) | instid1(VALU_DEP_4)
	v_fmac_f64_e32 v[0:1], v[54:55], v[52:53]
	v_fmac_f64_e32 v[12:13], v[56:57], v[52:53]
	s_wait_loadcnt 0x5
	;; [unrolled: 4-line block ×3, first 2 shown]
	s_delay_alu instid0(VALU_DEP_4) | instskip(NEXT) | instid1(VALU_DEP_4)
	v_fmac_f64_e32 v[0:1], v[66:67], v[70:71]
	v_fmac_f64_e32 v[12:13], v[68:69], v[70:71]
	s_delay_alu instid0(VALU_DEP_4) | instskip(NEXT) | instid1(VALU_DEP_4)
	v_fmac_f64_e32 v[10:11], v[62:63], v[70:71]
	v_fmac_f64_e32 v[8:9], v[64:65], v[70:71]
	s_wait_loadcnt 0x1
	s_delay_alu instid0(VALU_DEP_4) | instskip(NEXT) | instid1(VALU_DEP_4)
	v_fmac_f64_e32 v[0:1], v[74:75], v[72:73]
	v_fmac_f64_e32 v[12:13], v[76:77], v[72:73]
	s_wait_loadcnt 0x0
	s_delay_alu instid0(VALU_DEP_4) | instskip(NEXT) | instid1(VALU_DEP_4)
	v_fmac_f64_e32 v[10:11], v[78:79], v[72:73]
	v_fmac_f64_e32 v[8:9], v[80:81], v[72:73]
	s_and_not1_b32 exec_lo, exec_lo, s4
	s_cbranch_execnz .LBB58_9
; %bb.10:
	s_or_b32 exec_lo, exec_lo, s4
.LBB58_11:
	s_delay_alu instid0(SALU_CYCLE_1)
	s_or_b32 exec_lo, exec_lo, s3
	s_cbranch_execz .LBB58_13
	s_branch .LBB58_18
.LBB58_12:
                                        ; implicit-def: $vgpr0_vgpr1
                                        ; implicit-def: $vgpr8_vgpr9
                                        ; implicit-def: $vgpr10_vgpr11
                                        ; implicit-def: $vgpr12_vgpr13
.LBB58_13:
	v_mov_b64_e32 v[0:1], 0
	v_mov_b64_e32 v[8:9], 0
	;; [unrolled: 1-line block ×4, first 2 shown]
	s_and_saveexec_b32 s3, s2
	s_cbranch_execz .LBB58_17
; %bb.14:
	v_mad_u32 v16, v19, 24, 23
	v_mov_b64_e32 v[0:1], 0
	v_mov_b64_e32 v[8:9], 0
	v_mov_b64_e32 v[10:11], 0
	v_mov_b64_e32 v[12:13], 0
	v_mov_b32_e32 v15, 0
	s_mov_b32 s2, 0
.LBB58_15:                              ; =>This Inner Loop Header: Depth=1
	global_load_b32 v17, v19, s[6:7] scale_offset
	v_subrev_nc_u32_e32 v14, 23, v16
	v_dual_mov_b32 v41, v15 :: v_dual_add_nc_u32 v28, -11, v16
	s_wait_xcnt 0x0
	v_dual_add_nc_u32 v29, -5, v16 :: v_dual_add_nc_u32 v19, 8, v19
	s_delay_alu instid0(VALU_DEP_3)
	v_lshl_add_u64 v[48:49], v[14:15], 3, s[8:9]
	v_add_nc_u32_e32 v14, -10, v16
	s_clause 0x3
	global_load_b64 v[50:51], v28, s[8:9] scale_offset
	global_load_b64 v[52:53], v29, s[8:9] scale_offset
	global_load_b128 v[20:23], v[48:49], off offset:48
	global_load_b128 v[24:27], v[48:49], off offset:16
	v_cmp_ge_i32_e32 vcc_lo, v19, v18
	s_or_b32 s2, vcc_lo, s2
	s_wait_loadcnt 0x4
	v_subrev_nc_u32_e32 v17, s12, v17
	s_delay_alu instid0(VALU_DEP_1) | instskip(SKIP_1) | instid1(VALU_DEP_2)
	v_mul_lo_u32 v40, v17, 6
	v_add_nc_u32_e32 v17, -4, v16
	v_lshl_add_u64 v[36:37], v[40:41], 3, s[10:11]
	global_load_b128 v[28:31], v[48:49], off
	global_load_b128 v[32:35], v[36:37], off
	s_clause 0x1
	global_load_b64 v[54:55], v14, s[8:9] scale_offset
	global_load_b64 v[56:57], v17, s[8:9] scale_offset
	s_wait_xcnt 0x0
	v_dual_add_nc_u32 v14, -15, v16 :: v_dual_add_nc_u32 v17, -9, v16
	v_add_nc_u32_e32 v41, -3, v16
	s_clause 0x1
	global_load_b64 v[58:59], v14, s[8:9] scale_offset
	global_load_b64 v[60:61], v17, s[8:9] scale_offset
	s_wait_xcnt 0x1
	v_add_nc_u32_e32 v14, 2, v40
	s_wait_xcnt 0x0
	v_add_nc_u32_e32 v17, -8, v16
	s_delay_alu instid0(VALU_DEP_2)
	v_lshl_add_u64 v[42:43], v[14:15], 3, s[10:11]
	global_load_b64 v[62:63], v41, s[8:9] scale_offset
	global_load_b128 v[36:39], v[42:43], off
	s_wait_xcnt 0x1
	v_dual_add_nc_u32 v14, -14, v16 :: v_dual_add_nc_u32 v41, -2, v16
	s_clause 0x2
	global_load_b64 v[64:65], v14, s[8:9] scale_offset
	global_load_b64 v[66:67], v17, s[8:9] scale_offset
	;; [unrolled: 1-line block ×3, first 2 shown]
	s_wait_xcnt 0x1
	v_dual_add_nc_u32 v14, -13, v16 :: v_dual_add_nc_u32 v17, -7, v16
	s_wait_xcnt 0x0
	v_add_nc_u32_e32 v41, -1, v16
	s_clause 0x1
	global_load_b64 v[70:71], v14, s[8:9] scale_offset
	global_load_b64 v[72:73], v17, s[8:9] scale_offset
	s_wait_xcnt 0x1
	v_add_nc_u32_e32 v14, 4, v40
	global_load_b64 v[74:75], v41, s[8:9] scale_offset
	s_wait_xcnt 0x1
	v_add_nc_u32_e32 v17, -6, v16
	v_lshl_add_u64 v[76:77], v[14:15], 3, s[10:11]
	global_load_b128 v[40:43], v[48:49], off offset:32
	global_load_b128 v[44:47], v[76:77], off
	v_add_nc_u32_e32 v14, -12, v16
	s_clause 0x2
	global_load_b64 v[48:49], v14, s[8:9] scale_offset
	global_load_b64 v[76:77], v17, s[8:9] scale_offset
	;; [unrolled: 1-line block ×3, first 2 shown]
	s_wait_xcnt 0x0
	v_add_nc_u32_e32 v16, 0xc0, v16
	s_wait_loadcnt 0x11
	v_fmac_f64_e32 v[0:1], v[28:29], v[32:33]
	v_fmac_f64_e32 v[12:13], v[20:21], v[32:33]
	;; [unrolled: 1-line block ×4, first 2 shown]
	s_delay_alu instid0(VALU_DEP_4) | instskip(NEXT) | instid1(VALU_DEP_4)
	v_fmac_f64_e32 v[0:1], v[30:31], v[34:35]
	v_fmac_f64_e32 v[12:13], v[22:23], v[34:35]
	s_wait_loadcnt 0x10
	s_delay_alu instid0(VALU_DEP_4) | instskip(SKIP_1) | instid1(VALU_DEP_4)
	v_fmac_f64_e32 v[10:11], v[54:55], v[34:35]
	s_wait_loadcnt 0xf
	v_fmac_f64_e32 v[8:9], v[56:57], v[34:35]
	s_wait_loadcnt 0xb
	s_delay_alu instid0(VALU_DEP_4) | instskip(NEXT) | instid1(VALU_DEP_4)
	v_fmac_f64_e32 v[0:1], v[24:25], v[36:37]
	v_fmac_f64_e32 v[12:13], v[58:59], v[36:37]
	s_delay_alu instid0(VALU_DEP_4) | instskip(NEXT) | instid1(VALU_DEP_4)
	v_fmac_f64_e32 v[10:11], v[60:61], v[36:37]
	v_fmac_f64_e32 v[8:9], v[62:63], v[36:37]
	s_delay_alu instid0(VALU_DEP_4) | instskip(SKIP_1) | instid1(VALU_DEP_4)
	v_fmac_f64_e32 v[0:1], v[26:27], v[38:39]
	s_wait_loadcnt 0xa
	v_fmac_f64_e32 v[12:13], v[64:65], v[38:39]
	s_wait_loadcnt 0x9
	s_delay_alu instid0(VALU_DEP_4) | instskip(SKIP_1) | instid1(VALU_DEP_4)
	v_fmac_f64_e32 v[10:11], v[66:67], v[38:39]
	s_wait_loadcnt 0x8
	v_fmac_f64_e32 v[8:9], v[68:69], v[38:39]
	s_wait_loadcnt 0x3
	s_delay_alu instid0(VALU_DEP_4) | instskip(NEXT) | instid1(VALU_DEP_4)
	v_fmac_f64_e32 v[0:1], v[40:41], v[44:45]
	v_fmac_f64_e32 v[12:13], v[70:71], v[44:45]
	s_delay_alu instid0(VALU_DEP_4) | instskip(NEXT) | instid1(VALU_DEP_4)
	v_fmac_f64_e32 v[10:11], v[72:73], v[44:45]
	v_fmac_f64_e32 v[8:9], v[74:75], v[44:45]
	s_delay_alu instid0(VALU_DEP_4) | instskip(SKIP_1) | instid1(VALU_DEP_4)
	v_fmac_f64_e32 v[0:1], v[42:43], v[46:47]
	s_wait_loadcnt 0x2
	v_fmac_f64_e32 v[12:13], v[48:49], v[46:47]
	s_wait_loadcnt 0x1
	s_delay_alu instid0(VALU_DEP_4) | instskip(SKIP_1) | instid1(VALU_DEP_4)
	v_fmac_f64_e32 v[10:11], v[76:77], v[46:47]
	s_wait_loadcnt 0x0
	v_fmac_f64_e32 v[8:9], v[78:79], v[46:47]
	s_and_not1_b32 exec_lo, exec_lo, s2
	s_cbranch_execnz .LBB58_15
; %bb.16:
	s_or_b32 exec_lo, exec_lo, s2
.LBB58_17:
	s_delay_alu instid0(SALU_CYCLE_1)
	s_or_b32 exec_lo, exec_lo, s3
.LBB58_18:
	v_mbcnt_lo_u32_b32 v24, -1, 0
	s_delay_alu instid0(VALU_DEP_1) | instskip(NEXT) | instid1(VALU_DEP_1)
	v_xor_b32_e32 v14, 4, v24
	v_cmp_gt_i32_e32 vcc_lo, 32, v14
	v_cndmask_b32_e32 v14, v24, v14, vcc_lo
	s_delay_alu instid0(VALU_DEP_1)
	v_lshlrev_b32_e32 v21, 2, v14
	ds_bpermute_b32 v14, v21, v0
	ds_bpermute_b32 v15, v21, v1
	;; [unrolled: 1-line block ×4, first 2 shown]
	s_wait_dscnt 0x2
	v_add_f64_e32 v[0:1], v[0:1], v[14:15]
	s_wait_dscnt 0x0
	v_add_f64_e32 v[14:15], v[12:13], v[16:17]
	ds_bpermute_b32 v18, v21, v10
	ds_bpermute_b32 v19, v21, v11
	;; [unrolled: 1-line block ×4, first 2 shown]
	s_wait_dscnt 0x2
	v_dual_add_f64 v[16:17], v[10:11], v[18:19] :: v_dual_bitop2_b32 v10, 2, v24 bitop3:0x14
	s_delay_alu instid0(VALU_DEP_1) | instskip(SKIP_2) | instid1(VALU_DEP_1)
	v_cmp_gt_i32_e32 vcc_lo, 32, v10
	v_cndmask_b32_e32 v10, v24, v10, vcc_lo
	s_wait_dscnt 0x0
	v_dual_add_f64 v[8:9], v[8:9], v[20:21] :: v_dual_lshlrev_b32 v12, 2, v10
	ds_bpermute_b32 v10, v12, v0
	ds_bpermute_b32 v11, v12, v1
	;; [unrolled: 1-line block ×8, first 2 shown]
	s_wait_dscnt 0x6
	v_add_f64_e32 v[12:13], v[0:1], v[10:11]
	s_wait_dscnt 0x4
	v_dual_add_f64 v[10:11], v[14:15], v[18:19] :: v_dual_bitop2_b32 v14, 1, v24 bitop3:0x14
	s_delay_alu instid0(VALU_DEP_1) | instskip(SKIP_4) | instid1(VALU_DEP_3)
	v_cmp_gt_i32_e32 vcc_lo, 32, v14
	v_cndmask_b32_e32 v14, v24, v14, vcc_lo
	s_wait_dscnt 0x2
	v_add_f64_e32 v[0:1], v[16:17], v[20:21]
	v_cmp_eq_u32_e32 vcc_lo, 7, v7
	v_lshlrev_b32_e32 v15, 2, v14
	s_wait_dscnt 0x0
	v_add_f64_e32 v[8:9], v[8:9], v[22:23]
	ds_bpermute_b32 v20, v15, v12
	ds_bpermute_b32 v21, v15, v13
	;; [unrolled: 1-line block ×8, first 2 shown]
	s_and_b32 exec_lo, exec_lo, vcc_lo
	s_cbranch_execz .LBB58_23
; %bb.19:
	s_wait_dscnt 0x6
	v_add_f64_e32 v[12:13], v[12:13], v[20:21]
	s_wait_dscnt 0x4
	v_add_f64_e32 v[10:11], v[10:11], v[18:19]
	;; [unrolled: 2-line block ×4, first 2 shown]
	s_load_b64 s[0:1], s[0:1], 0x38
	s_mov_b32 s2, exec_lo
	v_cmpx_eq_f64_e32 0, v[4:5]
	s_xor_b32 s2, exec_lo, s2
	s_cbranch_execz .LBB58_21
; %bb.20:
	v_dual_mul_f64 v[12:13], v[2:3], v[12:13] :: v_dual_lshlrev_b32 v4, 2, v6
	v_mul_f64_e32 v[14:15], v[2:3], v[10:11]
	v_mul_f64_e32 v[0:1], v[2:3], v[0:1]
	;; [unrolled: 1-line block ×3, first 2 shown]
                                        ; implicit-def: $vgpr6
                                        ; implicit-def: $vgpr10_vgpr11
                                        ; implicit-def: $vgpr8_vgpr9
	s_delay_alu instid0(VALU_DEP_4) | instskip(SKIP_1) | instid1(VALU_DEP_1)
	v_ashrrev_i32_e32 v5, 31, v4
	s_wait_kmcnt 0x0
	v_lshl_add_u64 v[4:5], v[4:5], 3, s[0:1]
	s_clause 0x1
	global_store_b128 v[4:5], v[12:15], off
	global_store_b128 v[4:5], v[0:3], off offset:16
                                        ; implicit-def: $vgpr2_vgpr3
                                        ; implicit-def: $vgpr12_vgpr13
                                        ; implicit-def: $vgpr4_vgpr5
                                        ; implicit-def: $vgpr0_vgpr1
.LBB58_21:
	s_wait_xcnt 0x0
	s_and_not1_saveexec_b32 s2, s2
	s_cbranch_execz .LBB58_23
; %bb.22:
	v_dual_mul_f64 v[22:23], v[2:3], v[12:13] :: v_dual_lshlrev_b32 v6, 2, v6
	v_mul_f64_e32 v[24:25], v[2:3], v[10:11]
	v_mul_f64_e32 v[0:1], v[2:3], v[0:1]
	s_delay_alu instid0(VALU_DEP_3) | instskip(SKIP_1) | instid1(VALU_DEP_1)
	v_dual_mul_f64 v[2:3], v[2:3], v[8:9] :: v_dual_ashrrev_i32 v7, 31, v6
	s_wait_kmcnt 0x0
	v_lshl_add_u64 v[6:7], v[6:7], 3, s[0:1]
	s_clause 0x1
	global_load_b128 v[14:17], v[6:7], off
	global_load_b128 v[18:21], v[6:7], off offset:16
	s_wait_loadcnt 0x1
	v_fmac_f64_e32 v[22:23], v[4:5], v[14:15]
	v_fmac_f64_e32 v[24:25], v[4:5], v[16:17]
	s_wait_loadcnt 0x0
	v_fmac_f64_e32 v[0:1], v[4:5], v[18:19]
	v_fmac_f64_e32 v[2:3], v[4:5], v[20:21]
	s_clause 0x1
	global_store_b128 v[6:7], v[22:25], off
	global_store_b128 v[6:7], v[0:3], off offset:16
.LBB58_23:
	s_sendmsg sendmsg(MSG_DEALLOC_VGPRS)
	s_endpgm
	.section	.rodata,"a",@progbits
	.p2align	6, 0x0
	.amdhsa_kernel _ZN9rocsparseL19gebsrmvn_4xn_kernelILj128ELj6ELj8EdEEvi20rocsparse_direction_NS_24const_host_device_scalarIT2_EEPKiS6_PKS3_S8_S4_PS3_21rocsparse_index_base_b
		.amdhsa_group_segment_fixed_size 0
		.amdhsa_private_segment_fixed_size 0
		.amdhsa_kernarg_size 72
		.amdhsa_user_sgpr_count 2
		.amdhsa_user_sgpr_dispatch_ptr 0
		.amdhsa_user_sgpr_queue_ptr 0
		.amdhsa_user_sgpr_kernarg_segment_ptr 1
		.amdhsa_user_sgpr_dispatch_id 0
		.amdhsa_user_sgpr_kernarg_preload_length 0
		.amdhsa_user_sgpr_kernarg_preload_offset 0
		.amdhsa_user_sgpr_private_segment_size 0
		.amdhsa_wavefront_size32 1
		.amdhsa_uses_dynamic_stack 0
		.amdhsa_enable_private_segment 0
		.amdhsa_system_sgpr_workgroup_id_x 1
		.amdhsa_system_sgpr_workgroup_id_y 0
		.amdhsa_system_sgpr_workgroup_id_z 0
		.amdhsa_system_sgpr_workgroup_info 0
		.amdhsa_system_vgpr_workitem_id 0
		.amdhsa_next_free_vgpr 84
		.amdhsa_next_free_sgpr 14
		.amdhsa_named_barrier_count 0
		.amdhsa_reserve_vcc 1
		.amdhsa_float_round_mode_32 0
		.amdhsa_float_round_mode_16_64 0
		.amdhsa_float_denorm_mode_32 3
		.amdhsa_float_denorm_mode_16_64 3
		.amdhsa_fp16_overflow 0
		.amdhsa_memory_ordered 1
		.amdhsa_forward_progress 1
		.amdhsa_inst_pref_size 19
		.amdhsa_round_robin_scheduling 0
		.amdhsa_exception_fp_ieee_invalid_op 0
		.amdhsa_exception_fp_denorm_src 0
		.amdhsa_exception_fp_ieee_div_zero 0
		.amdhsa_exception_fp_ieee_overflow 0
		.amdhsa_exception_fp_ieee_underflow 0
		.amdhsa_exception_fp_ieee_inexact 0
		.amdhsa_exception_int_div_zero 0
	.end_amdhsa_kernel
	.section	.text._ZN9rocsparseL19gebsrmvn_4xn_kernelILj128ELj6ELj8EdEEvi20rocsparse_direction_NS_24const_host_device_scalarIT2_EEPKiS6_PKS3_S8_S4_PS3_21rocsparse_index_base_b,"axG",@progbits,_ZN9rocsparseL19gebsrmvn_4xn_kernelILj128ELj6ELj8EdEEvi20rocsparse_direction_NS_24const_host_device_scalarIT2_EEPKiS6_PKS3_S8_S4_PS3_21rocsparse_index_base_b,comdat
.Lfunc_end58:
	.size	_ZN9rocsparseL19gebsrmvn_4xn_kernelILj128ELj6ELj8EdEEvi20rocsparse_direction_NS_24const_host_device_scalarIT2_EEPKiS6_PKS3_S8_S4_PS3_21rocsparse_index_base_b, .Lfunc_end58-_ZN9rocsparseL19gebsrmvn_4xn_kernelILj128ELj6ELj8EdEEvi20rocsparse_direction_NS_24const_host_device_scalarIT2_EEPKiS6_PKS3_S8_S4_PS3_21rocsparse_index_base_b
                                        ; -- End function
	.set _ZN9rocsparseL19gebsrmvn_4xn_kernelILj128ELj6ELj8EdEEvi20rocsparse_direction_NS_24const_host_device_scalarIT2_EEPKiS6_PKS3_S8_S4_PS3_21rocsparse_index_base_b.num_vgpr, 84
	.set _ZN9rocsparseL19gebsrmvn_4xn_kernelILj128ELj6ELj8EdEEvi20rocsparse_direction_NS_24const_host_device_scalarIT2_EEPKiS6_PKS3_S8_S4_PS3_21rocsparse_index_base_b.num_agpr, 0
	.set _ZN9rocsparseL19gebsrmvn_4xn_kernelILj128ELj6ELj8EdEEvi20rocsparse_direction_NS_24const_host_device_scalarIT2_EEPKiS6_PKS3_S8_S4_PS3_21rocsparse_index_base_b.numbered_sgpr, 14
	.set _ZN9rocsparseL19gebsrmvn_4xn_kernelILj128ELj6ELj8EdEEvi20rocsparse_direction_NS_24const_host_device_scalarIT2_EEPKiS6_PKS3_S8_S4_PS3_21rocsparse_index_base_b.num_named_barrier, 0
	.set _ZN9rocsparseL19gebsrmvn_4xn_kernelILj128ELj6ELj8EdEEvi20rocsparse_direction_NS_24const_host_device_scalarIT2_EEPKiS6_PKS3_S8_S4_PS3_21rocsparse_index_base_b.private_seg_size, 0
	.set _ZN9rocsparseL19gebsrmvn_4xn_kernelILj128ELj6ELj8EdEEvi20rocsparse_direction_NS_24const_host_device_scalarIT2_EEPKiS6_PKS3_S8_S4_PS3_21rocsparse_index_base_b.uses_vcc, 1
	.set _ZN9rocsparseL19gebsrmvn_4xn_kernelILj128ELj6ELj8EdEEvi20rocsparse_direction_NS_24const_host_device_scalarIT2_EEPKiS6_PKS3_S8_S4_PS3_21rocsparse_index_base_b.uses_flat_scratch, 0
	.set _ZN9rocsparseL19gebsrmvn_4xn_kernelILj128ELj6ELj8EdEEvi20rocsparse_direction_NS_24const_host_device_scalarIT2_EEPKiS6_PKS3_S8_S4_PS3_21rocsparse_index_base_b.has_dyn_sized_stack, 0
	.set _ZN9rocsparseL19gebsrmvn_4xn_kernelILj128ELj6ELj8EdEEvi20rocsparse_direction_NS_24const_host_device_scalarIT2_EEPKiS6_PKS3_S8_S4_PS3_21rocsparse_index_base_b.has_recursion, 0
	.set _ZN9rocsparseL19gebsrmvn_4xn_kernelILj128ELj6ELj8EdEEvi20rocsparse_direction_NS_24const_host_device_scalarIT2_EEPKiS6_PKS3_S8_S4_PS3_21rocsparse_index_base_b.has_indirect_call, 0
	.section	.AMDGPU.csdata,"",@progbits
; Kernel info:
; codeLenInByte = 2332
; TotalNumSgprs: 16
; NumVgprs: 84
; ScratchSize: 0
; MemoryBound: 1
; FloatMode: 240
; IeeeMode: 1
; LDSByteSize: 0 bytes/workgroup (compile time only)
; SGPRBlocks: 0
; VGPRBlocks: 5
; NumSGPRsForWavesPerEU: 16
; NumVGPRsForWavesPerEU: 84
; NamedBarCnt: 0
; Occupancy: 10
; WaveLimiterHint : 1
; COMPUTE_PGM_RSRC2:SCRATCH_EN: 0
; COMPUTE_PGM_RSRC2:USER_SGPR: 2
; COMPUTE_PGM_RSRC2:TRAP_HANDLER: 0
; COMPUTE_PGM_RSRC2:TGID_X_EN: 1
; COMPUTE_PGM_RSRC2:TGID_Y_EN: 0
; COMPUTE_PGM_RSRC2:TGID_Z_EN: 0
; COMPUTE_PGM_RSRC2:TIDIG_COMP_CNT: 0
	.section	.text._ZN9rocsparseL19gebsrmvn_4xn_kernelILj128ELj6ELj16EdEEvi20rocsparse_direction_NS_24const_host_device_scalarIT2_EEPKiS6_PKS3_S8_S4_PS3_21rocsparse_index_base_b,"axG",@progbits,_ZN9rocsparseL19gebsrmvn_4xn_kernelILj128ELj6ELj16EdEEvi20rocsparse_direction_NS_24const_host_device_scalarIT2_EEPKiS6_PKS3_S8_S4_PS3_21rocsparse_index_base_b,comdat
	.globl	_ZN9rocsparseL19gebsrmvn_4xn_kernelILj128ELj6ELj16EdEEvi20rocsparse_direction_NS_24const_host_device_scalarIT2_EEPKiS6_PKS3_S8_S4_PS3_21rocsparse_index_base_b ; -- Begin function _ZN9rocsparseL19gebsrmvn_4xn_kernelILj128ELj6ELj16EdEEvi20rocsparse_direction_NS_24const_host_device_scalarIT2_EEPKiS6_PKS3_S8_S4_PS3_21rocsparse_index_base_b
	.p2align	8
	.type	_ZN9rocsparseL19gebsrmvn_4xn_kernelILj128ELj6ELj16EdEEvi20rocsparse_direction_NS_24const_host_device_scalarIT2_EEPKiS6_PKS3_S8_S4_PS3_21rocsparse_index_base_b,@function
_ZN9rocsparseL19gebsrmvn_4xn_kernelILj128ELj6ELj16EdEEvi20rocsparse_direction_NS_24const_host_device_scalarIT2_EEPKiS6_PKS3_S8_S4_PS3_21rocsparse_index_base_b: ; @_ZN9rocsparseL19gebsrmvn_4xn_kernelILj128ELj6ELj16EdEEvi20rocsparse_direction_NS_24const_host_device_scalarIT2_EEPKiS6_PKS3_S8_S4_PS3_21rocsparse_index_base_b
; %bb.0:
	s_clause 0x2
	s_load_b64 s[12:13], s[0:1], 0x40
	s_load_b64 s[4:5], s[0:1], 0x8
	;; [unrolled: 1-line block ×3, first 2 shown]
	s_wait_kmcnt 0x0
	s_bitcmp1_b32 s13, 0
	v_mov_b64_e32 v[2:3], s[4:5]
	s_cselect_b32 s6, -1, 0
	s_delay_alu instid0(SALU_CYCLE_1)
	s_and_b32 vcc_lo, exec_lo, s6
	s_xor_b32 s6, s6, -1
	s_cbranch_vccnz .LBB59_2
; %bb.1:
	v_mov_b32_e32 v1, 0
	flat_load_b64 v[2:3], v1, s[4:5]
.LBB59_2:
	v_mov_b64_e32 v[4:5], s[2:3]
	s_and_not1_b32 vcc_lo, exec_lo, s6
	s_cbranch_vccnz .LBB59_4
; %bb.3:
	s_wait_xcnt 0x0
	v_mov_b32_e32 v1, 0
	flat_load_b64 v[4:5], v1, s[2:3]
.LBB59_4:
	s_wait_loadcnt_dscnt 0x0
	v_cmp_neq_f64_e32 vcc_lo, 0, v[2:3]
	s_delay_alu instid0(VALU_DEP_2) | instskip(SKIP_1) | instid1(SALU_CYCLE_1)
	v_cmp_neq_f64_e64 s2, 1.0, v[4:5]
	s_or_b32 s2, vcc_lo, s2
	s_and_saveexec_b32 s3, s2
	s_cbranch_execz .LBB59_23
; %bb.5:
	s_load_b64 s[2:3], s[0:1], 0x0
	s_bfe_u32 s4, ttmp6, 0x4000c
	s_and_b32 s5, ttmp6, 15
	s_add_co_i32 s4, s4, 1
	s_getreg_b32 s6, hwreg(HW_REG_IB_STS2, 6, 4)
	s_mul_i32 s4, ttmp9, s4
	v_lshrrev_b32_e32 v1, 4, v0
	s_add_co_i32 s5, s5, s4
	s_cmp_eq_u32 s6, 0
	s_cselect_b32 s4, ttmp9, s5
	s_delay_alu instid0(VALU_DEP_1) | instid1(SALU_CYCLE_1)
	v_lshl_or_b32 v6, s4, 3, v1
	s_wait_kmcnt 0x0
	s_delay_alu instid0(VALU_DEP_1)
	v_cmp_gt_i32_e32 vcc_lo, s2, v6
	s_and_b32 exec_lo, exec_lo, vcc_lo
	s_cbranch_execz .LBB59_23
; %bb.6:
	s_load_b256 s[4:11], s[0:1], 0x10
	v_ashrrev_i32_e32 v7, 31, v6
	s_cmp_lg_u32 s3, 0
	s_wait_kmcnt 0x0
	s_delay_alu instid0(VALU_DEP_1)
	v_lshl_add_u64 v[8:9], v[6:7], 2, s[4:5]
	v_and_b32_e32 v7, 15, v0
	global_load_b64 v[8:9], v[8:9], off
	s_wait_loadcnt 0x0
	v_subrev_nc_u32_e32 v0, s12, v8
	v_subrev_nc_u32_e32 v18, s12, v9
	s_delay_alu instid0(VALU_DEP_2) | instskip(NEXT) | instid1(VALU_DEP_1)
	v_add_nc_u32_e32 v19, v0, v7
	v_cmp_lt_i32_e64 s2, v19, v18
	s_cbranch_scc0 .LBB59_12
; %bb.7:
	v_mov_b64_e32 v[0:1], 0
	v_mov_b64_e32 v[8:9], 0
	v_mov_b64_e32 v[10:11], 0
	v_mov_b64_e32 v[12:13], 0
	s_and_saveexec_b32 s3, s2
	s_cbranch_execz .LBB59_11
; %bb.8:
	v_mad_u32 v14, v19, 24, 20
	v_mov_b64_e32 v[0:1], 0
	v_mov_b64_e32 v[8:9], 0
	;; [unrolled: 1-line block ×4, first 2 shown]
	v_dual_mov_b32 v17, 0 :: v_dual_mov_b32 v20, v19
	s_mov_b32 s4, 0
.LBB59_9:                               ; =>This Inner Loop Header: Depth=1
	global_load_b32 v15, v20, s[6:7] scale_offset
	v_subrev_nc_u32_e32 v16, 20, v14
	s_wait_xcnt 0x0
	v_dual_mov_b32 v63, v17 :: v_dual_add_nc_u32 v20, 16, v20
	s_delay_alu instid0(VALU_DEP_2) | instskip(SKIP_1) | instid1(VALU_DEP_3)
	v_lshl_add_u64 v[42:43], v[16:17], 3, s[8:9]
	v_add_nc_u32_e32 v16, -12, v14
	v_cmp_ge_i32_e32 vcc_lo, v20, v18
	global_load_b128 v[22:25], v[42:43], off offset:16
	v_lshl_add_u64 v[54:55], v[16:17], 3, s[8:9]
	s_or_b32 s4, vcc_lo, s4
	s_wait_loadcnt 0x1
	v_subrev_nc_u32_e32 v15, s12, v15
	s_delay_alu instid0(VALU_DEP_1) | instskip(SKIP_1) | instid1(VALU_DEP_1)
	v_mul_lo_u32 v62, v15, 6
	v_mov_b32_e32 v15, v17
	v_lshl_add_u64 v[82:83], v[14:15], 3, s[8:9]
	s_delay_alu instid0(VALU_DEP_3)
	v_lshl_add_u64 v[44:45], v[62:63], 3, s[10:11]
	global_load_b128 v[26:29], v[42:43], off
	global_load_b128 v[30:33], v[44:45], off
	s_clause 0x1
	global_load_b128 v[34:37], v[42:43], off offset:32
	global_load_b128 v[38:41], v[42:43], off offset:48
	v_add_nc_u32_e32 v16, 2, v62
	global_load_b128 v[42:45], v[54:55], off offset:16
	v_lshl_add_u64 v[56:57], v[16:17], 3, s[10:11]
	global_load_b128 v[46:49], v[54:55], off
	global_load_b128 v[50:53], v[56:57], off
	v_add_nc_u32_e32 v16, -8, v14
	s_delay_alu instid0(VALU_DEP_1)
	v_lshl_add_u64 v[64:65], v[16:17], 3, s[8:9]
	s_clause 0x1
	global_load_b128 v[54:57], v[64:65], off
	global_load_b128 v[58:61], v[64:65], off offset:16
	v_add_nc_u32_e32 v16, -4, v14
	v_add_nc_u32_e32 v14, 0x180, v14
	s_delay_alu instid0(VALU_DEP_2) | instskip(SKIP_1) | instid1(VALU_DEP_1)
	v_lshl_add_u64 v[74:75], v[16:17], 3, s[8:9]
	v_add_nc_u32_e32 v16, 4, v62
	v_lshl_add_u64 v[76:77], v[16:17], 3, s[10:11]
	s_clause 0x1
	global_load_b128 v[62:65], v[74:75], off offset:16
	global_load_b128 v[66:69], v[74:75], off
	global_load_b128 v[70:73], v[76:77], off
	s_clause 0x1
	global_load_b128 v[74:77], v[82:83], off
	global_load_b128 v[78:81], v[82:83], off offset:16
	s_wait_loadcnt 0xc
	v_fmac_f64_e32 v[0:1], v[26:27], v[30:31]
	v_fmac_f64_e32 v[12:13], v[28:29], v[30:31]
	;; [unrolled: 1-line block ×4, first 2 shown]
	s_wait_loadcnt 0xb
	s_delay_alu instid0(VALU_DEP_4) | instskip(NEXT) | instid1(VALU_DEP_4)
	v_fmac_f64_e32 v[0:1], v[34:35], v[32:33]
	v_fmac_f64_e32 v[12:13], v[36:37], v[32:33]
	s_wait_loadcnt 0xa
	s_delay_alu instid0(VALU_DEP_4) | instskip(NEXT) | instid1(VALU_DEP_4)
	v_fmac_f64_e32 v[10:11], v[38:39], v[32:33]
	v_fmac_f64_e32 v[8:9], v[40:41], v[32:33]
	;; [unrolled: 4-line block ×3, first 2 shown]
	s_delay_alu instid0(VALU_DEP_4) | instskip(NEXT) | instid1(VALU_DEP_4)
	v_fmac_f64_e32 v[10:11], v[42:43], v[50:51]
	v_fmac_f64_e32 v[8:9], v[44:45], v[50:51]
	s_wait_loadcnt 0x6
	s_delay_alu instid0(VALU_DEP_4) | instskip(NEXT) | instid1(VALU_DEP_4)
	v_fmac_f64_e32 v[0:1], v[54:55], v[52:53]
	v_fmac_f64_e32 v[12:13], v[56:57], v[52:53]
	s_wait_loadcnt 0x5
	;; [unrolled: 4-line block ×3, first 2 shown]
	s_delay_alu instid0(VALU_DEP_4) | instskip(NEXT) | instid1(VALU_DEP_4)
	v_fmac_f64_e32 v[0:1], v[66:67], v[70:71]
	v_fmac_f64_e32 v[12:13], v[68:69], v[70:71]
	s_delay_alu instid0(VALU_DEP_4) | instskip(NEXT) | instid1(VALU_DEP_4)
	v_fmac_f64_e32 v[10:11], v[62:63], v[70:71]
	v_fmac_f64_e32 v[8:9], v[64:65], v[70:71]
	s_wait_loadcnt 0x1
	s_delay_alu instid0(VALU_DEP_4) | instskip(NEXT) | instid1(VALU_DEP_4)
	v_fmac_f64_e32 v[0:1], v[74:75], v[72:73]
	v_fmac_f64_e32 v[12:13], v[76:77], v[72:73]
	s_wait_loadcnt 0x0
	s_delay_alu instid0(VALU_DEP_4) | instskip(NEXT) | instid1(VALU_DEP_4)
	v_fmac_f64_e32 v[10:11], v[78:79], v[72:73]
	v_fmac_f64_e32 v[8:9], v[80:81], v[72:73]
	s_and_not1_b32 exec_lo, exec_lo, s4
	s_cbranch_execnz .LBB59_9
; %bb.10:
	s_or_b32 exec_lo, exec_lo, s4
.LBB59_11:
	s_delay_alu instid0(SALU_CYCLE_1)
	s_or_b32 exec_lo, exec_lo, s3
	s_cbranch_execz .LBB59_13
	s_branch .LBB59_18
.LBB59_12:
                                        ; implicit-def: $vgpr0_vgpr1
                                        ; implicit-def: $vgpr8_vgpr9
                                        ; implicit-def: $vgpr10_vgpr11
                                        ; implicit-def: $vgpr12_vgpr13
.LBB59_13:
	v_mov_b64_e32 v[0:1], 0
	v_mov_b64_e32 v[8:9], 0
	;; [unrolled: 1-line block ×4, first 2 shown]
	s_and_saveexec_b32 s3, s2
	s_cbranch_execz .LBB59_17
; %bb.14:
	v_mad_u32 v16, v19, 24, 23
	v_mov_b64_e32 v[0:1], 0
	v_mov_b64_e32 v[8:9], 0
	;; [unrolled: 1-line block ×4, first 2 shown]
	v_mov_b32_e32 v15, 0
	s_mov_b32 s2, 0
.LBB59_15:                              ; =>This Inner Loop Header: Depth=1
	global_load_b32 v17, v19, s[6:7] scale_offset
	v_subrev_nc_u32_e32 v14, 23, v16
	v_dual_mov_b32 v41, v15 :: v_dual_add_nc_u32 v28, -11, v16
	s_wait_xcnt 0x0
	v_dual_add_nc_u32 v29, -5, v16 :: v_dual_add_nc_u32 v19, 16, v19
	s_delay_alu instid0(VALU_DEP_3)
	v_lshl_add_u64 v[48:49], v[14:15], 3, s[8:9]
	v_add_nc_u32_e32 v14, -10, v16
	s_clause 0x3
	global_load_b64 v[50:51], v28, s[8:9] scale_offset
	global_load_b64 v[52:53], v29, s[8:9] scale_offset
	global_load_b128 v[20:23], v[48:49], off offset:48
	global_load_b128 v[24:27], v[48:49], off offset:16
	v_cmp_ge_i32_e32 vcc_lo, v19, v18
	s_or_b32 s2, vcc_lo, s2
	s_wait_loadcnt 0x4
	v_subrev_nc_u32_e32 v17, s12, v17
	s_delay_alu instid0(VALU_DEP_1) | instskip(SKIP_1) | instid1(VALU_DEP_2)
	v_mul_lo_u32 v40, v17, 6
	v_add_nc_u32_e32 v17, -4, v16
	v_lshl_add_u64 v[36:37], v[40:41], 3, s[10:11]
	global_load_b128 v[28:31], v[48:49], off
	global_load_b128 v[32:35], v[36:37], off
	s_clause 0x1
	global_load_b64 v[54:55], v14, s[8:9] scale_offset
	global_load_b64 v[56:57], v17, s[8:9] scale_offset
	s_wait_xcnt 0x0
	v_dual_add_nc_u32 v14, -15, v16 :: v_dual_add_nc_u32 v17, -9, v16
	v_add_nc_u32_e32 v41, -3, v16
	s_clause 0x1
	global_load_b64 v[58:59], v14, s[8:9] scale_offset
	global_load_b64 v[60:61], v17, s[8:9] scale_offset
	s_wait_xcnt 0x1
	v_add_nc_u32_e32 v14, 2, v40
	s_wait_xcnt 0x0
	v_add_nc_u32_e32 v17, -8, v16
	s_delay_alu instid0(VALU_DEP_2)
	v_lshl_add_u64 v[42:43], v[14:15], 3, s[10:11]
	global_load_b64 v[62:63], v41, s[8:9] scale_offset
	global_load_b128 v[36:39], v[42:43], off
	s_wait_xcnt 0x1
	v_dual_add_nc_u32 v14, -14, v16 :: v_dual_add_nc_u32 v41, -2, v16
	s_clause 0x2
	global_load_b64 v[64:65], v14, s[8:9] scale_offset
	global_load_b64 v[66:67], v17, s[8:9] scale_offset
	;; [unrolled: 1-line block ×3, first 2 shown]
	s_wait_xcnt 0x1
	v_dual_add_nc_u32 v14, -13, v16 :: v_dual_add_nc_u32 v17, -7, v16
	s_wait_xcnt 0x0
	v_add_nc_u32_e32 v41, -1, v16
	s_clause 0x1
	global_load_b64 v[70:71], v14, s[8:9] scale_offset
	global_load_b64 v[72:73], v17, s[8:9] scale_offset
	s_wait_xcnt 0x1
	v_add_nc_u32_e32 v14, 4, v40
	global_load_b64 v[74:75], v41, s[8:9] scale_offset
	s_wait_xcnt 0x1
	v_add_nc_u32_e32 v17, -6, v16
	v_lshl_add_u64 v[76:77], v[14:15], 3, s[10:11]
	global_load_b128 v[40:43], v[48:49], off offset:32
	global_load_b128 v[44:47], v[76:77], off
	v_add_nc_u32_e32 v14, -12, v16
	s_clause 0x2
	global_load_b64 v[48:49], v14, s[8:9] scale_offset
	global_load_b64 v[76:77], v17, s[8:9] scale_offset
	global_load_b64 v[78:79], v16, s[8:9] scale_offset
	s_wait_xcnt 0x0
	v_add_nc_u32_e32 v16, 0x180, v16
	s_wait_loadcnt 0x11
	v_fmac_f64_e32 v[0:1], v[28:29], v[32:33]
	v_fmac_f64_e32 v[12:13], v[20:21], v[32:33]
	;; [unrolled: 1-line block ×4, first 2 shown]
	s_delay_alu instid0(VALU_DEP_4) | instskip(NEXT) | instid1(VALU_DEP_4)
	v_fmac_f64_e32 v[0:1], v[30:31], v[34:35]
	v_fmac_f64_e32 v[12:13], v[22:23], v[34:35]
	s_wait_loadcnt 0x10
	s_delay_alu instid0(VALU_DEP_4) | instskip(SKIP_1) | instid1(VALU_DEP_4)
	v_fmac_f64_e32 v[10:11], v[54:55], v[34:35]
	s_wait_loadcnt 0xf
	v_fmac_f64_e32 v[8:9], v[56:57], v[34:35]
	s_wait_loadcnt 0xb
	s_delay_alu instid0(VALU_DEP_4) | instskip(NEXT) | instid1(VALU_DEP_4)
	v_fmac_f64_e32 v[0:1], v[24:25], v[36:37]
	v_fmac_f64_e32 v[12:13], v[58:59], v[36:37]
	s_delay_alu instid0(VALU_DEP_4) | instskip(NEXT) | instid1(VALU_DEP_4)
	v_fmac_f64_e32 v[10:11], v[60:61], v[36:37]
	v_fmac_f64_e32 v[8:9], v[62:63], v[36:37]
	s_delay_alu instid0(VALU_DEP_4) | instskip(SKIP_1) | instid1(VALU_DEP_4)
	v_fmac_f64_e32 v[0:1], v[26:27], v[38:39]
	s_wait_loadcnt 0xa
	v_fmac_f64_e32 v[12:13], v[64:65], v[38:39]
	s_wait_loadcnt 0x9
	s_delay_alu instid0(VALU_DEP_4) | instskip(SKIP_1) | instid1(VALU_DEP_4)
	v_fmac_f64_e32 v[10:11], v[66:67], v[38:39]
	s_wait_loadcnt 0x8
	v_fmac_f64_e32 v[8:9], v[68:69], v[38:39]
	s_wait_loadcnt 0x3
	s_delay_alu instid0(VALU_DEP_4) | instskip(NEXT) | instid1(VALU_DEP_4)
	v_fmac_f64_e32 v[0:1], v[40:41], v[44:45]
	v_fmac_f64_e32 v[12:13], v[70:71], v[44:45]
	s_delay_alu instid0(VALU_DEP_4) | instskip(NEXT) | instid1(VALU_DEP_4)
	v_fmac_f64_e32 v[10:11], v[72:73], v[44:45]
	v_fmac_f64_e32 v[8:9], v[74:75], v[44:45]
	s_delay_alu instid0(VALU_DEP_4) | instskip(SKIP_1) | instid1(VALU_DEP_4)
	v_fmac_f64_e32 v[0:1], v[42:43], v[46:47]
	s_wait_loadcnt 0x2
	v_fmac_f64_e32 v[12:13], v[48:49], v[46:47]
	s_wait_loadcnt 0x1
	s_delay_alu instid0(VALU_DEP_4) | instskip(SKIP_1) | instid1(VALU_DEP_4)
	v_fmac_f64_e32 v[10:11], v[76:77], v[46:47]
	s_wait_loadcnt 0x0
	v_fmac_f64_e32 v[8:9], v[78:79], v[46:47]
	s_and_not1_b32 exec_lo, exec_lo, s2
	s_cbranch_execnz .LBB59_15
; %bb.16:
	s_or_b32 exec_lo, exec_lo, s2
.LBB59_17:
	s_delay_alu instid0(SALU_CYCLE_1)
	s_or_b32 exec_lo, exec_lo, s3
.LBB59_18:
	v_mbcnt_lo_u32_b32 v24, -1, 0
	s_delay_alu instid0(VALU_DEP_1) | instskip(NEXT) | instid1(VALU_DEP_1)
	v_xor_b32_e32 v14, 8, v24
	v_cmp_gt_i32_e32 vcc_lo, 32, v14
	v_cndmask_b32_e32 v14, v24, v14, vcc_lo
	s_delay_alu instid0(VALU_DEP_1)
	v_lshlrev_b32_e32 v21, 2, v14
	ds_bpermute_b32 v16, v21, v12
	ds_bpermute_b32 v17, v21, v13
	s_wait_dscnt 0x0
	v_add_f64_e32 v[12:13], v[12:13], v[16:17]
	ds_bpermute_b32 v14, v21, v0
	ds_bpermute_b32 v15, v21, v1
	;; [unrolled: 1-line block ×6, first 2 shown]
	s_wait_dscnt 0x4
	v_dual_add_f64 v[0:1], v[0:1], v[14:15] :: v_dual_bitop2_b32 v14, 4, v24 bitop3:0x14
	s_wait_dscnt 0x2
	v_add_f64_e32 v[10:11], v[10:11], v[18:19]
	s_delay_alu instid0(VALU_DEP_2) | instskip(SKIP_2) | instid1(VALU_DEP_1)
	v_cmp_gt_i32_e32 vcc_lo, 32, v14
	v_cndmask_b32_e32 v14, v24, v14, vcc_lo
	s_wait_dscnt 0x0
	v_dual_add_f64 v[8:9], v[8:9], v[20:21] :: v_dual_lshlrev_b32 v21, 2, v14
	ds_bpermute_b32 v16, v21, v12
	ds_bpermute_b32 v17, v21, v13
	;; [unrolled: 1-line block ×8, first 2 shown]
	s_wait_dscnt 0x4
	v_add_f64_e32 v[0:1], v[0:1], v[14:15]
	v_add_f64_e32 v[14:15], v[12:13], v[16:17]
	s_wait_dscnt 0x2
	v_dual_add_f64 v[16:17], v[10:11], v[18:19] :: v_dual_bitop2_b32 v10, 2, v24 bitop3:0x14
	s_delay_alu instid0(VALU_DEP_1) | instskip(SKIP_3) | instid1(VALU_DEP_1)
	v_cmp_gt_i32_e32 vcc_lo, 32, v10
	s_wait_dscnt 0x0
	v_add_f64_e32 v[8:9], v[8:9], v[20:21]
	v_cndmask_b32_e32 v10, v24, v10, vcc_lo
	v_lshlrev_b32_e32 v12, 2, v10
	ds_bpermute_b32 v10, v12, v0
	ds_bpermute_b32 v11, v12, v1
	ds_bpermute_b32 v18, v12, v14
	ds_bpermute_b32 v19, v12, v15
	ds_bpermute_b32 v20, v12, v16
	ds_bpermute_b32 v21, v12, v17
	ds_bpermute_b32 v22, v12, v8
	ds_bpermute_b32 v23, v12, v9
	s_wait_dscnt 0x6
	v_add_f64_e32 v[12:13], v[0:1], v[10:11]
	s_wait_dscnt 0x4
	v_dual_add_f64 v[10:11], v[14:15], v[18:19] :: v_dual_bitop2_b32 v14, 1, v24 bitop3:0x14
	s_wait_dscnt 0x2
	v_add_f64_e32 v[0:1], v[16:17], v[20:21]
	s_delay_alu instid0(VALU_DEP_2) | instskip(SKIP_2) | instid1(VALU_DEP_2)
	v_cmp_gt_i32_e32 vcc_lo, 32, v14
	v_cndmask_b32_e32 v14, v24, v14, vcc_lo
	v_cmp_eq_u32_e32 vcc_lo, 15, v7
	v_lshlrev_b32_e32 v15, 2, v14
	s_wait_dscnt 0x0
	v_add_f64_e32 v[8:9], v[8:9], v[22:23]
	ds_bpermute_b32 v20, v15, v12
	ds_bpermute_b32 v21, v15, v13
	;; [unrolled: 1-line block ×8, first 2 shown]
	s_and_b32 exec_lo, exec_lo, vcc_lo
	s_cbranch_execz .LBB59_23
; %bb.19:
	s_wait_dscnt 0x6
	v_add_f64_e32 v[12:13], v[12:13], v[20:21]
	s_wait_dscnt 0x4
	v_add_f64_e32 v[10:11], v[10:11], v[18:19]
	;; [unrolled: 2-line block ×4, first 2 shown]
	s_load_b64 s[0:1], s[0:1], 0x38
	s_mov_b32 s2, exec_lo
	v_cmpx_eq_f64_e32 0, v[4:5]
	s_xor_b32 s2, exec_lo, s2
	s_cbranch_execz .LBB59_21
; %bb.20:
	v_dual_mul_f64 v[12:13], v[2:3], v[12:13] :: v_dual_lshlrev_b32 v4, 2, v6
	v_mul_f64_e32 v[14:15], v[2:3], v[10:11]
	v_mul_f64_e32 v[0:1], v[2:3], v[0:1]
	;; [unrolled: 1-line block ×3, first 2 shown]
                                        ; implicit-def: $vgpr6
                                        ; implicit-def: $vgpr10_vgpr11
                                        ; implicit-def: $vgpr8_vgpr9
	s_delay_alu instid0(VALU_DEP_4) | instskip(SKIP_1) | instid1(VALU_DEP_1)
	v_ashrrev_i32_e32 v5, 31, v4
	s_wait_kmcnt 0x0
	v_lshl_add_u64 v[4:5], v[4:5], 3, s[0:1]
	s_clause 0x1
	global_store_b128 v[4:5], v[12:15], off
	global_store_b128 v[4:5], v[0:3], off offset:16
                                        ; implicit-def: $vgpr2_vgpr3
                                        ; implicit-def: $vgpr12_vgpr13
                                        ; implicit-def: $vgpr4_vgpr5
                                        ; implicit-def: $vgpr0_vgpr1
.LBB59_21:
	s_wait_xcnt 0x0
	s_and_not1_saveexec_b32 s2, s2
	s_cbranch_execz .LBB59_23
; %bb.22:
	v_dual_mul_f64 v[22:23], v[2:3], v[12:13] :: v_dual_lshlrev_b32 v6, 2, v6
	v_mul_f64_e32 v[24:25], v[2:3], v[10:11]
	v_mul_f64_e32 v[0:1], v[2:3], v[0:1]
	s_delay_alu instid0(VALU_DEP_3) | instskip(SKIP_1) | instid1(VALU_DEP_1)
	v_dual_mul_f64 v[2:3], v[2:3], v[8:9] :: v_dual_ashrrev_i32 v7, 31, v6
	s_wait_kmcnt 0x0
	v_lshl_add_u64 v[6:7], v[6:7], 3, s[0:1]
	s_clause 0x1
	global_load_b128 v[14:17], v[6:7], off
	global_load_b128 v[18:21], v[6:7], off offset:16
	s_wait_loadcnt 0x1
	v_fmac_f64_e32 v[22:23], v[4:5], v[14:15]
	v_fmac_f64_e32 v[24:25], v[4:5], v[16:17]
	s_wait_loadcnt 0x0
	v_fmac_f64_e32 v[0:1], v[4:5], v[18:19]
	v_fmac_f64_e32 v[2:3], v[4:5], v[20:21]
	s_clause 0x1
	global_store_b128 v[6:7], v[22:25], off
	global_store_b128 v[6:7], v[0:3], off offset:16
.LBB59_23:
	s_sendmsg sendmsg(MSG_DEALLOC_VGPRS)
	s_endpgm
	.section	.rodata,"a",@progbits
	.p2align	6, 0x0
	.amdhsa_kernel _ZN9rocsparseL19gebsrmvn_4xn_kernelILj128ELj6ELj16EdEEvi20rocsparse_direction_NS_24const_host_device_scalarIT2_EEPKiS6_PKS3_S8_S4_PS3_21rocsparse_index_base_b
		.amdhsa_group_segment_fixed_size 0
		.amdhsa_private_segment_fixed_size 0
		.amdhsa_kernarg_size 72
		.amdhsa_user_sgpr_count 2
		.amdhsa_user_sgpr_dispatch_ptr 0
		.amdhsa_user_sgpr_queue_ptr 0
		.amdhsa_user_sgpr_kernarg_segment_ptr 1
		.amdhsa_user_sgpr_dispatch_id 0
		.amdhsa_user_sgpr_kernarg_preload_length 0
		.amdhsa_user_sgpr_kernarg_preload_offset 0
		.amdhsa_user_sgpr_private_segment_size 0
		.amdhsa_wavefront_size32 1
		.amdhsa_uses_dynamic_stack 0
		.amdhsa_enable_private_segment 0
		.amdhsa_system_sgpr_workgroup_id_x 1
		.amdhsa_system_sgpr_workgroup_id_y 0
		.amdhsa_system_sgpr_workgroup_id_z 0
		.amdhsa_system_sgpr_workgroup_info 0
		.amdhsa_system_vgpr_workitem_id 0
		.amdhsa_next_free_vgpr 84
		.amdhsa_next_free_sgpr 14
		.amdhsa_named_barrier_count 0
		.amdhsa_reserve_vcc 1
		.amdhsa_float_round_mode_32 0
		.amdhsa_float_round_mode_16_64 0
		.amdhsa_float_denorm_mode_32 3
		.amdhsa_float_denorm_mode_16_64 3
		.amdhsa_fp16_overflow 0
		.amdhsa_memory_ordered 1
		.amdhsa_forward_progress 1
		.amdhsa_inst_pref_size 20
		.amdhsa_round_robin_scheduling 0
		.amdhsa_exception_fp_ieee_invalid_op 0
		.amdhsa_exception_fp_denorm_src 0
		.amdhsa_exception_fp_ieee_div_zero 0
		.amdhsa_exception_fp_ieee_overflow 0
		.amdhsa_exception_fp_ieee_underflow 0
		.amdhsa_exception_fp_ieee_inexact 0
		.amdhsa_exception_int_div_zero 0
	.end_amdhsa_kernel
	.section	.text._ZN9rocsparseL19gebsrmvn_4xn_kernelILj128ELj6ELj16EdEEvi20rocsparse_direction_NS_24const_host_device_scalarIT2_EEPKiS6_PKS3_S8_S4_PS3_21rocsparse_index_base_b,"axG",@progbits,_ZN9rocsparseL19gebsrmvn_4xn_kernelILj128ELj6ELj16EdEEvi20rocsparse_direction_NS_24const_host_device_scalarIT2_EEPKiS6_PKS3_S8_S4_PS3_21rocsparse_index_base_b,comdat
.Lfunc_end59:
	.size	_ZN9rocsparseL19gebsrmvn_4xn_kernelILj128ELj6ELj16EdEEvi20rocsparse_direction_NS_24const_host_device_scalarIT2_EEPKiS6_PKS3_S8_S4_PS3_21rocsparse_index_base_b, .Lfunc_end59-_ZN9rocsparseL19gebsrmvn_4xn_kernelILj128ELj6ELj16EdEEvi20rocsparse_direction_NS_24const_host_device_scalarIT2_EEPKiS6_PKS3_S8_S4_PS3_21rocsparse_index_base_b
                                        ; -- End function
	.set _ZN9rocsparseL19gebsrmvn_4xn_kernelILj128ELj6ELj16EdEEvi20rocsparse_direction_NS_24const_host_device_scalarIT2_EEPKiS6_PKS3_S8_S4_PS3_21rocsparse_index_base_b.num_vgpr, 84
	.set _ZN9rocsparseL19gebsrmvn_4xn_kernelILj128ELj6ELj16EdEEvi20rocsparse_direction_NS_24const_host_device_scalarIT2_EEPKiS6_PKS3_S8_S4_PS3_21rocsparse_index_base_b.num_agpr, 0
	.set _ZN9rocsparseL19gebsrmvn_4xn_kernelILj128ELj6ELj16EdEEvi20rocsparse_direction_NS_24const_host_device_scalarIT2_EEPKiS6_PKS3_S8_S4_PS3_21rocsparse_index_base_b.numbered_sgpr, 14
	.set _ZN9rocsparseL19gebsrmvn_4xn_kernelILj128ELj6ELj16EdEEvi20rocsparse_direction_NS_24const_host_device_scalarIT2_EEPKiS6_PKS3_S8_S4_PS3_21rocsparse_index_base_b.num_named_barrier, 0
	.set _ZN9rocsparseL19gebsrmvn_4xn_kernelILj128ELj6ELj16EdEEvi20rocsparse_direction_NS_24const_host_device_scalarIT2_EEPKiS6_PKS3_S8_S4_PS3_21rocsparse_index_base_b.private_seg_size, 0
	.set _ZN9rocsparseL19gebsrmvn_4xn_kernelILj128ELj6ELj16EdEEvi20rocsparse_direction_NS_24const_host_device_scalarIT2_EEPKiS6_PKS3_S8_S4_PS3_21rocsparse_index_base_b.uses_vcc, 1
	.set _ZN9rocsparseL19gebsrmvn_4xn_kernelILj128ELj6ELj16EdEEvi20rocsparse_direction_NS_24const_host_device_scalarIT2_EEPKiS6_PKS3_S8_S4_PS3_21rocsparse_index_base_b.uses_flat_scratch, 0
	.set _ZN9rocsparseL19gebsrmvn_4xn_kernelILj128ELj6ELj16EdEEvi20rocsparse_direction_NS_24const_host_device_scalarIT2_EEPKiS6_PKS3_S8_S4_PS3_21rocsparse_index_base_b.has_dyn_sized_stack, 0
	.set _ZN9rocsparseL19gebsrmvn_4xn_kernelILj128ELj6ELj16EdEEvi20rocsparse_direction_NS_24const_host_device_scalarIT2_EEPKiS6_PKS3_S8_S4_PS3_21rocsparse_index_base_b.has_recursion, 0
	.set _ZN9rocsparseL19gebsrmvn_4xn_kernelILj128ELj6ELj16EdEEvi20rocsparse_direction_NS_24const_host_device_scalarIT2_EEPKiS6_PKS3_S8_S4_PS3_21rocsparse_index_base_b.has_indirect_call, 0
	.section	.AMDGPU.csdata,"",@progbits
; Kernel info:
; codeLenInByte = 2448
; TotalNumSgprs: 16
; NumVgprs: 84
; ScratchSize: 0
; MemoryBound: 1
; FloatMode: 240
; IeeeMode: 1
; LDSByteSize: 0 bytes/workgroup (compile time only)
; SGPRBlocks: 0
; VGPRBlocks: 5
; NumSGPRsForWavesPerEU: 16
; NumVGPRsForWavesPerEU: 84
; NamedBarCnt: 0
; Occupancy: 10
; WaveLimiterHint : 1
; COMPUTE_PGM_RSRC2:SCRATCH_EN: 0
; COMPUTE_PGM_RSRC2:USER_SGPR: 2
; COMPUTE_PGM_RSRC2:TRAP_HANDLER: 0
; COMPUTE_PGM_RSRC2:TGID_X_EN: 1
; COMPUTE_PGM_RSRC2:TGID_Y_EN: 0
; COMPUTE_PGM_RSRC2:TGID_Z_EN: 0
; COMPUTE_PGM_RSRC2:TIDIG_COMP_CNT: 0
	.section	.text._ZN9rocsparseL19gebsrmvn_4xn_kernelILj128ELj6ELj32EdEEvi20rocsparse_direction_NS_24const_host_device_scalarIT2_EEPKiS6_PKS3_S8_S4_PS3_21rocsparse_index_base_b,"axG",@progbits,_ZN9rocsparseL19gebsrmvn_4xn_kernelILj128ELj6ELj32EdEEvi20rocsparse_direction_NS_24const_host_device_scalarIT2_EEPKiS6_PKS3_S8_S4_PS3_21rocsparse_index_base_b,comdat
	.globl	_ZN9rocsparseL19gebsrmvn_4xn_kernelILj128ELj6ELj32EdEEvi20rocsparse_direction_NS_24const_host_device_scalarIT2_EEPKiS6_PKS3_S8_S4_PS3_21rocsparse_index_base_b ; -- Begin function _ZN9rocsparseL19gebsrmvn_4xn_kernelILj128ELj6ELj32EdEEvi20rocsparse_direction_NS_24const_host_device_scalarIT2_EEPKiS6_PKS3_S8_S4_PS3_21rocsparse_index_base_b
	.p2align	8
	.type	_ZN9rocsparseL19gebsrmvn_4xn_kernelILj128ELj6ELj32EdEEvi20rocsparse_direction_NS_24const_host_device_scalarIT2_EEPKiS6_PKS3_S8_S4_PS3_21rocsparse_index_base_b,@function
_ZN9rocsparseL19gebsrmvn_4xn_kernelILj128ELj6ELj32EdEEvi20rocsparse_direction_NS_24const_host_device_scalarIT2_EEPKiS6_PKS3_S8_S4_PS3_21rocsparse_index_base_b: ; @_ZN9rocsparseL19gebsrmvn_4xn_kernelILj128ELj6ELj32EdEEvi20rocsparse_direction_NS_24const_host_device_scalarIT2_EEPKiS6_PKS3_S8_S4_PS3_21rocsparse_index_base_b
; %bb.0:
	s_clause 0x2
	s_load_b64 s[12:13], s[0:1], 0x40
	s_load_b64 s[4:5], s[0:1], 0x8
	s_load_b64 s[2:3], s[0:1], 0x30
	s_wait_kmcnt 0x0
	s_bitcmp1_b32 s13, 0
	v_mov_b64_e32 v[2:3], s[4:5]
	s_cselect_b32 s6, -1, 0
	s_delay_alu instid0(SALU_CYCLE_1)
	s_and_b32 vcc_lo, exec_lo, s6
	s_xor_b32 s6, s6, -1
	s_cbranch_vccnz .LBB60_2
; %bb.1:
	v_mov_b32_e32 v1, 0
	flat_load_b64 v[2:3], v1, s[4:5]
.LBB60_2:
	v_mov_b64_e32 v[4:5], s[2:3]
	s_and_not1_b32 vcc_lo, exec_lo, s6
	s_cbranch_vccnz .LBB60_4
; %bb.3:
	s_wait_xcnt 0x0
	v_mov_b32_e32 v1, 0
	flat_load_b64 v[4:5], v1, s[2:3]
.LBB60_4:
	s_wait_loadcnt_dscnt 0x0
	v_cmp_neq_f64_e32 vcc_lo, 0, v[2:3]
	s_delay_alu instid0(VALU_DEP_2) | instskip(SKIP_1) | instid1(SALU_CYCLE_1)
	v_cmp_neq_f64_e64 s2, 1.0, v[4:5]
	s_or_b32 s2, vcc_lo, s2
	s_and_saveexec_b32 s3, s2
	s_cbranch_execz .LBB60_23
; %bb.5:
	s_load_b64 s[2:3], s[0:1], 0x0
	s_bfe_u32 s4, ttmp6, 0x4000c
	s_and_b32 s5, ttmp6, 15
	s_add_co_i32 s4, s4, 1
	s_getreg_b32 s6, hwreg(HW_REG_IB_STS2, 6, 4)
	s_mul_i32 s4, ttmp9, s4
	v_lshrrev_b32_e32 v1, 5, v0
	s_add_co_i32 s5, s5, s4
	s_cmp_eq_u32 s6, 0
	s_cselect_b32 s4, ttmp9, s5
	s_delay_alu instid0(VALU_DEP_1) | instid1(SALU_CYCLE_1)
	v_lshl_or_b32 v6, s4, 2, v1
	s_wait_kmcnt 0x0
	s_delay_alu instid0(VALU_DEP_1)
	v_cmp_gt_i32_e32 vcc_lo, s2, v6
	s_and_b32 exec_lo, exec_lo, vcc_lo
	s_cbranch_execz .LBB60_23
; %bb.6:
	s_load_b256 s[4:11], s[0:1], 0x10
	v_ashrrev_i32_e32 v7, 31, v6
	s_cmp_lg_u32 s3, 0
	s_wait_kmcnt 0x0
	s_delay_alu instid0(VALU_DEP_1)
	v_lshl_add_u64 v[8:9], v[6:7], 2, s[4:5]
	v_and_b32_e32 v7, 31, v0
	global_load_b64 v[8:9], v[8:9], off
	s_wait_loadcnt 0x0
	v_subrev_nc_u32_e32 v0, s12, v8
	v_subrev_nc_u32_e32 v18, s12, v9
	s_delay_alu instid0(VALU_DEP_2) | instskip(NEXT) | instid1(VALU_DEP_1)
	v_add_nc_u32_e32 v19, v0, v7
	v_cmp_lt_i32_e64 s2, v19, v18
	s_cbranch_scc0 .LBB60_12
; %bb.7:
	v_mov_b64_e32 v[0:1], 0
	v_mov_b64_e32 v[8:9], 0
	;; [unrolled: 1-line block ×4, first 2 shown]
	s_and_saveexec_b32 s3, s2
	s_cbranch_execz .LBB60_11
; %bb.8:
	v_mad_u32 v14, v19, 24, 20
	v_mov_b64_e32 v[0:1], 0
	v_mov_b64_e32 v[8:9], 0
	;; [unrolled: 1-line block ×4, first 2 shown]
	v_dual_mov_b32 v17, 0 :: v_dual_mov_b32 v20, v19
	s_mov_b32 s4, 0
.LBB60_9:                               ; =>This Inner Loop Header: Depth=1
	global_load_b32 v15, v20, s[6:7] scale_offset
	v_subrev_nc_u32_e32 v16, 20, v14
	s_wait_xcnt 0x0
	v_dual_mov_b32 v63, v17 :: v_dual_add_nc_u32 v20, 32, v20
	s_delay_alu instid0(VALU_DEP_2) | instskip(SKIP_1) | instid1(VALU_DEP_3)
	v_lshl_add_u64 v[42:43], v[16:17], 3, s[8:9]
	v_add_nc_u32_e32 v16, -12, v14
	v_cmp_ge_i32_e32 vcc_lo, v20, v18
	global_load_b128 v[22:25], v[42:43], off offset:16
	v_lshl_add_u64 v[54:55], v[16:17], 3, s[8:9]
	s_or_b32 s4, vcc_lo, s4
	s_wait_loadcnt 0x1
	v_subrev_nc_u32_e32 v15, s12, v15
	s_delay_alu instid0(VALU_DEP_1) | instskip(SKIP_1) | instid1(VALU_DEP_1)
	v_mul_lo_u32 v62, v15, 6
	v_mov_b32_e32 v15, v17
	v_lshl_add_u64 v[82:83], v[14:15], 3, s[8:9]
	s_delay_alu instid0(VALU_DEP_3)
	v_lshl_add_u64 v[44:45], v[62:63], 3, s[10:11]
	global_load_b128 v[26:29], v[42:43], off
	global_load_b128 v[30:33], v[44:45], off
	s_clause 0x1
	global_load_b128 v[34:37], v[42:43], off offset:32
	global_load_b128 v[38:41], v[42:43], off offset:48
	v_add_nc_u32_e32 v16, 2, v62
	global_load_b128 v[42:45], v[54:55], off offset:16
	v_lshl_add_u64 v[56:57], v[16:17], 3, s[10:11]
	global_load_b128 v[46:49], v[54:55], off
	global_load_b128 v[50:53], v[56:57], off
	v_add_nc_u32_e32 v16, -8, v14
	s_delay_alu instid0(VALU_DEP_1)
	v_lshl_add_u64 v[64:65], v[16:17], 3, s[8:9]
	s_clause 0x1
	global_load_b128 v[54:57], v[64:65], off
	global_load_b128 v[58:61], v[64:65], off offset:16
	v_add_nc_u32_e32 v16, -4, v14
	v_add_nc_u32_e32 v14, 0x300, v14
	s_delay_alu instid0(VALU_DEP_2) | instskip(SKIP_1) | instid1(VALU_DEP_1)
	v_lshl_add_u64 v[74:75], v[16:17], 3, s[8:9]
	v_add_nc_u32_e32 v16, 4, v62
	v_lshl_add_u64 v[76:77], v[16:17], 3, s[10:11]
	s_clause 0x1
	global_load_b128 v[62:65], v[74:75], off offset:16
	global_load_b128 v[66:69], v[74:75], off
	global_load_b128 v[70:73], v[76:77], off
	s_clause 0x1
	global_load_b128 v[74:77], v[82:83], off
	global_load_b128 v[78:81], v[82:83], off offset:16
	s_wait_loadcnt 0xc
	v_fmac_f64_e32 v[0:1], v[26:27], v[30:31]
	v_fmac_f64_e32 v[12:13], v[28:29], v[30:31]
	;; [unrolled: 1-line block ×4, first 2 shown]
	s_wait_loadcnt 0xb
	s_delay_alu instid0(VALU_DEP_4) | instskip(NEXT) | instid1(VALU_DEP_4)
	v_fmac_f64_e32 v[0:1], v[34:35], v[32:33]
	v_fmac_f64_e32 v[12:13], v[36:37], v[32:33]
	s_wait_loadcnt 0xa
	s_delay_alu instid0(VALU_DEP_4) | instskip(NEXT) | instid1(VALU_DEP_4)
	v_fmac_f64_e32 v[10:11], v[38:39], v[32:33]
	v_fmac_f64_e32 v[8:9], v[40:41], v[32:33]
	;; [unrolled: 4-line block ×3, first 2 shown]
	s_delay_alu instid0(VALU_DEP_4) | instskip(NEXT) | instid1(VALU_DEP_4)
	v_fmac_f64_e32 v[10:11], v[42:43], v[50:51]
	v_fmac_f64_e32 v[8:9], v[44:45], v[50:51]
	s_wait_loadcnt 0x6
	s_delay_alu instid0(VALU_DEP_4) | instskip(NEXT) | instid1(VALU_DEP_4)
	v_fmac_f64_e32 v[0:1], v[54:55], v[52:53]
	v_fmac_f64_e32 v[12:13], v[56:57], v[52:53]
	s_wait_loadcnt 0x5
	;; [unrolled: 4-line block ×3, first 2 shown]
	s_delay_alu instid0(VALU_DEP_4) | instskip(NEXT) | instid1(VALU_DEP_4)
	v_fmac_f64_e32 v[0:1], v[66:67], v[70:71]
	v_fmac_f64_e32 v[12:13], v[68:69], v[70:71]
	s_delay_alu instid0(VALU_DEP_4) | instskip(NEXT) | instid1(VALU_DEP_4)
	v_fmac_f64_e32 v[10:11], v[62:63], v[70:71]
	v_fmac_f64_e32 v[8:9], v[64:65], v[70:71]
	s_wait_loadcnt 0x1
	s_delay_alu instid0(VALU_DEP_4) | instskip(NEXT) | instid1(VALU_DEP_4)
	v_fmac_f64_e32 v[0:1], v[74:75], v[72:73]
	v_fmac_f64_e32 v[12:13], v[76:77], v[72:73]
	s_wait_loadcnt 0x0
	s_delay_alu instid0(VALU_DEP_4) | instskip(NEXT) | instid1(VALU_DEP_4)
	v_fmac_f64_e32 v[10:11], v[78:79], v[72:73]
	v_fmac_f64_e32 v[8:9], v[80:81], v[72:73]
	s_and_not1_b32 exec_lo, exec_lo, s4
	s_cbranch_execnz .LBB60_9
; %bb.10:
	s_or_b32 exec_lo, exec_lo, s4
.LBB60_11:
	s_delay_alu instid0(SALU_CYCLE_1)
	s_or_b32 exec_lo, exec_lo, s3
	s_cbranch_execz .LBB60_13
	s_branch .LBB60_18
.LBB60_12:
                                        ; implicit-def: $vgpr0_vgpr1
                                        ; implicit-def: $vgpr8_vgpr9
                                        ; implicit-def: $vgpr10_vgpr11
                                        ; implicit-def: $vgpr12_vgpr13
.LBB60_13:
	v_mov_b64_e32 v[0:1], 0
	v_mov_b64_e32 v[8:9], 0
	;; [unrolled: 1-line block ×4, first 2 shown]
	s_and_saveexec_b32 s3, s2
	s_cbranch_execz .LBB60_17
; %bb.14:
	v_mad_u32 v16, v19, 24, 23
	v_mov_b64_e32 v[0:1], 0
	v_mov_b64_e32 v[8:9], 0
	;; [unrolled: 1-line block ×4, first 2 shown]
	v_mov_b32_e32 v15, 0
	s_mov_b32 s2, 0
.LBB60_15:                              ; =>This Inner Loop Header: Depth=1
	global_load_b32 v17, v19, s[6:7] scale_offset
	v_subrev_nc_u32_e32 v14, 23, v16
	v_dual_mov_b32 v41, v15 :: v_dual_add_nc_u32 v28, -11, v16
	s_wait_xcnt 0x0
	v_dual_add_nc_u32 v29, -5, v16 :: v_dual_add_nc_u32 v19, 32, v19
	s_delay_alu instid0(VALU_DEP_3)
	v_lshl_add_u64 v[48:49], v[14:15], 3, s[8:9]
	v_add_nc_u32_e32 v14, -10, v16
	s_clause 0x3
	global_load_b64 v[50:51], v28, s[8:9] scale_offset
	global_load_b64 v[52:53], v29, s[8:9] scale_offset
	global_load_b128 v[20:23], v[48:49], off offset:48
	global_load_b128 v[24:27], v[48:49], off offset:16
	v_cmp_ge_i32_e32 vcc_lo, v19, v18
	s_or_b32 s2, vcc_lo, s2
	s_wait_loadcnt 0x4
	v_subrev_nc_u32_e32 v17, s12, v17
	s_delay_alu instid0(VALU_DEP_1) | instskip(SKIP_1) | instid1(VALU_DEP_2)
	v_mul_lo_u32 v40, v17, 6
	v_add_nc_u32_e32 v17, -4, v16
	v_lshl_add_u64 v[36:37], v[40:41], 3, s[10:11]
	global_load_b128 v[28:31], v[48:49], off
	global_load_b128 v[32:35], v[36:37], off
	s_clause 0x1
	global_load_b64 v[54:55], v14, s[8:9] scale_offset
	global_load_b64 v[56:57], v17, s[8:9] scale_offset
	s_wait_xcnt 0x0
	v_dual_add_nc_u32 v14, -15, v16 :: v_dual_add_nc_u32 v17, -9, v16
	v_add_nc_u32_e32 v41, -3, v16
	s_clause 0x1
	global_load_b64 v[58:59], v14, s[8:9] scale_offset
	global_load_b64 v[60:61], v17, s[8:9] scale_offset
	s_wait_xcnt 0x1
	v_add_nc_u32_e32 v14, 2, v40
	s_wait_xcnt 0x0
	v_add_nc_u32_e32 v17, -8, v16
	s_delay_alu instid0(VALU_DEP_2)
	v_lshl_add_u64 v[42:43], v[14:15], 3, s[10:11]
	global_load_b64 v[62:63], v41, s[8:9] scale_offset
	global_load_b128 v[36:39], v[42:43], off
	s_wait_xcnt 0x1
	v_dual_add_nc_u32 v14, -14, v16 :: v_dual_add_nc_u32 v41, -2, v16
	s_clause 0x2
	global_load_b64 v[64:65], v14, s[8:9] scale_offset
	global_load_b64 v[66:67], v17, s[8:9] scale_offset
	;; [unrolled: 1-line block ×3, first 2 shown]
	s_wait_xcnt 0x1
	v_dual_add_nc_u32 v14, -13, v16 :: v_dual_add_nc_u32 v17, -7, v16
	s_wait_xcnt 0x0
	v_add_nc_u32_e32 v41, -1, v16
	s_clause 0x1
	global_load_b64 v[70:71], v14, s[8:9] scale_offset
	global_load_b64 v[72:73], v17, s[8:9] scale_offset
	s_wait_xcnt 0x1
	v_add_nc_u32_e32 v14, 4, v40
	global_load_b64 v[74:75], v41, s[8:9] scale_offset
	s_wait_xcnt 0x1
	v_add_nc_u32_e32 v17, -6, v16
	v_lshl_add_u64 v[76:77], v[14:15], 3, s[10:11]
	global_load_b128 v[40:43], v[48:49], off offset:32
	global_load_b128 v[44:47], v[76:77], off
	v_add_nc_u32_e32 v14, -12, v16
	s_clause 0x2
	global_load_b64 v[48:49], v14, s[8:9] scale_offset
	global_load_b64 v[76:77], v17, s[8:9] scale_offset
	;; [unrolled: 1-line block ×3, first 2 shown]
	s_wait_xcnt 0x0
	v_add_nc_u32_e32 v16, 0x300, v16
	s_wait_loadcnt 0x11
	v_fmac_f64_e32 v[0:1], v[28:29], v[32:33]
	v_fmac_f64_e32 v[12:13], v[20:21], v[32:33]
	;; [unrolled: 1-line block ×4, first 2 shown]
	s_delay_alu instid0(VALU_DEP_4) | instskip(NEXT) | instid1(VALU_DEP_4)
	v_fmac_f64_e32 v[0:1], v[30:31], v[34:35]
	v_fmac_f64_e32 v[12:13], v[22:23], v[34:35]
	s_wait_loadcnt 0x10
	s_delay_alu instid0(VALU_DEP_4) | instskip(SKIP_1) | instid1(VALU_DEP_4)
	v_fmac_f64_e32 v[10:11], v[54:55], v[34:35]
	s_wait_loadcnt 0xf
	v_fmac_f64_e32 v[8:9], v[56:57], v[34:35]
	s_wait_loadcnt 0xb
	s_delay_alu instid0(VALU_DEP_4) | instskip(NEXT) | instid1(VALU_DEP_4)
	v_fmac_f64_e32 v[0:1], v[24:25], v[36:37]
	v_fmac_f64_e32 v[12:13], v[58:59], v[36:37]
	s_delay_alu instid0(VALU_DEP_4) | instskip(NEXT) | instid1(VALU_DEP_4)
	v_fmac_f64_e32 v[10:11], v[60:61], v[36:37]
	v_fmac_f64_e32 v[8:9], v[62:63], v[36:37]
	s_delay_alu instid0(VALU_DEP_4) | instskip(SKIP_1) | instid1(VALU_DEP_4)
	v_fmac_f64_e32 v[0:1], v[26:27], v[38:39]
	s_wait_loadcnt 0xa
	v_fmac_f64_e32 v[12:13], v[64:65], v[38:39]
	s_wait_loadcnt 0x9
	s_delay_alu instid0(VALU_DEP_4) | instskip(SKIP_1) | instid1(VALU_DEP_4)
	v_fmac_f64_e32 v[10:11], v[66:67], v[38:39]
	s_wait_loadcnt 0x8
	v_fmac_f64_e32 v[8:9], v[68:69], v[38:39]
	s_wait_loadcnt 0x3
	s_delay_alu instid0(VALU_DEP_4) | instskip(NEXT) | instid1(VALU_DEP_4)
	v_fmac_f64_e32 v[0:1], v[40:41], v[44:45]
	v_fmac_f64_e32 v[12:13], v[70:71], v[44:45]
	s_delay_alu instid0(VALU_DEP_4) | instskip(NEXT) | instid1(VALU_DEP_4)
	v_fmac_f64_e32 v[10:11], v[72:73], v[44:45]
	v_fmac_f64_e32 v[8:9], v[74:75], v[44:45]
	s_delay_alu instid0(VALU_DEP_4) | instskip(SKIP_1) | instid1(VALU_DEP_4)
	v_fmac_f64_e32 v[0:1], v[42:43], v[46:47]
	s_wait_loadcnt 0x2
	v_fmac_f64_e32 v[12:13], v[48:49], v[46:47]
	s_wait_loadcnt 0x1
	s_delay_alu instid0(VALU_DEP_4) | instskip(SKIP_1) | instid1(VALU_DEP_4)
	v_fmac_f64_e32 v[10:11], v[76:77], v[46:47]
	s_wait_loadcnt 0x0
	v_fmac_f64_e32 v[8:9], v[78:79], v[46:47]
	s_and_not1_b32 exec_lo, exec_lo, s2
	s_cbranch_execnz .LBB60_15
; %bb.16:
	s_or_b32 exec_lo, exec_lo, s2
.LBB60_17:
	s_delay_alu instid0(SALU_CYCLE_1)
	s_or_b32 exec_lo, exec_lo, s3
.LBB60_18:
	v_mbcnt_lo_u32_b32 v24, -1, 0
	s_delay_alu instid0(VALU_DEP_1) | instskip(NEXT) | instid1(VALU_DEP_1)
	v_xor_b32_e32 v14, 16, v24
	v_cmp_gt_i32_e32 vcc_lo, 32, v14
	v_cndmask_b32_e32 v14, v24, v14, vcc_lo
	s_delay_alu instid0(VALU_DEP_1)
	v_lshlrev_b32_e32 v21, 2, v14
	ds_bpermute_b32 v16, v21, v12
	ds_bpermute_b32 v17, v21, v13
	s_wait_dscnt 0x0
	v_add_f64_e32 v[12:13], v[12:13], v[16:17]
	ds_bpermute_b32 v14, v21, v0
	ds_bpermute_b32 v15, v21, v1
	;; [unrolled: 1-line block ×6, first 2 shown]
	s_wait_dscnt 0x4
	v_dual_add_f64 v[0:1], v[0:1], v[14:15] :: v_dual_bitop2_b32 v14, 8, v24 bitop3:0x14
	s_wait_dscnt 0x2
	v_add_f64_e32 v[10:11], v[10:11], v[18:19]
	s_delay_alu instid0(VALU_DEP_2) | instskip(SKIP_2) | instid1(VALU_DEP_1)
	v_cmp_gt_i32_e32 vcc_lo, 32, v14
	v_cndmask_b32_e32 v14, v24, v14, vcc_lo
	s_wait_dscnt 0x0
	v_dual_add_f64 v[8:9], v[8:9], v[20:21] :: v_dual_lshlrev_b32 v21, 2, v14
	ds_bpermute_b32 v16, v21, v12
	ds_bpermute_b32 v17, v21, v13
	;; [unrolled: 1-line block ×8, first 2 shown]
	s_wait_dscnt 0x4
	v_dual_add_f64 v[0:1], v[0:1], v[14:15] :: v_dual_bitop2_b32 v14, 4, v24 bitop3:0x14
	s_wait_dscnt 0x2
	v_add_f64_e32 v[10:11], v[10:11], v[18:19]
	s_delay_alu instid0(VALU_DEP_2) | instskip(SKIP_3) | instid1(VALU_DEP_2)
	v_cmp_gt_i32_e32 vcc_lo, 32, v14
	v_cndmask_b32_e32 v14, v24, v14, vcc_lo
	v_add_f64_e32 v[12:13], v[12:13], v[16:17]
	s_wait_dscnt 0x0
	v_dual_add_f64 v[8:9], v[8:9], v[20:21] :: v_dual_lshlrev_b32 v21, 2, v14
	ds_bpermute_b32 v14, v21, v0
	ds_bpermute_b32 v15, v21, v1
	;; [unrolled: 1-line block ×6, first 2 shown]
	s_wait_dscnt 0x4
	v_add_f64_e32 v[0:1], v[0:1], v[14:15]
	s_wait_dscnt 0x0
	v_add_f64_e32 v[14:15], v[12:13], v[16:17]
	v_dual_add_f64 v[16:17], v[10:11], v[18:19] :: v_dual_bitop2_b32 v10, 2, v24 bitop3:0x14
	s_delay_alu instid0(VALU_DEP_1) | instskip(SKIP_1) | instid1(VALU_DEP_1)
	v_cmp_gt_i32_e32 vcc_lo, 32, v10
	v_cndmask_b32_e32 v10, v24, v10, vcc_lo
	v_lshlrev_b32_e32 v12, 2, v10
	ds_bpermute_b32 v20, v21, v8
	ds_bpermute_b32 v21, v21, v9
	;; [unrolled: 1-line block ×6, first 2 shown]
	s_wait_dscnt 0x4
	v_add_f64_e32 v[8:9], v[8:9], v[20:21]
	ds_bpermute_b32 v20, v12, v16
	ds_bpermute_b32 v21, v12, v17
	;; [unrolled: 1-line block ×4, first 2 shown]
	s_wait_dscnt 0x6
	v_add_f64_e32 v[12:13], v[0:1], v[10:11]
	s_wait_dscnt 0x4
	v_dual_add_f64 v[10:11], v[14:15], v[18:19] :: v_dual_bitop2_b32 v14, 1, v24 bitop3:0x14
	s_wait_dscnt 0x2
	v_add_f64_e32 v[0:1], v[16:17], v[20:21]
	s_delay_alu instid0(VALU_DEP_2) | instskip(SKIP_2) | instid1(VALU_DEP_2)
	v_cmp_gt_i32_e32 vcc_lo, 32, v14
	v_cndmask_b32_e32 v14, v24, v14, vcc_lo
	v_cmp_eq_u32_e32 vcc_lo, 31, v7
	v_lshlrev_b32_e32 v15, 2, v14
	s_wait_dscnt 0x0
	v_add_f64_e32 v[8:9], v[8:9], v[22:23]
	ds_bpermute_b32 v20, v15, v12
	ds_bpermute_b32 v21, v15, v13
	;; [unrolled: 1-line block ×8, first 2 shown]
	s_and_b32 exec_lo, exec_lo, vcc_lo
	s_cbranch_execz .LBB60_23
; %bb.19:
	s_wait_dscnt 0x6
	v_add_f64_e32 v[12:13], v[12:13], v[20:21]
	s_wait_dscnt 0x4
	v_add_f64_e32 v[10:11], v[10:11], v[18:19]
	;; [unrolled: 2-line block ×4, first 2 shown]
	s_load_b64 s[0:1], s[0:1], 0x38
	s_mov_b32 s2, exec_lo
	v_cmpx_eq_f64_e32 0, v[4:5]
	s_xor_b32 s2, exec_lo, s2
	s_cbranch_execz .LBB60_21
; %bb.20:
	v_dual_mul_f64 v[12:13], v[2:3], v[12:13] :: v_dual_lshlrev_b32 v4, 2, v6
	v_mul_f64_e32 v[14:15], v[2:3], v[10:11]
	v_mul_f64_e32 v[0:1], v[2:3], v[0:1]
	;; [unrolled: 1-line block ×3, first 2 shown]
                                        ; implicit-def: $vgpr6
                                        ; implicit-def: $vgpr10_vgpr11
                                        ; implicit-def: $vgpr8_vgpr9
	s_delay_alu instid0(VALU_DEP_4) | instskip(SKIP_1) | instid1(VALU_DEP_1)
	v_ashrrev_i32_e32 v5, 31, v4
	s_wait_kmcnt 0x0
	v_lshl_add_u64 v[4:5], v[4:5], 3, s[0:1]
	s_clause 0x1
	global_store_b128 v[4:5], v[12:15], off
	global_store_b128 v[4:5], v[0:3], off offset:16
                                        ; implicit-def: $vgpr2_vgpr3
                                        ; implicit-def: $vgpr12_vgpr13
                                        ; implicit-def: $vgpr4_vgpr5
                                        ; implicit-def: $vgpr0_vgpr1
.LBB60_21:
	s_wait_xcnt 0x0
	s_and_not1_saveexec_b32 s2, s2
	s_cbranch_execz .LBB60_23
; %bb.22:
	v_dual_mul_f64 v[22:23], v[2:3], v[12:13] :: v_dual_lshlrev_b32 v6, 2, v6
	v_mul_f64_e32 v[24:25], v[2:3], v[10:11]
	v_mul_f64_e32 v[0:1], v[2:3], v[0:1]
	s_delay_alu instid0(VALU_DEP_3) | instskip(SKIP_1) | instid1(VALU_DEP_1)
	v_dual_mul_f64 v[2:3], v[2:3], v[8:9] :: v_dual_ashrrev_i32 v7, 31, v6
	s_wait_kmcnt 0x0
	v_lshl_add_u64 v[6:7], v[6:7], 3, s[0:1]
	s_clause 0x1
	global_load_b128 v[14:17], v[6:7], off
	global_load_b128 v[18:21], v[6:7], off offset:16
	s_wait_loadcnt 0x1
	v_fmac_f64_e32 v[22:23], v[4:5], v[14:15]
	v_fmac_f64_e32 v[24:25], v[4:5], v[16:17]
	s_wait_loadcnt 0x0
	v_fmac_f64_e32 v[0:1], v[4:5], v[18:19]
	v_fmac_f64_e32 v[2:3], v[4:5], v[20:21]
	s_clause 0x1
	global_store_b128 v[6:7], v[22:25], off
	global_store_b128 v[6:7], v[0:3], off offset:16
.LBB60_23:
	s_sendmsg sendmsg(MSG_DEALLOC_VGPRS)
	s_endpgm
	.section	.rodata,"a",@progbits
	.p2align	6, 0x0
	.amdhsa_kernel _ZN9rocsparseL19gebsrmvn_4xn_kernelILj128ELj6ELj32EdEEvi20rocsparse_direction_NS_24const_host_device_scalarIT2_EEPKiS6_PKS3_S8_S4_PS3_21rocsparse_index_base_b
		.amdhsa_group_segment_fixed_size 0
		.amdhsa_private_segment_fixed_size 0
		.amdhsa_kernarg_size 72
		.amdhsa_user_sgpr_count 2
		.amdhsa_user_sgpr_dispatch_ptr 0
		.amdhsa_user_sgpr_queue_ptr 0
		.amdhsa_user_sgpr_kernarg_segment_ptr 1
		.amdhsa_user_sgpr_dispatch_id 0
		.amdhsa_user_sgpr_kernarg_preload_length 0
		.amdhsa_user_sgpr_kernarg_preload_offset 0
		.amdhsa_user_sgpr_private_segment_size 0
		.amdhsa_wavefront_size32 1
		.amdhsa_uses_dynamic_stack 0
		.amdhsa_enable_private_segment 0
		.amdhsa_system_sgpr_workgroup_id_x 1
		.amdhsa_system_sgpr_workgroup_id_y 0
		.amdhsa_system_sgpr_workgroup_id_z 0
		.amdhsa_system_sgpr_workgroup_info 0
		.amdhsa_system_vgpr_workitem_id 0
		.amdhsa_next_free_vgpr 84
		.amdhsa_next_free_sgpr 14
		.amdhsa_named_barrier_count 0
		.amdhsa_reserve_vcc 1
		.amdhsa_float_round_mode_32 0
		.amdhsa_float_round_mode_16_64 0
		.amdhsa_float_denorm_mode_32 3
		.amdhsa_float_denorm_mode_16_64 3
		.amdhsa_fp16_overflow 0
		.amdhsa_memory_ordered 1
		.amdhsa_forward_progress 1
		.amdhsa_inst_pref_size 21
		.amdhsa_round_robin_scheduling 0
		.amdhsa_exception_fp_ieee_invalid_op 0
		.amdhsa_exception_fp_denorm_src 0
		.amdhsa_exception_fp_ieee_div_zero 0
		.amdhsa_exception_fp_ieee_overflow 0
		.amdhsa_exception_fp_ieee_underflow 0
		.amdhsa_exception_fp_ieee_inexact 0
		.amdhsa_exception_int_div_zero 0
	.end_amdhsa_kernel
	.section	.text._ZN9rocsparseL19gebsrmvn_4xn_kernelILj128ELj6ELj32EdEEvi20rocsparse_direction_NS_24const_host_device_scalarIT2_EEPKiS6_PKS3_S8_S4_PS3_21rocsparse_index_base_b,"axG",@progbits,_ZN9rocsparseL19gebsrmvn_4xn_kernelILj128ELj6ELj32EdEEvi20rocsparse_direction_NS_24const_host_device_scalarIT2_EEPKiS6_PKS3_S8_S4_PS3_21rocsparse_index_base_b,comdat
.Lfunc_end60:
	.size	_ZN9rocsparseL19gebsrmvn_4xn_kernelILj128ELj6ELj32EdEEvi20rocsparse_direction_NS_24const_host_device_scalarIT2_EEPKiS6_PKS3_S8_S4_PS3_21rocsparse_index_base_b, .Lfunc_end60-_ZN9rocsparseL19gebsrmvn_4xn_kernelILj128ELj6ELj32EdEEvi20rocsparse_direction_NS_24const_host_device_scalarIT2_EEPKiS6_PKS3_S8_S4_PS3_21rocsparse_index_base_b
                                        ; -- End function
	.set _ZN9rocsparseL19gebsrmvn_4xn_kernelILj128ELj6ELj32EdEEvi20rocsparse_direction_NS_24const_host_device_scalarIT2_EEPKiS6_PKS3_S8_S4_PS3_21rocsparse_index_base_b.num_vgpr, 84
	.set _ZN9rocsparseL19gebsrmvn_4xn_kernelILj128ELj6ELj32EdEEvi20rocsparse_direction_NS_24const_host_device_scalarIT2_EEPKiS6_PKS3_S8_S4_PS3_21rocsparse_index_base_b.num_agpr, 0
	.set _ZN9rocsparseL19gebsrmvn_4xn_kernelILj128ELj6ELj32EdEEvi20rocsparse_direction_NS_24const_host_device_scalarIT2_EEPKiS6_PKS3_S8_S4_PS3_21rocsparse_index_base_b.numbered_sgpr, 14
	.set _ZN9rocsparseL19gebsrmvn_4xn_kernelILj128ELj6ELj32EdEEvi20rocsparse_direction_NS_24const_host_device_scalarIT2_EEPKiS6_PKS3_S8_S4_PS3_21rocsparse_index_base_b.num_named_barrier, 0
	.set _ZN9rocsparseL19gebsrmvn_4xn_kernelILj128ELj6ELj32EdEEvi20rocsparse_direction_NS_24const_host_device_scalarIT2_EEPKiS6_PKS3_S8_S4_PS3_21rocsparse_index_base_b.private_seg_size, 0
	.set _ZN9rocsparseL19gebsrmvn_4xn_kernelILj128ELj6ELj32EdEEvi20rocsparse_direction_NS_24const_host_device_scalarIT2_EEPKiS6_PKS3_S8_S4_PS3_21rocsparse_index_base_b.uses_vcc, 1
	.set _ZN9rocsparseL19gebsrmvn_4xn_kernelILj128ELj6ELj32EdEEvi20rocsparse_direction_NS_24const_host_device_scalarIT2_EEPKiS6_PKS3_S8_S4_PS3_21rocsparse_index_base_b.uses_flat_scratch, 0
	.set _ZN9rocsparseL19gebsrmvn_4xn_kernelILj128ELj6ELj32EdEEvi20rocsparse_direction_NS_24const_host_device_scalarIT2_EEPKiS6_PKS3_S8_S4_PS3_21rocsparse_index_base_b.has_dyn_sized_stack, 0
	.set _ZN9rocsparseL19gebsrmvn_4xn_kernelILj128ELj6ELj32EdEEvi20rocsparse_direction_NS_24const_host_device_scalarIT2_EEPKiS6_PKS3_S8_S4_PS3_21rocsparse_index_base_b.has_recursion, 0
	.set _ZN9rocsparseL19gebsrmvn_4xn_kernelILj128ELj6ELj32EdEEvi20rocsparse_direction_NS_24const_host_device_scalarIT2_EEPKiS6_PKS3_S8_S4_PS3_21rocsparse_index_base_b.has_indirect_call, 0
	.section	.AMDGPU.csdata,"",@progbits
; Kernel info:
; codeLenInByte = 2568
; TotalNumSgprs: 16
; NumVgprs: 84
; ScratchSize: 0
; MemoryBound: 1
; FloatMode: 240
; IeeeMode: 1
; LDSByteSize: 0 bytes/workgroup (compile time only)
; SGPRBlocks: 0
; VGPRBlocks: 5
; NumSGPRsForWavesPerEU: 16
; NumVGPRsForWavesPerEU: 84
; NamedBarCnt: 0
; Occupancy: 10
; WaveLimiterHint : 1
; COMPUTE_PGM_RSRC2:SCRATCH_EN: 0
; COMPUTE_PGM_RSRC2:USER_SGPR: 2
; COMPUTE_PGM_RSRC2:TRAP_HANDLER: 0
; COMPUTE_PGM_RSRC2:TGID_X_EN: 1
; COMPUTE_PGM_RSRC2:TGID_Y_EN: 0
; COMPUTE_PGM_RSRC2:TGID_Z_EN: 0
; COMPUTE_PGM_RSRC2:TIDIG_COMP_CNT: 0
	.section	.text._ZN9rocsparseL19gebsrmvn_4xn_kernelILj128ELj6ELj64EdEEvi20rocsparse_direction_NS_24const_host_device_scalarIT2_EEPKiS6_PKS3_S8_S4_PS3_21rocsparse_index_base_b,"axG",@progbits,_ZN9rocsparseL19gebsrmvn_4xn_kernelILj128ELj6ELj64EdEEvi20rocsparse_direction_NS_24const_host_device_scalarIT2_EEPKiS6_PKS3_S8_S4_PS3_21rocsparse_index_base_b,comdat
	.globl	_ZN9rocsparseL19gebsrmvn_4xn_kernelILj128ELj6ELj64EdEEvi20rocsparse_direction_NS_24const_host_device_scalarIT2_EEPKiS6_PKS3_S8_S4_PS3_21rocsparse_index_base_b ; -- Begin function _ZN9rocsparseL19gebsrmvn_4xn_kernelILj128ELj6ELj64EdEEvi20rocsparse_direction_NS_24const_host_device_scalarIT2_EEPKiS6_PKS3_S8_S4_PS3_21rocsparse_index_base_b
	.p2align	8
	.type	_ZN9rocsparseL19gebsrmvn_4xn_kernelILj128ELj6ELj64EdEEvi20rocsparse_direction_NS_24const_host_device_scalarIT2_EEPKiS6_PKS3_S8_S4_PS3_21rocsparse_index_base_b,@function
_ZN9rocsparseL19gebsrmvn_4xn_kernelILj128ELj6ELj64EdEEvi20rocsparse_direction_NS_24const_host_device_scalarIT2_EEPKiS6_PKS3_S8_S4_PS3_21rocsparse_index_base_b: ; @_ZN9rocsparseL19gebsrmvn_4xn_kernelILj128ELj6ELj64EdEEvi20rocsparse_direction_NS_24const_host_device_scalarIT2_EEPKiS6_PKS3_S8_S4_PS3_21rocsparse_index_base_b
; %bb.0:
	s_clause 0x2
	s_load_b64 s[12:13], s[0:1], 0x40
	s_load_b64 s[4:5], s[0:1], 0x8
	;; [unrolled: 1-line block ×3, first 2 shown]
	s_wait_kmcnt 0x0
	s_bitcmp1_b32 s13, 0
	v_mov_b64_e32 v[2:3], s[4:5]
	s_cselect_b32 s6, -1, 0
	s_delay_alu instid0(SALU_CYCLE_1)
	s_and_b32 vcc_lo, exec_lo, s6
	s_xor_b32 s6, s6, -1
	s_cbranch_vccnz .LBB61_2
; %bb.1:
	v_mov_b32_e32 v1, 0
	flat_load_b64 v[2:3], v1, s[4:5]
.LBB61_2:
	v_mov_b64_e32 v[4:5], s[2:3]
	s_and_not1_b32 vcc_lo, exec_lo, s6
	s_cbranch_vccnz .LBB61_4
; %bb.3:
	s_wait_xcnt 0x0
	v_mov_b32_e32 v1, 0
	flat_load_b64 v[4:5], v1, s[2:3]
.LBB61_4:
	s_wait_loadcnt_dscnt 0x0
	v_cmp_neq_f64_e32 vcc_lo, 0, v[2:3]
	s_delay_alu instid0(VALU_DEP_2) | instskip(SKIP_1) | instid1(SALU_CYCLE_1)
	v_cmp_neq_f64_e64 s2, 1.0, v[4:5]
	s_or_b32 s2, vcc_lo, s2
	s_and_saveexec_b32 s3, s2
	s_cbranch_execz .LBB61_23
; %bb.5:
	s_load_b64 s[2:3], s[0:1], 0x0
	s_bfe_u32 s4, ttmp6, 0x4000c
	s_and_b32 s5, ttmp6, 15
	s_add_co_i32 s4, s4, 1
	s_getreg_b32 s6, hwreg(HW_REG_IB_STS2, 6, 4)
	s_mul_i32 s4, ttmp9, s4
	v_lshrrev_b32_e32 v1, 6, v0
	s_add_co_i32 s5, s5, s4
	s_cmp_eq_u32 s6, 0
	s_cselect_b32 s4, ttmp9, s5
	s_delay_alu instid0(VALU_DEP_1) | instid1(SALU_CYCLE_1)
	v_lshl_or_b32 v6, s4, 1, v1
	s_wait_kmcnt 0x0
	s_delay_alu instid0(VALU_DEP_1)
	v_cmp_gt_i32_e32 vcc_lo, s2, v6
	s_and_b32 exec_lo, exec_lo, vcc_lo
	s_cbranch_execz .LBB61_23
; %bb.6:
	s_load_b256 s[4:11], s[0:1], 0x10
	v_ashrrev_i32_e32 v7, 31, v6
	s_cmp_lg_u32 s3, 0
	s_wait_kmcnt 0x0
	s_delay_alu instid0(VALU_DEP_1)
	v_lshl_add_u64 v[8:9], v[6:7], 2, s[4:5]
	v_and_b32_e32 v7, 63, v0
	global_load_b64 v[8:9], v[8:9], off
	s_wait_loadcnt 0x0
	v_subrev_nc_u32_e32 v0, s12, v8
	v_subrev_nc_u32_e32 v18, s12, v9
	s_delay_alu instid0(VALU_DEP_2) | instskip(NEXT) | instid1(VALU_DEP_1)
	v_add_nc_u32_e32 v19, v0, v7
	v_cmp_lt_i32_e64 s2, v19, v18
	s_cbranch_scc0 .LBB61_12
; %bb.7:
	v_mov_b64_e32 v[0:1], 0
	v_mov_b64_e32 v[8:9], 0
	;; [unrolled: 1-line block ×4, first 2 shown]
	s_and_saveexec_b32 s3, s2
	s_cbranch_execz .LBB61_11
; %bb.8:
	v_mad_u32 v14, v19, 24, 20
	v_mov_b64_e32 v[0:1], 0
	v_mov_b64_e32 v[8:9], 0
	v_mov_b64_e32 v[10:11], 0
	v_mov_b64_e32 v[12:13], 0
	v_dual_mov_b32 v17, 0 :: v_dual_mov_b32 v20, v19
	s_mov_b32 s4, 0
.LBB61_9:                               ; =>This Inner Loop Header: Depth=1
	global_load_b32 v15, v20, s[6:7] scale_offset
	v_subrev_nc_u32_e32 v16, 20, v14
	s_wait_xcnt 0x0
	v_dual_mov_b32 v63, v17 :: v_dual_add_nc_u32 v20, 64, v20
	s_delay_alu instid0(VALU_DEP_2) | instskip(SKIP_1) | instid1(VALU_DEP_3)
	v_lshl_add_u64 v[42:43], v[16:17], 3, s[8:9]
	v_add_nc_u32_e32 v16, -12, v14
	v_cmp_ge_i32_e32 vcc_lo, v20, v18
	global_load_b128 v[22:25], v[42:43], off offset:16
	v_lshl_add_u64 v[54:55], v[16:17], 3, s[8:9]
	s_or_b32 s4, vcc_lo, s4
	s_wait_loadcnt 0x1
	v_subrev_nc_u32_e32 v15, s12, v15
	s_delay_alu instid0(VALU_DEP_1) | instskip(SKIP_1) | instid1(VALU_DEP_1)
	v_mul_lo_u32 v62, v15, 6
	v_mov_b32_e32 v15, v17
	v_lshl_add_u64 v[82:83], v[14:15], 3, s[8:9]
	s_delay_alu instid0(VALU_DEP_3)
	v_lshl_add_u64 v[44:45], v[62:63], 3, s[10:11]
	global_load_b128 v[26:29], v[42:43], off
	global_load_b128 v[30:33], v[44:45], off
	s_clause 0x1
	global_load_b128 v[34:37], v[42:43], off offset:32
	global_load_b128 v[38:41], v[42:43], off offset:48
	v_add_nc_u32_e32 v16, 2, v62
	global_load_b128 v[42:45], v[54:55], off offset:16
	v_lshl_add_u64 v[56:57], v[16:17], 3, s[10:11]
	global_load_b128 v[46:49], v[54:55], off
	global_load_b128 v[50:53], v[56:57], off
	v_add_nc_u32_e32 v16, -8, v14
	s_delay_alu instid0(VALU_DEP_1)
	v_lshl_add_u64 v[64:65], v[16:17], 3, s[8:9]
	s_clause 0x1
	global_load_b128 v[54:57], v[64:65], off
	global_load_b128 v[58:61], v[64:65], off offset:16
	v_add_nc_u32_e32 v16, -4, v14
	v_add_nc_u32_e32 v14, 0x600, v14
	s_delay_alu instid0(VALU_DEP_2) | instskip(SKIP_1) | instid1(VALU_DEP_1)
	v_lshl_add_u64 v[74:75], v[16:17], 3, s[8:9]
	v_add_nc_u32_e32 v16, 4, v62
	v_lshl_add_u64 v[76:77], v[16:17], 3, s[10:11]
	s_clause 0x1
	global_load_b128 v[62:65], v[74:75], off offset:16
	global_load_b128 v[66:69], v[74:75], off
	global_load_b128 v[70:73], v[76:77], off
	s_clause 0x1
	global_load_b128 v[74:77], v[82:83], off
	global_load_b128 v[78:81], v[82:83], off offset:16
	s_wait_loadcnt 0xc
	v_fmac_f64_e32 v[0:1], v[26:27], v[30:31]
	v_fmac_f64_e32 v[12:13], v[28:29], v[30:31]
	;; [unrolled: 1-line block ×4, first 2 shown]
	s_wait_loadcnt 0xb
	s_delay_alu instid0(VALU_DEP_4) | instskip(NEXT) | instid1(VALU_DEP_4)
	v_fmac_f64_e32 v[0:1], v[34:35], v[32:33]
	v_fmac_f64_e32 v[12:13], v[36:37], v[32:33]
	s_wait_loadcnt 0xa
	s_delay_alu instid0(VALU_DEP_4) | instskip(NEXT) | instid1(VALU_DEP_4)
	v_fmac_f64_e32 v[10:11], v[38:39], v[32:33]
	v_fmac_f64_e32 v[8:9], v[40:41], v[32:33]
	;; [unrolled: 4-line block ×3, first 2 shown]
	s_delay_alu instid0(VALU_DEP_4) | instskip(NEXT) | instid1(VALU_DEP_4)
	v_fmac_f64_e32 v[10:11], v[42:43], v[50:51]
	v_fmac_f64_e32 v[8:9], v[44:45], v[50:51]
	s_wait_loadcnt 0x6
	s_delay_alu instid0(VALU_DEP_4) | instskip(NEXT) | instid1(VALU_DEP_4)
	v_fmac_f64_e32 v[0:1], v[54:55], v[52:53]
	v_fmac_f64_e32 v[12:13], v[56:57], v[52:53]
	s_wait_loadcnt 0x5
	s_delay_alu instid0(VALU_DEP_4) | instskip(NEXT) | instid1(VALU_DEP_4)
	v_fmac_f64_e32 v[10:11], v[58:59], v[52:53]
	v_fmac_f64_e32 v[8:9], v[60:61], v[52:53]
	s_wait_loadcnt 0x2
	s_delay_alu instid0(VALU_DEP_4) | instskip(NEXT) | instid1(VALU_DEP_4)
	v_fmac_f64_e32 v[0:1], v[66:67], v[70:71]
	v_fmac_f64_e32 v[12:13], v[68:69], v[70:71]
	s_delay_alu instid0(VALU_DEP_4) | instskip(NEXT) | instid1(VALU_DEP_4)
	v_fmac_f64_e32 v[10:11], v[62:63], v[70:71]
	v_fmac_f64_e32 v[8:9], v[64:65], v[70:71]
	s_wait_loadcnt 0x1
	s_delay_alu instid0(VALU_DEP_4) | instskip(NEXT) | instid1(VALU_DEP_4)
	v_fmac_f64_e32 v[0:1], v[74:75], v[72:73]
	v_fmac_f64_e32 v[12:13], v[76:77], v[72:73]
	s_wait_loadcnt 0x0
	s_delay_alu instid0(VALU_DEP_4) | instskip(NEXT) | instid1(VALU_DEP_4)
	v_fmac_f64_e32 v[10:11], v[78:79], v[72:73]
	v_fmac_f64_e32 v[8:9], v[80:81], v[72:73]
	s_and_not1_b32 exec_lo, exec_lo, s4
	s_cbranch_execnz .LBB61_9
; %bb.10:
	s_or_b32 exec_lo, exec_lo, s4
.LBB61_11:
	s_delay_alu instid0(SALU_CYCLE_1)
	s_or_b32 exec_lo, exec_lo, s3
	s_cbranch_execz .LBB61_13
	s_branch .LBB61_18
.LBB61_12:
                                        ; implicit-def: $vgpr0_vgpr1
                                        ; implicit-def: $vgpr8_vgpr9
                                        ; implicit-def: $vgpr10_vgpr11
                                        ; implicit-def: $vgpr12_vgpr13
.LBB61_13:
	v_mov_b64_e32 v[0:1], 0
	v_mov_b64_e32 v[8:9], 0
	;; [unrolled: 1-line block ×4, first 2 shown]
	s_and_saveexec_b32 s3, s2
	s_cbranch_execz .LBB61_17
; %bb.14:
	v_mad_u32 v16, v19, 24, 23
	v_mov_b64_e32 v[0:1], 0
	v_mov_b64_e32 v[8:9], 0
	;; [unrolled: 1-line block ×4, first 2 shown]
	v_mov_b32_e32 v15, 0
	s_mov_b32 s2, 0
.LBB61_15:                              ; =>This Inner Loop Header: Depth=1
	global_load_b32 v17, v19, s[6:7] scale_offset
	v_subrev_nc_u32_e32 v14, 23, v16
	v_dual_mov_b32 v41, v15 :: v_dual_add_nc_u32 v28, -11, v16
	s_wait_xcnt 0x0
	v_dual_add_nc_u32 v29, -5, v16 :: v_dual_add_nc_u32 v19, 64, v19
	s_delay_alu instid0(VALU_DEP_3)
	v_lshl_add_u64 v[48:49], v[14:15], 3, s[8:9]
	v_add_nc_u32_e32 v14, -10, v16
	s_clause 0x3
	global_load_b64 v[50:51], v28, s[8:9] scale_offset
	global_load_b64 v[52:53], v29, s[8:9] scale_offset
	global_load_b128 v[20:23], v[48:49], off offset:48
	global_load_b128 v[24:27], v[48:49], off offset:16
	v_cmp_ge_i32_e32 vcc_lo, v19, v18
	s_or_b32 s2, vcc_lo, s2
	s_wait_loadcnt 0x4
	v_subrev_nc_u32_e32 v17, s12, v17
	s_delay_alu instid0(VALU_DEP_1) | instskip(SKIP_1) | instid1(VALU_DEP_2)
	v_mul_lo_u32 v40, v17, 6
	v_add_nc_u32_e32 v17, -4, v16
	v_lshl_add_u64 v[36:37], v[40:41], 3, s[10:11]
	global_load_b128 v[28:31], v[48:49], off
	global_load_b128 v[32:35], v[36:37], off
	s_clause 0x1
	global_load_b64 v[54:55], v14, s[8:9] scale_offset
	global_load_b64 v[56:57], v17, s[8:9] scale_offset
	s_wait_xcnt 0x0
	v_dual_add_nc_u32 v14, -15, v16 :: v_dual_add_nc_u32 v17, -9, v16
	v_add_nc_u32_e32 v41, -3, v16
	s_clause 0x1
	global_load_b64 v[58:59], v14, s[8:9] scale_offset
	global_load_b64 v[60:61], v17, s[8:9] scale_offset
	s_wait_xcnt 0x1
	v_add_nc_u32_e32 v14, 2, v40
	s_wait_xcnt 0x0
	v_add_nc_u32_e32 v17, -8, v16
	s_delay_alu instid0(VALU_DEP_2)
	v_lshl_add_u64 v[42:43], v[14:15], 3, s[10:11]
	global_load_b64 v[62:63], v41, s[8:9] scale_offset
	global_load_b128 v[36:39], v[42:43], off
	s_wait_xcnt 0x1
	v_dual_add_nc_u32 v14, -14, v16 :: v_dual_add_nc_u32 v41, -2, v16
	s_clause 0x2
	global_load_b64 v[64:65], v14, s[8:9] scale_offset
	global_load_b64 v[66:67], v17, s[8:9] scale_offset
	;; [unrolled: 1-line block ×3, first 2 shown]
	s_wait_xcnt 0x1
	v_dual_add_nc_u32 v14, -13, v16 :: v_dual_add_nc_u32 v17, -7, v16
	s_wait_xcnt 0x0
	v_add_nc_u32_e32 v41, -1, v16
	s_clause 0x1
	global_load_b64 v[70:71], v14, s[8:9] scale_offset
	global_load_b64 v[72:73], v17, s[8:9] scale_offset
	s_wait_xcnt 0x1
	v_add_nc_u32_e32 v14, 4, v40
	global_load_b64 v[74:75], v41, s[8:9] scale_offset
	s_wait_xcnt 0x1
	v_add_nc_u32_e32 v17, -6, v16
	v_lshl_add_u64 v[76:77], v[14:15], 3, s[10:11]
	global_load_b128 v[40:43], v[48:49], off offset:32
	global_load_b128 v[44:47], v[76:77], off
	v_add_nc_u32_e32 v14, -12, v16
	s_clause 0x2
	global_load_b64 v[48:49], v14, s[8:9] scale_offset
	global_load_b64 v[76:77], v17, s[8:9] scale_offset
	;; [unrolled: 1-line block ×3, first 2 shown]
	s_wait_xcnt 0x0
	v_add_nc_u32_e32 v16, 0x600, v16
	s_wait_loadcnt 0x11
	v_fmac_f64_e32 v[0:1], v[28:29], v[32:33]
	v_fmac_f64_e32 v[12:13], v[20:21], v[32:33]
	;; [unrolled: 1-line block ×4, first 2 shown]
	s_delay_alu instid0(VALU_DEP_4) | instskip(NEXT) | instid1(VALU_DEP_4)
	v_fmac_f64_e32 v[0:1], v[30:31], v[34:35]
	v_fmac_f64_e32 v[12:13], v[22:23], v[34:35]
	s_wait_loadcnt 0x10
	s_delay_alu instid0(VALU_DEP_4) | instskip(SKIP_1) | instid1(VALU_DEP_4)
	v_fmac_f64_e32 v[10:11], v[54:55], v[34:35]
	s_wait_loadcnt 0xf
	v_fmac_f64_e32 v[8:9], v[56:57], v[34:35]
	s_wait_loadcnt 0xb
	s_delay_alu instid0(VALU_DEP_4) | instskip(NEXT) | instid1(VALU_DEP_4)
	v_fmac_f64_e32 v[0:1], v[24:25], v[36:37]
	v_fmac_f64_e32 v[12:13], v[58:59], v[36:37]
	s_delay_alu instid0(VALU_DEP_4) | instskip(NEXT) | instid1(VALU_DEP_4)
	v_fmac_f64_e32 v[10:11], v[60:61], v[36:37]
	v_fmac_f64_e32 v[8:9], v[62:63], v[36:37]
	s_delay_alu instid0(VALU_DEP_4) | instskip(SKIP_1) | instid1(VALU_DEP_4)
	v_fmac_f64_e32 v[0:1], v[26:27], v[38:39]
	s_wait_loadcnt 0xa
	v_fmac_f64_e32 v[12:13], v[64:65], v[38:39]
	s_wait_loadcnt 0x9
	s_delay_alu instid0(VALU_DEP_4) | instskip(SKIP_1) | instid1(VALU_DEP_4)
	v_fmac_f64_e32 v[10:11], v[66:67], v[38:39]
	s_wait_loadcnt 0x8
	v_fmac_f64_e32 v[8:9], v[68:69], v[38:39]
	s_wait_loadcnt 0x3
	s_delay_alu instid0(VALU_DEP_4) | instskip(NEXT) | instid1(VALU_DEP_4)
	v_fmac_f64_e32 v[0:1], v[40:41], v[44:45]
	v_fmac_f64_e32 v[12:13], v[70:71], v[44:45]
	s_delay_alu instid0(VALU_DEP_4) | instskip(NEXT) | instid1(VALU_DEP_4)
	v_fmac_f64_e32 v[10:11], v[72:73], v[44:45]
	v_fmac_f64_e32 v[8:9], v[74:75], v[44:45]
	s_delay_alu instid0(VALU_DEP_4) | instskip(SKIP_1) | instid1(VALU_DEP_4)
	v_fmac_f64_e32 v[0:1], v[42:43], v[46:47]
	s_wait_loadcnt 0x2
	v_fmac_f64_e32 v[12:13], v[48:49], v[46:47]
	s_wait_loadcnt 0x1
	s_delay_alu instid0(VALU_DEP_4) | instskip(SKIP_1) | instid1(VALU_DEP_4)
	v_fmac_f64_e32 v[10:11], v[76:77], v[46:47]
	s_wait_loadcnt 0x0
	v_fmac_f64_e32 v[8:9], v[78:79], v[46:47]
	s_and_not1_b32 exec_lo, exec_lo, s2
	s_cbranch_execnz .LBB61_15
; %bb.16:
	s_or_b32 exec_lo, exec_lo, s2
.LBB61_17:
	s_delay_alu instid0(SALU_CYCLE_1)
	s_or_b32 exec_lo, exec_lo, s3
.LBB61_18:
	v_mbcnt_lo_u32_b32 v24, -1, 0
	s_delay_alu instid0(VALU_DEP_1) | instskip(NEXT) | instid1(VALU_DEP_1)
	v_or_b32_e32 v14, 32, v24
	v_cmp_gt_i32_e32 vcc_lo, 32, v14
	v_cndmask_b32_e32 v14, v24, v14, vcc_lo
	s_delay_alu instid0(VALU_DEP_1)
	v_lshlrev_b32_e32 v21, 2, v14
	ds_bpermute_b32 v16, v21, v12
	ds_bpermute_b32 v17, v21, v13
	s_wait_dscnt 0x0
	v_add_f64_e32 v[12:13], v[12:13], v[16:17]
	ds_bpermute_b32 v14, v21, v0
	ds_bpermute_b32 v15, v21, v1
	;; [unrolled: 1-line block ×6, first 2 shown]
	s_wait_dscnt 0x4
	v_dual_add_f64 v[0:1], v[0:1], v[14:15] :: v_dual_bitop2_b32 v14, 16, v24 bitop3:0x14
	s_wait_dscnt 0x2
	v_add_f64_e32 v[10:11], v[10:11], v[18:19]
	s_delay_alu instid0(VALU_DEP_2) | instskip(SKIP_2) | instid1(VALU_DEP_1)
	v_cmp_gt_i32_e32 vcc_lo, 32, v14
	v_cndmask_b32_e32 v14, v24, v14, vcc_lo
	s_wait_dscnt 0x0
	v_dual_add_f64 v[8:9], v[8:9], v[20:21] :: v_dual_lshlrev_b32 v21, 2, v14
	ds_bpermute_b32 v16, v21, v12
	ds_bpermute_b32 v17, v21, v13
	;; [unrolled: 1-line block ×8, first 2 shown]
	s_wait_dscnt 0x4
	v_dual_add_f64 v[0:1], v[0:1], v[14:15] :: v_dual_bitop2_b32 v14, 8, v24 bitop3:0x14
	s_wait_dscnt 0x2
	v_add_f64_e32 v[10:11], v[10:11], v[18:19]
	s_delay_alu instid0(VALU_DEP_2) | instskip(SKIP_3) | instid1(VALU_DEP_2)
	v_cmp_gt_i32_e32 vcc_lo, 32, v14
	v_cndmask_b32_e32 v14, v24, v14, vcc_lo
	v_add_f64_e32 v[12:13], v[12:13], v[16:17]
	s_wait_dscnt 0x0
	v_dual_add_f64 v[8:9], v[8:9], v[20:21] :: v_dual_lshlrev_b32 v21, 2, v14
	ds_bpermute_b32 v14, v21, v0
	ds_bpermute_b32 v15, v21, v1
	;; [unrolled: 1-line block ×5, first 2 shown]
	s_wait_dscnt 0x3
	v_dual_add_f64 v[0:1], v[0:1], v[14:15] :: v_dual_bitop2_b32 v14, 4, v24 bitop3:0x14
	ds_bpermute_b32 v18, v21, v10
	ds_bpermute_b32 v19, v21, v11
	;; [unrolled: 1-line block ×3, first 2 shown]
	v_cmp_gt_i32_e32 vcc_lo, 32, v14
	v_cndmask_b32_e32 v14, v24, v14, vcc_lo
	s_wait_dscnt 0x4
	v_add_f64_e32 v[12:13], v[12:13], v[16:17]
	s_wait_dscnt 0x1
	v_add_f64_e32 v[10:11], v[10:11], v[18:19]
	s_wait_dscnt 0x0
	v_dual_add_f64 v[8:9], v[8:9], v[20:21] :: v_dual_lshlrev_b32 v21, 2, v14
	ds_bpermute_b32 v14, v21, v0
	ds_bpermute_b32 v15, v21, v1
	ds_bpermute_b32 v16, v21, v12
	ds_bpermute_b32 v17, v21, v13
	s_wait_dscnt 0x2
	v_add_f64_e32 v[0:1], v[0:1], v[14:15]
	ds_bpermute_b32 v18, v21, v10
	ds_bpermute_b32 v19, v21, v11
	s_wait_dscnt 0x2
	v_add_f64_e32 v[14:15], v[12:13], v[16:17]
	s_wait_dscnt 0x0
	v_dual_add_f64 v[16:17], v[10:11], v[18:19] :: v_dual_bitop2_b32 v10, 2, v24 bitop3:0x14
	s_delay_alu instid0(VALU_DEP_1) | instskip(SKIP_1) | instid1(VALU_DEP_1)
	v_cmp_gt_i32_e32 vcc_lo, 32, v10
	v_cndmask_b32_e32 v10, v24, v10, vcc_lo
	v_lshlrev_b32_e32 v12, 2, v10
	ds_bpermute_b32 v20, v21, v8
	ds_bpermute_b32 v21, v21, v9
	;; [unrolled: 1-line block ×6, first 2 shown]
	s_wait_dscnt 0x4
	v_add_f64_e32 v[8:9], v[8:9], v[20:21]
	ds_bpermute_b32 v20, v12, v16
	ds_bpermute_b32 v21, v12, v17
	;; [unrolled: 1-line block ×4, first 2 shown]
	s_wait_dscnt 0x6
	v_add_f64_e32 v[12:13], v[0:1], v[10:11]
	s_wait_dscnt 0x4
	v_add_f64_e32 v[10:11], v[14:15], v[18:19]
	s_wait_dscnt 0x2
	v_add_f64_e32 v[0:1], v[16:17], v[20:21]
	v_xor_b32_e32 v14, 1, v24
	s_delay_alu instid0(VALU_DEP_1) | instskip(SKIP_2) | instid1(VALU_DEP_2)
	v_cmp_gt_i32_e32 vcc_lo, 32, v14
	v_cndmask_b32_e32 v14, v24, v14, vcc_lo
	v_cmp_eq_u32_e32 vcc_lo, 63, v7
	v_lshlrev_b32_e32 v15, 2, v14
	s_wait_dscnt 0x0
	v_add_f64_e32 v[8:9], v[8:9], v[22:23]
	ds_bpermute_b32 v20, v15, v12
	ds_bpermute_b32 v21, v15, v13
	;; [unrolled: 1-line block ×8, first 2 shown]
	s_and_b32 exec_lo, exec_lo, vcc_lo
	s_cbranch_execz .LBB61_23
; %bb.19:
	s_wait_dscnt 0x6
	v_add_f64_e32 v[12:13], v[12:13], v[20:21]
	s_wait_dscnt 0x4
	v_add_f64_e32 v[10:11], v[10:11], v[18:19]
	;; [unrolled: 2-line block ×4, first 2 shown]
	s_load_b64 s[0:1], s[0:1], 0x38
	s_mov_b32 s2, exec_lo
	v_cmpx_eq_f64_e32 0, v[4:5]
	s_xor_b32 s2, exec_lo, s2
	s_cbranch_execz .LBB61_21
; %bb.20:
	v_dual_mul_f64 v[12:13], v[2:3], v[12:13] :: v_dual_lshlrev_b32 v4, 2, v6
	v_mul_f64_e32 v[14:15], v[2:3], v[10:11]
	v_mul_f64_e32 v[0:1], v[2:3], v[0:1]
	;; [unrolled: 1-line block ×3, first 2 shown]
                                        ; implicit-def: $vgpr6
                                        ; implicit-def: $vgpr10_vgpr11
                                        ; implicit-def: $vgpr8_vgpr9
	s_delay_alu instid0(VALU_DEP_4) | instskip(SKIP_1) | instid1(VALU_DEP_1)
	v_ashrrev_i32_e32 v5, 31, v4
	s_wait_kmcnt 0x0
	v_lshl_add_u64 v[4:5], v[4:5], 3, s[0:1]
	s_clause 0x1
	global_store_b128 v[4:5], v[12:15], off
	global_store_b128 v[4:5], v[0:3], off offset:16
                                        ; implicit-def: $vgpr2_vgpr3
                                        ; implicit-def: $vgpr12_vgpr13
                                        ; implicit-def: $vgpr4_vgpr5
                                        ; implicit-def: $vgpr0_vgpr1
.LBB61_21:
	s_wait_xcnt 0x0
	s_and_not1_saveexec_b32 s2, s2
	s_cbranch_execz .LBB61_23
; %bb.22:
	v_dual_mul_f64 v[22:23], v[2:3], v[12:13] :: v_dual_lshlrev_b32 v6, 2, v6
	v_mul_f64_e32 v[24:25], v[2:3], v[10:11]
	v_mul_f64_e32 v[0:1], v[2:3], v[0:1]
	s_delay_alu instid0(VALU_DEP_3) | instskip(SKIP_1) | instid1(VALU_DEP_1)
	v_dual_mul_f64 v[2:3], v[2:3], v[8:9] :: v_dual_ashrrev_i32 v7, 31, v6
	s_wait_kmcnt 0x0
	v_lshl_add_u64 v[6:7], v[6:7], 3, s[0:1]
	s_clause 0x1
	global_load_b128 v[14:17], v[6:7], off
	global_load_b128 v[18:21], v[6:7], off offset:16
	s_wait_loadcnt 0x1
	v_fmac_f64_e32 v[22:23], v[4:5], v[14:15]
	v_fmac_f64_e32 v[24:25], v[4:5], v[16:17]
	s_wait_loadcnt 0x0
	v_fmac_f64_e32 v[0:1], v[4:5], v[18:19]
	v_fmac_f64_e32 v[2:3], v[4:5], v[20:21]
	s_clause 0x1
	global_store_b128 v[6:7], v[22:25], off
	global_store_b128 v[6:7], v[0:3], off offset:16
.LBB61_23:
	s_sendmsg sendmsg(MSG_DEALLOC_VGPRS)
	s_endpgm
	.section	.rodata,"a",@progbits
	.p2align	6, 0x0
	.amdhsa_kernel _ZN9rocsparseL19gebsrmvn_4xn_kernelILj128ELj6ELj64EdEEvi20rocsparse_direction_NS_24const_host_device_scalarIT2_EEPKiS6_PKS3_S8_S4_PS3_21rocsparse_index_base_b
		.amdhsa_group_segment_fixed_size 0
		.amdhsa_private_segment_fixed_size 0
		.amdhsa_kernarg_size 72
		.amdhsa_user_sgpr_count 2
		.amdhsa_user_sgpr_dispatch_ptr 0
		.amdhsa_user_sgpr_queue_ptr 0
		.amdhsa_user_sgpr_kernarg_segment_ptr 1
		.amdhsa_user_sgpr_dispatch_id 0
		.amdhsa_user_sgpr_kernarg_preload_length 0
		.amdhsa_user_sgpr_kernarg_preload_offset 0
		.amdhsa_user_sgpr_private_segment_size 0
		.amdhsa_wavefront_size32 1
		.amdhsa_uses_dynamic_stack 0
		.amdhsa_enable_private_segment 0
		.amdhsa_system_sgpr_workgroup_id_x 1
		.amdhsa_system_sgpr_workgroup_id_y 0
		.amdhsa_system_sgpr_workgroup_id_z 0
		.amdhsa_system_sgpr_workgroup_info 0
		.amdhsa_system_vgpr_workitem_id 0
		.amdhsa_next_free_vgpr 84
		.amdhsa_next_free_sgpr 14
		.amdhsa_named_barrier_count 0
		.amdhsa_reserve_vcc 1
		.amdhsa_float_round_mode_32 0
		.amdhsa_float_round_mode_16_64 0
		.amdhsa_float_denorm_mode_32 3
		.amdhsa_float_denorm_mode_16_64 3
		.amdhsa_fp16_overflow 0
		.amdhsa_memory_ordered 1
		.amdhsa_forward_progress 1
		.amdhsa_inst_pref_size 21
		.amdhsa_round_robin_scheduling 0
		.amdhsa_exception_fp_ieee_invalid_op 0
		.amdhsa_exception_fp_denorm_src 0
		.amdhsa_exception_fp_ieee_div_zero 0
		.amdhsa_exception_fp_ieee_overflow 0
		.amdhsa_exception_fp_ieee_underflow 0
		.amdhsa_exception_fp_ieee_inexact 0
		.amdhsa_exception_int_div_zero 0
	.end_amdhsa_kernel
	.section	.text._ZN9rocsparseL19gebsrmvn_4xn_kernelILj128ELj6ELj64EdEEvi20rocsparse_direction_NS_24const_host_device_scalarIT2_EEPKiS6_PKS3_S8_S4_PS3_21rocsparse_index_base_b,"axG",@progbits,_ZN9rocsparseL19gebsrmvn_4xn_kernelILj128ELj6ELj64EdEEvi20rocsparse_direction_NS_24const_host_device_scalarIT2_EEPKiS6_PKS3_S8_S4_PS3_21rocsparse_index_base_b,comdat
.Lfunc_end61:
	.size	_ZN9rocsparseL19gebsrmvn_4xn_kernelILj128ELj6ELj64EdEEvi20rocsparse_direction_NS_24const_host_device_scalarIT2_EEPKiS6_PKS3_S8_S4_PS3_21rocsparse_index_base_b, .Lfunc_end61-_ZN9rocsparseL19gebsrmvn_4xn_kernelILj128ELj6ELj64EdEEvi20rocsparse_direction_NS_24const_host_device_scalarIT2_EEPKiS6_PKS3_S8_S4_PS3_21rocsparse_index_base_b
                                        ; -- End function
	.set _ZN9rocsparseL19gebsrmvn_4xn_kernelILj128ELj6ELj64EdEEvi20rocsparse_direction_NS_24const_host_device_scalarIT2_EEPKiS6_PKS3_S8_S4_PS3_21rocsparse_index_base_b.num_vgpr, 84
	.set _ZN9rocsparseL19gebsrmvn_4xn_kernelILj128ELj6ELj64EdEEvi20rocsparse_direction_NS_24const_host_device_scalarIT2_EEPKiS6_PKS3_S8_S4_PS3_21rocsparse_index_base_b.num_agpr, 0
	.set _ZN9rocsparseL19gebsrmvn_4xn_kernelILj128ELj6ELj64EdEEvi20rocsparse_direction_NS_24const_host_device_scalarIT2_EEPKiS6_PKS3_S8_S4_PS3_21rocsparse_index_base_b.numbered_sgpr, 14
	.set _ZN9rocsparseL19gebsrmvn_4xn_kernelILj128ELj6ELj64EdEEvi20rocsparse_direction_NS_24const_host_device_scalarIT2_EEPKiS6_PKS3_S8_S4_PS3_21rocsparse_index_base_b.num_named_barrier, 0
	.set _ZN9rocsparseL19gebsrmvn_4xn_kernelILj128ELj6ELj64EdEEvi20rocsparse_direction_NS_24const_host_device_scalarIT2_EEPKiS6_PKS3_S8_S4_PS3_21rocsparse_index_base_b.private_seg_size, 0
	.set _ZN9rocsparseL19gebsrmvn_4xn_kernelILj128ELj6ELj64EdEEvi20rocsparse_direction_NS_24const_host_device_scalarIT2_EEPKiS6_PKS3_S8_S4_PS3_21rocsparse_index_base_b.uses_vcc, 1
	.set _ZN9rocsparseL19gebsrmvn_4xn_kernelILj128ELj6ELj64EdEEvi20rocsparse_direction_NS_24const_host_device_scalarIT2_EEPKiS6_PKS3_S8_S4_PS3_21rocsparse_index_base_b.uses_flat_scratch, 0
	.set _ZN9rocsparseL19gebsrmvn_4xn_kernelILj128ELj6ELj64EdEEvi20rocsparse_direction_NS_24const_host_device_scalarIT2_EEPKiS6_PKS3_S8_S4_PS3_21rocsparse_index_base_b.has_dyn_sized_stack, 0
	.set _ZN9rocsparseL19gebsrmvn_4xn_kernelILj128ELj6ELj64EdEEvi20rocsparse_direction_NS_24const_host_device_scalarIT2_EEPKiS6_PKS3_S8_S4_PS3_21rocsparse_index_base_b.has_recursion, 0
	.set _ZN9rocsparseL19gebsrmvn_4xn_kernelILj128ELj6ELj64EdEEvi20rocsparse_direction_NS_24const_host_device_scalarIT2_EEPKiS6_PKS3_S8_S4_PS3_21rocsparse_index_base_b.has_indirect_call, 0
	.section	.AMDGPU.csdata,"",@progbits
; Kernel info:
; codeLenInByte = 2688
; TotalNumSgprs: 16
; NumVgprs: 84
; ScratchSize: 0
; MemoryBound: 1
; FloatMode: 240
; IeeeMode: 1
; LDSByteSize: 0 bytes/workgroup (compile time only)
; SGPRBlocks: 0
; VGPRBlocks: 5
; NumSGPRsForWavesPerEU: 16
; NumVGPRsForWavesPerEU: 84
; NamedBarCnt: 0
; Occupancy: 10
; WaveLimiterHint : 1
; COMPUTE_PGM_RSRC2:SCRATCH_EN: 0
; COMPUTE_PGM_RSRC2:USER_SGPR: 2
; COMPUTE_PGM_RSRC2:TRAP_HANDLER: 0
; COMPUTE_PGM_RSRC2:TGID_X_EN: 1
; COMPUTE_PGM_RSRC2:TGID_Y_EN: 0
; COMPUTE_PGM_RSRC2:TGID_Z_EN: 0
; COMPUTE_PGM_RSRC2:TIDIG_COMP_CNT: 0
	.section	.text._ZN9rocsparseL19gebsrmvn_4xn_kernelILj128ELj7ELj4EdEEvi20rocsparse_direction_NS_24const_host_device_scalarIT2_EEPKiS6_PKS3_S8_S4_PS3_21rocsparse_index_base_b,"axG",@progbits,_ZN9rocsparseL19gebsrmvn_4xn_kernelILj128ELj7ELj4EdEEvi20rocsparse_direction_NS_24const_host_device_scalarIT2_EEPKiS6_PKS3_S8_S4_PS3_21rocsparse_index_base_b,comdat
	.globl	_ZN9rocsparseL19gebsrmvn_4xn_kernelILj128ELj7ELj4EdEEvi20rocsparse_direction_NS_24const_host_device_scalarIT2_EEPKiS6_PKS3_S8_S4_PS3_21rocsparse_index_base_b ; -- Begin function _ZN9rocsparseL19gebsrmvn_4xn_kernelILj128ELj7ELj4EdEEvi20rocsparse_direction_NS_24const_host_device_scalarIT2_EEPKiS6_PKS3_S8_S4_PS3_21rocsparse_index_base_b
	.p2align	8
	.type	_ZN9rocsparseL19gebsrmvn_4xn_kernelILj128ELj7ELj4EdEEvi20rocsparse_direction_NS_24const_host_device_scalarIT2_EEPKiS6_PKS3_S8_S4_PS3_21rocsparse_index_base_b,@function
_ZN9rocsparseL19gebsrmvn_4xn_kernelILj128ELj7ELj4EdEEvi20rocsparse_direction_NS_24const_host_device_scalarIT2_EEPKiS6_PKS3_S8_S4_PS3_21rocsparse_index_base_b: ; @_ZN9rocsparseL19gebsrmvn_4xn_kernelILj128ELj7ELj4EdEEvi20rocsparse_direction_NS_24const_host_device_scalarIT2_EEPKiS6_PKS3_S8_S4_PS3_21rocsparse_index_base_b
; %bb.0:
	s_clause 0x2
	s_load_b64 s[12:13], s[0:1], 0x40
	s_load_b64 s[4:5], s[0:1], 0x8
	s_load_b64 s[2:3], s[0:1], 0x30
	s_wait_kmcnt 0x0
	s_bitcmp1_b32 s13, 0
	v_mov_b64_e32 v[2:3], s[4:5]
	s_cselect_b32 s6, -1, 0
	s_delay_alu instid0(SALU_CYCLE_1)
	s_and_b32 vcc_lo, exec_lo, s6
	s_xor_b32 s6, s6, -1
	s_cbranch_vccnz .LBB62_2
; %bb.1:
	v_mov_b32_e32 v1, 0
	flat_load_b64 v[2:3], v1, s[4:5]
.LBB62_2:
	v_mov_b64_e32 v[4:5], s[2:3]
	s_and_not1_b32 vcc_lo, exec_lo, s6
	s_cbranch_vccnz .LBB62_4
; %bb.3:
	s_wait_xcnt 0x0
	v_mov_b32_e32 v1, 0
	flat_load_b64 v[4:5], v1, s[2:3]
.LBB62_4:
	s_wait_loadcnt_dscnt 0x0
	v_cmp_neq_f64_e32 vcc_lo, 0, v[2:3]
	s_delay_alu instid0(VALU_DEP_2) | instskip(SKIP_1) | instid1(SALU_CYCLE_1)
	v_cmp_neq_f64_e64 s2, 1.0, v[4:5]
	s_or_b32 s2, vcc_lo, s2
	s_and_saveexec_b32 s3, s2
	s_cbranch_execz .LBB62_23
; %bb.5:
	s_load_b64 s[2:3], s[0:1], 0x0
	s_bfe_u32 s4, ttmp6, 0x4000c
	s_and_b32 s5, ttmp6, 15
	s_add_co_i32 s4, s4, 1
	s_getreg_b32 s6, hwreg(HW_REG_IB_STS2, 6, 4)
	s_mul_i32 s4, ttmp9, s4
	v_lshrrev_b32_e32 v1, 2, v0
	s_add_co_i32 s5, s5, s4
	s_cmp_eq_u32 s6, 0
	s_cselect_b32 s4, ttmp9, s5
	s_delay_alu instid0(VALU_DEP_1) | instid1(SALU_CYCLE_1)
	v_lshl_or_b32 v6, s4, 5, v1
	s_wait_kmcnt 0x0
	s_delay_alu instid0(VALU_DEP_1)
	v_cmp_gt_i32_e32 vcc_lo, s2, v6
	s_and_b32 exec_lo, exec_lo, vcc_lo
	s_cbranch_execz .LBB62_23
; %bb.6:
	s_load_b256 s[4:11], s[0:1], 0x10
	v_ashrrev_i32_e32 v7, 31, v6
	s_cmp_lg_u32 s3, 0
	s_wait_kmcnt 0x0
	s_delay_alu instid0(VALU_DEP_1)
	v_lshl_add_u64 v[8:9], v[6:7], 2, s[4:5]
	v_and_b32_e32 v7, 3, v0
	global_load_b64 v[8:9], v[8:9], off
	s_wait_loadcnt 0x0
	v_subrev_nc_u32_e32 v0, s12, v8
	v_subrev_nc_u32_e32 v18, s12, v9
	s_delay_alu instid0(VALU_DEP_2) | instskip(NEXT) | instid1(VALU_DEP_1)
	v_add_nc_u32_e32 v19, v0, v7
	v_cmp_lt_i32_e64 s2, v19, v18
	s_cbranch_scc0 .LBB62_12
; %bb.7:
	v_mov_b64_e32 v[0:1], 0
	v_mov_b64_e32 v[8:9], 0
	;; [unrolled: 1-line block ×4, first 2 shown]
	s_and_saveexec_b32 s3, s2
	s_cbranch_execz .LBB62_11
; %bb.8:
	v_mad_u32 v14, v19, 28, 24
	v_mov_b64_e32 v[0:1], 0
	v_mov_b64_e32 v[8:9], 0
	;; [unrolled: 1-line block ×4, first 2 shown]
	v_dual_mov_b32 v17, 0 :: v_dual_mov_b32 v20, v19
	s_mov_b32 s4, 0
.LBB62_9:                               ; =>This Inner Loop Header: Depth=1
	global_load_b32 v15, v20, s[6:7] scale_offset
	v_subrev_nc_u32_e32 v16, 24, v14
	s_wait_xcnt 0x0
	v_add_nc_u32_e32 v20, 4, v20
	s_delay_alu instid0(VALU_DEP_2) | instskip(SKIP_1) | instid1(VALU_DEP_3)
	v_lshl_add_u64 v[30:31], v[16:17], 3, s[8:9]
	v_subrev_nc_u32_e32 v16, 20, v14
	v_cmp_ge_i32_e32 vcc_lo, v20, v18
	s_delay_alu instid0(VALU_DEP_2) | instskip(SKIP_2) | instid1(VALU_DEP_1)
	v_lshl_add_u64 v[38:39], v[16:17], 3, s[8:9]
	v_add_nc_u32_e32 v16, -16, v14
	s_or_b32 s4, vcc_lo, s4
	v_lshl_add_u64 v[46:47], v[16:17], 3, s[8:9]
	v_add_nc_u32_e32 v16, -12, v14
	s_delay_alu instid0(VALU_DEP_1) | instskip(SKIP_1) | instid1(VALU_DEP_1)
	v_lshl_add_u64 v[54:55], v[16:17], 3, s[8:9]
	v_add_nc_u32_e32 v16, -8, v14
	v_lshl_add_u64 v[62:63], v[16:17], 3, s[8:9]
	v_add_nc_u32_e32 v16, -4, v14
	s_delay_alu instid0(VALU_DEP_1) | instskip(SKIP_2) | instid1(VALU_DEP_1)
	v_lshl_add_u64 v[70:71], v[16:17], 3, s[8:9]
	s_wait_loadcnt 0x0
	v_subrev_nc_u32_e32 v15, s12, v15
	v_mul_lo_u32 v21, v15, 7
	s_clause 0x1
	global_load_b128 v[22:25], v[30:31], off offset:16
	global_load_b128 v[26:29], v[30:31], off
	global_load_b64 v[78:79], v21, s[10:11] scale_offset
	global_load_b128 v[30:33], v[38:39], off offset:16
	v_add_nc_u32_e32 v15, 1, v21
	global_load_b128 v[34:37], v[38:39], off
	global_load_b64 v[80:81], v15, s[10:11] scale_offset
	s_wait_xcnt 0x0
	v_add_nc_u32_e32 v15, 2, v21
	s_clause 0x1
	global_load_b128 v[38:41], v[46:47], off offset:16
	global_load_b128 v[42:45], v[46:47], off
	global_load_b64 v[82:83], v15, s[10:11] scale_offset
	s_wait_xcnt 0x0
	v_add_nc_u32_e32 v15, 3, v21
	s_clause 0x1
	global_load_b128 v[46:49], v[54:55], off offset:16
	global_load_b128 v[50:53], v[54:55], off
	global_load_b64 v[84:85], v15, s[10:11] scale_offset
	s_wait_xcnt 0x0
	v_add_nc_u32_e32 v15, 4, v21
	s_clause 0x1
	global_load_b128 v[54:57], v[62:63], off offset:16
	global_load_b128 v[58:61], v[62:63], off
	global_load_b64 v[86:87], v15, s[10:11] scale_offset
	s_wait_xcnt 0x0
	v_add_nc_u32_e32 v15, 5, v21
	s_clause 0x1
	global_load_b128 v[62:65], v[70:71], off offset:16
	global_load_b128 v[66:69], v[70:71], off
	global_load_b64 v[88:89], v15, s[10:11] scale_offset
	s_wait_xcnt 0x0
	v_mov_b32_e32 v15, v17
	s_delay_alu instid0(VALU_DEP_1)
	v_lshl_add_u64 v[90:91], v[14:15], 3, s[8:9]
	v_add_nc_u32_e32 v15, 6, v21
	v_add_nc_u32_e32 v14, 0x70, v14
	s_clause 0x1
	global_load_b128 v[70:73], v[90:91], off offset:16
	global_load_b128 v[74:77], v[90:91], off
	global_load_b64 v[92:93], v15, s[10:11] scale_offset
	s_wait_loadcnt 0x12
	v_fmac_f64_e32 v[0:1], v[26:27], v[78:79]
	v_fmac_f64_e32 v[12:13], v[28:29], v[78:79]
	;; [unrolled: 1-line block ×4, first 2 shown]
	s_wait_loadcnt 0xf
	s_delay_alu instid0(VALU_DEP_4) | instskip(NEXT) | instid1(VALU_DEP_4)
	v_fmac_f64_e32 v[0:1], v[34:35], v[80:81]
	v_fmac_f64_e32 v[12:13], v[36:37], v[80:81]
	s_delay_alu instid0(VALU_DEP_4) | instskip(NEXT) | instid1(VALU_DEP_4)
	v_fmac_f64_e32 v[10:11], v[30:31], v[80:81]
	v_fmac_f64_e32 v[8:9], v[32:33], v[80:81]
	s_wait_loadcnt 0xc
	s_delay_alu instid0(VALU_DEP_4) | instskip(NEXT) | instid1(VALU_DEP_4)
	v_fmac_f64_e32 v[0:1], v[42:43], v[82:83]
	v_fmac_f64_e32 v[12:13], v[44:45], v[82:83]
	s_delay_alu instid0(VALU_DEP_4) | instskip(NEXT) | instid1(VALU_DEP_4)
	v_fmac_f64_e32 v[10:11], v[38:39], v[82:83]
	v_fmac_f64_e32 v[8:9], v[40:41], v[82:83]
	;; [unrolled: 7-line block ×6, first 2 shown]
	s_and_not1_b32 exec_lo, exec_lo, s4
	s_cbranch_execnz .LBB62_9
; %bb.10:
	s_or_b32 exec_lo, exec_lo, s4
.LBB62_11:
	s_delay_alu instid0(SALU_CYCLE_1)
	s_or_b32 exec_lo, exec_lo, s3
	s_cbranch_execz .LBB62_13
	s_branch .LBB62_18
.LBB62_12:
                                        ; implicit-def: $vgpr0_vgpr1
                                        ; implicit-def: $vgpr8_vgpr9
                                        ; implicit-def: $vgpr10_vgpr11
                                        ; implicit-def: $vgpr12_vgpr13
.LBB62_13:
	v_mov_b64_e32 v[0:1], 0
	v_mov_b64_e32 v[8:9], 0
	;; [unrolled: 1-line block ×4, first 2 shown]
	s_and_saveexec_b32 s3, s2
	s_cbranch_execz .LBB62_17
; %bb.14:
	v_mad_u32 v16, v19, 28, 27
	v_mov_b64_e32 v[0:1], 0
	v_mov_b64_e32 v[8:9], 0
	;; [unrolled: 1-line block ×4, first 2 shown]
	v_mov_b32_e32 v15, 0
	s_mov_b32 s2, 0
.LBB62_15:                              ; =>This Inner Loop Header: Depth=1
	global_load_b32 v17, v19, s[6:7] scale_offset
	v_subrev_nc_u32_e32 v14, 27, v16
	v_subrev_nc_u32_e32 v36, 20, v16
	v_dual_add_nc_u32 v37, -13, v16 :: v_dual_add_nc_u32 v38, -6, v16
	v_dual_add_nc_u32 v40, -12, v16 :: v_dual_add_nc_u32 v44, -5, v16
	s_delay_alu instid0(VALU_DEP_4)
	v_lshl_add_u64 v[28:29], v[14:15], 3, s[8:9]
	s_clause 0x4
	global_load_b64 v[30:31], v36, s[8:9] scale_offset
	global_load_b64 v[32:33], v37, s[8:9] scale_offset
	;; [unrolled: 1-line block ×3, first 2 shown]
	global_load_b128 v[20:23], v[28:29], off offset:16
	global_load_b128 v[24:27], v[28:29], off
	v_dual_add_nc_u32 v56, -10, v16 :: v_dual_add_nc_u32 v60, -3, v16
	v_dual_add_nc_u32 v67, -9, v16 :: v_dual_add_nc_u32 v70, -2, v16
	;; [unrolled: 1-line block ×3, first 2 shown]
	s_wait_xcnt 0x5
	v_dual_add_nc_u32 v19, 4, v19 :: v_dual_add_nc_u32 v48, -11, v16
	v_dual_add_nc_u32 v66, -16, v16 :: v_dual_add_nc_u32 v76, -15, v16
	v_add_nc_u32_e32 v82, -14, v16
	s_delay_alu instid0(VALU_DEP_3) | instskip(SKIP_4) | instid1(VALU_DEP_2)
	v_cmp_ge_i32_e32 vcc_lo, v19, v18
	s_or_b32 s2, vcc_lo, s2
	s_wait_loadcnt 0x5
	v_subrev_nc_u32_e32 v14, s12, v17
	v_subrev_nc_u32_e32 v17, 19, v16
	v_mul_lo_u32 v14, v14, 7
	v_dual_add_nc_u32 v52, -4, v16 :: v_dual_add_nc_u32 v83, -7, v16
	global_load_b64 v[28:29], v14, s[10:11] scale_offset
	s_clause 0x1
	global_load_b64 v[36:37], v17, s[8:9] scale_offset
	global_load_b64 v[38:39], v40, s[8:9] scale_offset
	s_wait_xcnt 0x1
	v_add_nc_u32_e32 v17, 1, v14
	global_load_b64 v[40:41], v44, s[8:9] scale_offset
	global_load_b64 v[42:43], v17, s[10:11] scale_offset
	s_wait_xcnt 0x0
	v_subrev_nc_u32_e32 v17, 18, v16
	s_clause 0x1
	global_load_b64 v[44:45], v17, s[8:9] scale_offset
	global_load_b64 v[46:47], v48, s[8:9] scale_offset
	s_wait_xcnt 0x1
	v_add_nc_u32_e32 v17, 2, v14
	global_load_b64 v[48:49], v52, s[8:9] scale_offset
	global_load_b64 v[50:51], v17, s[10:11] scale_offset
	s_wait_xcnt 0x0
	v_subrev_nc_u32_e32 v17, 17, v16
	;; [unrolled: 9-line block ×3, first 2 shown]
	s_clause 0x2
	global_load_b64 v[60:61], v17, s[8:9] scale_offset
	global_load_b64 v[62:63], v66, s[8:9] scale_offset
	;; [unrolled: 1-line block ×3, first 2 shown]
	s_wait_xcnt 0x2
	v_add_nc_u32_e32 v17, 4, v14
	global_load_b64 v[66:67], v70, s[8:9] scale_offset
	global_load_b64 v[68:69], v17, s[10:11] scale_offset
	s_wait_xcnt 0x0
	v_subrev_nc_u32_e32 v17, 22, v16
	s_clause 0x2
	global_load_b64 v[70:71], v17, s[8:9] scale_offset
	global_load_b64 v[72:73], v76, s[8:9] scale_offset
	;; [unrolled: 1-line block ×3, first 2 shown]
	s_wait_xcnt 0x2
	v_add_nc_u32_e32 v17, 5, v14
	global_load_b64 v[76:77], v80, s[8:9] scale_offset
	global_load_b64 v[78:79], v17, s[10:11] scale_offset
	s_wait_xcnt 0x0
	v_subrev_nc_u32_e32 v17, 21, v16
	v_add_nc_u32_e32 v14, 6, v14
	s_wait_loadcnt 0x16
	v_fmac_f64_e32 v[12:13], v[30:31], v[28:29]
	global_load_b64 v[30:31], v17, s[8:9] scale_offset
	v_fmac_f64_e32 v[10:11], v[32:33], v[28:29]
	s_clause 0x1
	global_load_b64 v[32:33], v82, s[8:9] scale_offset
	global_load_b64 v[80:81], v83, s[8:9] scale_offset
	v_fmac_f64_e32 v[8:9], v[34:35], v[28:29]
	global_load_b64 v[34:35], v16, s[8:9] scale_offset
	v_fmac_f64_e32 v[0:1], v[24:25], v[28:29]
	global_load_b64 v[24:25], v14, s[10:11] scale_offset
	s_wait_xcnt 0x1
	v_add_nc_u32_e32 v16, 0x70, v16
	s_wait_loadcnt 0x17
	v_fmac_f64_e32 v[12:13], v[36:37], v[42:43]
	v_fmac_f64_e32 v[10:11], v[38:39], v[42:43]
	;; [unrolled: 1-line block ×4, first 2 shown]
	s_wait_loadcnt 0x13
	s_delay_alu instid0(VALU_DEP_4) | instskip(NEXT) | instid1(VALU_DEP_4)
	v_fmac_f64_e32 v[12:13], v[44:45], v[50:51]
	v_fmac_f64_e32 v[10:11], v[46:47], v[50:51]
	s_delay_alu instid0(VALU_DEP_4) | instskip(NEXT) | instid1(VALU_DEP_4)
	v_fmac_f64_e32 v[8:9], v[48:49], v[50:51]
	v_fmac_f64_e32 v[0:1], v[20:21], v[50:51]
	s_wait_loadcnt 0xf
	s_delay_alu instid0(VALU_DEP_4) | instskip(NEXT) | instid1(VALU_DEP_4)
	v_fmac_f64_e32 v[12:13], v[52:53], v[58:59]
	v_fmac_f64_e32 v[10:11], v[54:55], v[58:59]
	s_delay_alu instid0(VALU_DEP_4) | instskip(NEXT) | instid1(VALU_DEP_4)
	v_fmac_f64_e32 v[8:9], v[56:57], v[58:59]
	v_fmac_f64_e32 v[0:1], v[22:23], v[58:59]
	;; [unrolled: 7-line block ×4, first 2 shown]
	s_wait_loadcnt 0x0
	s_delay_alu instid0(VALU_DEP_1)
	v_fmac_f64_e32 v[0:1], v[30:31], v[24:25]
	v_fmac_f64_e32 v[12:13], v[32:33], v[24:25]
	;; [unrolled: 1-line block ×4, first 2 shown]
	s_and_not1_b32 exec_lo, exec_lo, s2
	s_cbranch_execnz .LBB62_15
; %bb.16:
	s_or_b32 exec_lo, exec_lo, s2
.LBB62_17:
	s_delay_alu instid0(SALU_CYCLE_1)
	s_or_b32 exec_lo, exec_lo, s3
.LBB62_18:
	v_mbcnt_lo_u32_b32 v24, -1, 0
	s_delay_alu instid0(VALU_DEP_1) | instskip(NEXT) | instid1(VALU_DEP_1)
	v_xor_b32_e32 v14, 2, v24
	v_cmp_gt_i32_e32 vcc_lo, 32, v14
	v_cndmask_b32_e32 v14, v24, v14, vcc_lo
	s_delay_alu instid0(VALU_DEP_1)
	v_lshlrev_b32_e32 v16, 2, v14
	ds_bpermute_b32 v14, v16, v0
	ds_bpermute_b32 v15, v16, v1
	;; [unrolled: 1-line block ×8, first 2 shown]
	s_wait_dscnt 0x6
	v_add_f64_e32 v[16:17], v[0:1], v[14:15]
	s_wait_dscnt 0x4
	v_add_f64_e32 v[14:15], v[12:13], v[18:19]
	;; [unrolled: 2-line block ×3, first 2 shown]
	s_wait_dscnt 0x0
	v_dual_add_f64 v[8:9], v[8:9], v[22:23] :: v_dual_bitop2_b32 v10, 1, v24 bitop3:0x14
	s_delay_alu instid0(VALU_DEP_1) | instskip(SKIP_2) | instid1(VALU_DEP_2)
	v_cmp_gt_i32_e32 vcc_lo, 32, v10
	v_cndmask_b32_e32 v10, v24, v10, vcc_lo
	v_cmp_eq_u32_e32 vcc_lo, 3, v7
	v_lshlrev_b32_e32 v19, 2, v10
	ds_bpermute_b32 v12, v19, v16
	ds_bpermute_b32 v13, v19, v17
	;; [unrolled: 1-line block ×8, first 2 shown]
	s_and_b32 exec_lo, exec_lo, vcc_lo
	s_cbranch_execz .LBB62_23
; %bb.19:
	s_wait_dscnt 0x6
	v_add_f64_e32 v[12:13], v[16:17], v[12:13]
	s_wait_dscnt 0x4
	v_add_f64_e32 v[10:11], v[14:15], v[10:11]
	;; [unrolled: 2-line block ×4, first 2 shown]
	s_load_b64 s[0:1], s[0:1], 0x38
	s_mov_b32 s2, exec_lo
	v_cmpx_eq_f64_e32 0, v[4:5]
	s_xor_b32 s2, exec_lo, s2
	s_cbranch_execz .LBB62_21
; %bb.20:
	v_dual_mul_f64 v[12:13], v[2:3], v[12:13] :: v_dual_lshlrev_b32 v4, 2, v6
	v_mul_f64_e32 v[14:15], v[2:3], v[10:11]
	v_mul_f64_e32 v[0:1], v[2:3], v[0:1]
	;; [unrolled: 1-line block ×3, first 2 shown]
                                        ; implicit-def: $vgpr6
                                        ; implicit-def: $vgpr10_vgpr11
                                        ; implicit-def: $vgpr8_vgpr9
	s_delay_alu instid0(VALU_DEP_4) | instskip(SKIP_1) | instid1(VALU_DEP_1)
	v_ashrrev_i32_e32 v5, 31, v4
	s_wait_kmcnt 0x0
	v_lshl_add_u64 v[4:5], v[4:5], 3, s[0:1]
	s_clause 0x1
	global_store_b128 v[4:5], v[12:15], off
	global_store_b128 v[4:5], v[0:3], off offset:16
                                        ; implicit-def: $vgpr2_vgpr3
                                        ; implicit-def: $vgpr12_vgpr13
                                        ; implicit-def: $vgpr4_vgpr5
                                        ; implicit-def: $vgpr0_vgpr1
.LBB62_21:
	s_wait_xcnt 0x0
	s_and_not1_saveexec_b32 s2, s2
	s_cbranch_execz .LBB62_23
; %bb.22:
	v_dual_mul_f64 v[22:23], v[2:3], v[12:13] :: v_dual_lshlrev_b32 v6, 2, v6
	v_mul_f64_e32 v[24:25], v[2:3], v[10:11]
	v_mul_f64_e32 v[0:1], v[2:3], v[0:1]
	s_delay_alu instid0(VALU_DEP_3) | instskip(SKIP_1) | instid1(VALU_DEP_1)
	v_dual_mul_f64 v[2:3], v[2:3], v[8:9] :: v_dual_ashrrev_i32 v7, 31, v6
	s_wait_kmcnt 0x0
	v_lshl_add_u64 v[6:7], v[6:7], 3, s[0:1]
	s_clause 0x1
	global_load_b128 v[14:17], v[6:7], off
	global_load_b128 v[18:21], v[6:7], off offset:16
	s_wait_loadcnt 0x1
	v_fmac_f64_e32 v[22:23], v[4:5], v[14:15]
	v_fmac_f64_e32 v[24:25], v[4:5], v[16:17]
	s_wait_loadcnt 0x0
	v_fmac_f64_e32 v[0:1], v[4:5], v[18:19]
	v_fmac_f64_e32 v[2:3], v[4:5], v[20:21]
	s_clause 0x1
	global_store_b128 v[6:7], v[22:25], off
	global_store_b128 v[6:7], v[0:3], off offset:16
.LBB62_23:
	s_sendmsg sendmsg(MSG_DEALLOC_VGPRS)
	s_endpgm
	.section	.rodata,"a",@progbits
	.p2align	6, 0x0
	.amdhsa_kernel _ZN9rocsparseL19gebsrmvn_4xn_kernelILj128ELj7ELj4EdEEvi20rocsparse_direction_NS_24const_host_device_scalarIT2_EEPKiS6_PKS3_S8_S4_PS3_21rocsparse_index_base_b
		.amdhsa_group_segment_fixed_size 0
		.amdhsa_private_segment_fixed_size 0
		.amdhsa_kernarg_size 72
		.amdhsa_user_sgpr_count 2
		.amdhsa_user_sgpr_dispatch_ptr 0
		.amdhsa_user_sgpr_queue_ptr 0
		.amdhsa_user_sgpr_kernarg_segment_ptr 1
		.amdhsa_user_sgpr_dispatch_id 0
		.amdhsa_user_sgpr_kernarg_preload_length 0
		.amdhsa_user_sgpr_kernarg_preload_offset 0
		.amdhsa_user_sgpr_private_segment_size 0
		.amdhsa_wavefront_size32 1
		.amdhsa_uses_dynamic_stack 0
		.amdhsa_enable_private_segment 0
		.amdhsa_system_sgpr_workgroup_id_x 1
		.amdhsa_system_sgpr_workgroup_id_y 0
		.amdhsa_system_sgpr_workgroup_id_z 0
		.amdhsa_system_sgpr_workgroup_info 0
		.amdhsa_system_vgpr_workitem_id 0
		.amdhsa_next_free_vgpr 94
		.amdhsa_next_free_sgpr 14
		.amdhsa_named_barrier_count 0
		.amdhsa_reserve_vcc 1
		.amdhsa_float_round_mode_32 0
		.amdhsa_float_round_mode_16_64 0
		.amdhsa_float_denorm_mode_32 3
		.amdhsa_float_denorm_mode_16_64 3
		.amdhsa_fp16_overflow 0
		.amdhsa_memory_ordered 1
		.amdhsa_forward_progress 1
		.amdhsa_inst_pref_size 20
		.amdhsa_round_robin_scheduling 0
		.amdhsa_exception_fp_ieee_invalid_op 0
		.amdhsa_exception_fp_denorm_src 0
		.amdhsa_exception_fp_ieee_div_zero 0
		.amdhsa_exception_fp_ieee_overflow 0
		.amdhsa_exception_fp_ieee_underflow 0
		.amdhsa_exception_fp_ieee_inexact 0
		.amdhsa_exception_int_div_zero 0
	.end_amdhsa_kernel
	.section	.text._ZN9rocsparseL19gebsrmvn_4xn_kernelILj128ELj7ELj4EdEEvi20rocsparse_direction_NS_24const_host_device_scalarIT2_EEPKiS6_PKS3_S8_S4_PS3_21rocsparse_index_base_b,"axG",@progbits,_ZN9rocsparseL19gebsrmvn_4xn_kernelILj128ELj7ELj4EdEEvi20rocsparse_direction_NS_24const_host_device_scalarIT2_EEPKiS6_PKS3_S8_S4_PS3_21rocsparse_index_base_b,comdat
.Lfunc_end62:
	.size	_ZN9rocsparseL19gebsrmvn_4xn_kernelILj128ELj7ELj4EdEEvi20rocsparse_direction_NS_24const_host_device_scalarIT2_EEPKiS6_PKS3_S8_S4_PS3_21rocsparse_index_base_b, .Lfunc_end62-_ZN9rocsparseL19gebsrmvn_4xn_kernelILj128ELj7ELj4EdEEvi20rocsparse_direction_NS_24const_host_device_scalarIT2_EEPKiS6_PKS3_S8_S4_PS3_21rocsparse_index_base_b
                                        ; -- End function
	.set _ZN9rocsparseL19gebsrmvn_4xn_kernelILj128ELj7ELj4EdEEvi20rocsparse_direction_NS_24const_host_device_scalarIT2_EEPKiS6_PKS3_S8_S4_PS3_21rocsparse_index_base_b.num_vgpr, 94
	.set _ZN9rocsparseL19gebsrmvn_4xn_kernelILj128ELj7ELj4EdEEvi20rocsparse_direction_NS_24const_host_device_scalarIT2_EEPKiS6_PKS3_S8_S4_PS3_21rocsparse_index_base_b.num_agpr, 0
	.set _ZN9rocsparseL19gebsrmvn_4xn_kernelILj128ELj7ELj4EdEEvi20rocsparse_direction_NS_24const_host_device_scalarIT2_EEPKiS6_PKS3_S8_S4_PS3_21rocsparse_index_base_b.numbered_sgpr, 14
	.set _ZN9rocsparseL19gebsrmvn_4xn_kernelILj128ELj7ELj4EdEEvi20rocsparse_direction_NS_24const_host_device_scalarIT2_EEPKiS6_PKS3_S8_S4_PS3_21rocsparse_index_base_b.num_named_barrier, 0
	.set _ZN9rocsparseL19gebsrmvn_4xn_kernelILj128ELj7ELj4EdEEvi20rocsparse_direction_NS_24const_host_device_scalarIT2_EEPKiS6_PKS3_S8_S4_PS3_21rocsparse_index_base_b.private_seg_size, 0
	.set _ZN9rocsparseL19gebsrmvn_4xn_kernelILj128ELj7ELj4EdEEvi20rocsparse_direction_NS_24const_host_device_scalarIT2_EEPKiS6_PKS3_S8_S4_PS3_21rocsparse_index_base_b.uses_vcc, 1
	.set _ZN9rocsparseL19gebsrmvn_4xn_kernelILj128ELj7ELj4EdEEvi20rocsparse_direction_NS_24const_host_device_scalarIT2_EEPKiS6_PKS3_S8_S4_PS3_21rocsparse_index_base_b.uses_flat_scratch, 0
	.set _ZN9rocsparseL19gebsrmvn_4xn_kernelILj128ELj7ELj4EdEEvi20rocsparse_direction_NS_24const_host_device_scalarIT2_EEPKiS6_PKS3_S8_S4_PS3_21rocsparse_index_base_b.has_dyn_sized_stack, 0
	.set _ZN9rocsparseL19gebsrmvn_4xn_kernelILj128ELj7ELj4EdEEvi20rocsparse_direction_NS_24const_host_device_scalarIT2_EEPKiS6_PKS3_S8_S4_PS3_21rocsparse_index_base_b.has_recursion, 0
	.set _ZN9rocsparseL19gebsrmvn_4xn_kernelILj128ELj7ELj4EdEEvi20rocsparse_direction_NS_24const_host_device_scalarIT2_EEPKiS6_PKS3_S8_S4_PS3_21rocsparse_index_base_b.has_indirect_call, 0
	.section	.AMDGPU.csdata,"",@progbits
; Kernel info:
; codeLenInByte = 2496
; TotalNumSgprs: 16
; NumVgprs: 94
; ScratchSize: 0
; MemoryBound: 1
; FloatMode: 240
; IeeeMode: 1
; LDSByteSize: 0 bytes/workgroup (compile time only)
; SGPRBlocks: 0
; VGPRBlocks: 5
; NumSGPRsForWavesPerEU: 16
; NumVGPRsForWavesPerEU: 94
; NamedBarCnt: 0
; Occupancy: 10
; WaveLimiterHint : 1
; COMPUTE_PGM_RSRC2:SCRATCH_EN: 0
; COMPUTE_PGM_RSRC2:USER_SGPR: 2
; COMPUTE_PGM_RSRC2:TRAP_HANDLER: 0
; COMPUTE_PGM_RSRC2:TGID_X_EN: 1
; COMPUTE_PGM_RSRC2:TGID_Y_EN: 0
; COMPUTE_PGM_RSRC2:TGID_Z_EN: 0
; COMPUTE_PGM_RSRC2:TIDIG_COMP_CNT: 0
	.section	.text._ZN9rocsparseL19gebsrmvn_4xn_kernelILj128ELj7ELj8EdEEvi20rocsparse_direction_NS_24const_host_device_scalarIT2_EEPKiS6_PKS3_S8_S4_PS3_21rocsparse_index_base_b,"axG",@progbits,_ZN9rocsparseL19gebsrmvn_4xn_kernelILj128ELj7ELj8EdEEvi20rocsparse_direction_NS_24const_host_device_scalarIT2_EEPKiS6_PKS3_S8_S4_PS3_21rocsparse_index_base_b,comdat
	.globl	_ZN9rocsparseL19gebsrmvn_4xn_kernelILj128ELj7ELj8EdEEvi20rocsparse_direction_NS_24const_host_device_scalarIT2_EEPKiS6_PKS3_S8_S4_PS3_21rocsparse_index_base_b ; -- Begin function _ZN9rocsparseL19gebsrmvn_4xn_kernelILj128ELj7ELj8EdEEvi20rocsparse_direction_NS_24const_host_device_scalarIT2_EEPKiS6_PKS3_S8_S4_PS3_21rocsparse_index_base_b
	.p2align	8
	.type	_ZN9rocsparseL19gebsrmvn_4xn_kernelILj128ELj7ELj8EdEEvi20rocsparse_direction_NS_24const_host_device_scalarIT2_EEPKiS6_PKS3_S8_S4_PS3_21rocsparse_index_base_b,@function
_ZN9rocsparseL19gebsrmvn_4xn_kernelILj128ELj7ELj8EdEEvi20rocsparse_direction_NS_24const_host_device_scalarIT2_EEPKiS6_PKS3_S8_S4_PS3_21rocsparse_index_base_b: ; @_ZN9rocsparseL19gebsrmvn_4xn_kernelILj128ELj7ELj8EdEEvi20rocsparse_direction_NS_24const_host_device_scalarIT2_EEPKiS6_PKS3_S8_S4_PS3_21rocsparse_index_base_b
; %bb.0:
	s_clause 0x2
	s_load_b64 s[12:13], s[0:1], 0x40
	s_load_b64 s[4:5], s[0:1], 0x8
	;; [unrolled: 1-line block ×3, first 2 shown]
	s_wait_kmcnt 0x0
	s_bitcmp1_b32 s13, 0
	v_mov_b64_e32 v[2:3], s[4:5]
	s_cselect_b32 s6, -1, 0
	s_delay_alu instid0(SALU_CYCLE_1)
	s_and_b32 vcc_lo, exec_lo, s6
	s_xor_b32 s6, s6, -1
	s_cbranch_vccnz .LBB63_2
; %bb.1:
	v_mov_b32_e32 v1, 0
	flat_load_b64 v[2:3], v1, s[4:5]
.LBB63_2:
	v_mov_b64_e32 v[4:5], s[2:3]
	s_and_not1_b32 vcc_lo, exec_lo, s6
	s_cbranch_vccnz .LBB63_4
; %bb.3:
	s_wait_xcnt 0x0
	v_mov_b32_e32 v1, 0
	flat_load_b64 v[4:5], v1, s[2:3]
.LBB63_4:
	s_wait_loadcnt_dscnt 0x0
	v_cmp_neq_f64_e32 vcc_lo, 0, v[2:3]
	s_delay_alu instid0(VALU_DEP_2) | instskip(SKIP_1) | instid1(SALU_CYCLE_1)
	v_cmp_neq_f64_e64 s2, 1.0, v[4:5]
	s_or_b32 s2, vcc_lo, s2
	s_and_saveexec_b32 s3, s2
	s_cbranch_execz .LBB63_23
; %bb.5:
	s_load_b64 s[2:3], s[0:1], 0x0
	s_bfe_u32 s4, ttmp6, 0x4000c
	s_and_b32 s5, ttmp6, 15
	s_add_co_i32 s4, s4, 1
	s_getreg_b32 s6, hwreg(HW_REG_IB_STS2, 6, 4)
	s_mul_i32 s4, ttmp9, s4
	v_lshrrev_b32_e32 v1, 3, v0
	s_add_co_i32 s5, s5, s4
	s_cmp_eq_u32 s6, 0
	s_cselect_b32 s4, ttmp9, s5
	s_delay_alu instid0(VALU_DEP_1) | instid1(SALU_CYCLE_1)
	v_lshl_or_b32 v6, s4, 4, v1
	s_wait_kmcnt 0x0
	s_delay_alu instid0(VALU_DEP_1)
	v_cmp_gt_i32_e32 vcc_lo, s2, v6
	s_and_b32 exec_lo, exec_lo, vcc_lo
	s_cbranch_execz .LBB63_23
; %bb.6:
	s_load_b256 s[4:11], s[0:1], 0x10
	v_ashrrev_i32_e32 v7, 31, v6
	s_cmp_lg_u32 s3, 0
	s_wait_kmcnt 0x0
	s_delay_alu instid0(VALU_DEP_1)
	v_lshl_add_u64 v[8:9], v[6:7], 2, s[4:5]
	v_and_b32_e32 v7, 7, v0
	global_load_b64 v[8:9], v[8:9], off
	s_wait_loadcnt 0x0
	v_subrev_nc_u32_e32 v0, s12, v8
	v_subrev_nc_u32_e32 v18, s12, v9
	s_delay_alu instid0(VALU_DEP_2) | instskip(NEXT) | instid1(VALU_DEP_1)
	v_add_nc_u32_e32 v19, v0, v7
	v_cmp_lt_i32_e64 s2, v19, v18
	s_cbranch_scc0 .LBB63_12
; %bb.7:
	v_mov_b64_e32 v[0:1], 0
	v_mov_b64_e32 v[8:9], 0
	;; [unrolled: 1-line block ×4, first 2 shown]
	s_and_saveexec_b32 s3, s2
	s_cbranch_execz .LBB63_11
; %bb.8:
	v_mad_u32 v14, v19, 28, 24
	v_mov_b64_e32 v[0:1], 0
	v_mov_b64_e32 v[8:9], 0
	;; [unrolled: 1-line block ×4, first 2 shown]
	v_dual_mov_b32 v17, 0 :: v_dual_mov_b32 v20, v19
	s_mov_b32 s4, 0
.LBB63_9:                               ; =>This Inner Loop Header: Depth=1
	global_load_b32 v15, v20, s[6:7] scale_offset
	v_subrev_nc_u32_e32 v16, 24, v14
	s_wait_xcnt 0x0
	v_add_nc_u32_e32 v20, 8, v20
	s_delay_alu instid0(VALU_DEP_2) | instskip(SKIP_1) | instid1(VALU_DEP_3)
	v_lshl_add_u64 v[30:31], v[16:17], 3, s[8:9]
	v_subrev_nc_u32_e32 v16, 20, v14
	v_cmp_ge_i32_e32 vcc_lo, v20, v18
	s_delay_alu instid0(VALU_DEP_2) | instskip(SKIP_2) | instid1(VALU_DEP_1)
	v_lshl_add_u64 v[38:39], v[16:17], 3, s[8:9]
	v_add_nc_u32_e32 v16, -16, v14
	s_or_b32 s4, vcc_lo, s4
	v_lshl_add_u64 v[46:47], v[16:17], 3, s[8:9]
	v_add_nc_u32_e32 v16, -12, v14
	s_delay_alu instid0(VALU_DEP_1) | instskip(SKIP_1) | instid1(VALU_DEP_1)
	v_lshl_add_u64 v[54:55], v[16:17], 3, s[8:9]
	v_add_nc_u32_e32 v16, -8, v14
	v_lshl_add_u64 v[62:63], v[16:17], 3, s[8:9]
	v_add_nc_u32_e32 v16, -4, v14
	s_delay_alu instid0(VALU_DEP_1) | instskip(SKIP_2) | instid1(VALU_DEP_1)
	v_lshl_add_u64 v[70:71], v[16:17], 3, s[8:9]
	s_wait_loadcnt 0x0
	v_subrev_nc_u32_e32 v15, s12, v15
	v_mul_lo_u32 v21, v15, 7
	s_clause 0x1
	global_load_b128 v[22:25], v[30:31], off offset:16
	global_load_b128 v[26:29], v[30:31], off
	global_load_b64 v[78:79], v21, s[10:11] scale_offset
	global_load_b128 v[30:33], v[38:39], off offset:16
	v_add_nc_u32_e32 v15, 1, v21
	global_load_b128 v[34:37], v[38:39], off
	global_load_b64 v[80:81], v15, s[10:11] scale_offset
	s_wait_xcnt 0x0
	v_add_nc_u32_e32 v15, 2, v21
	s_clause 0x1
	global_load_b128 v[38:41], v[46:47], off offset:16
	global_load_b128 v[42:45], v[46:47], off
	global_load_b64 v[82:83], v15, s[10:11] scale_offset
	s_wait_xcnt 0x0
	v_add_nc_u32_e32 v15, 3, v21
	s_clause 0x1
	global_load_b128 v[46:49], v[54:55], off offset:16
	global_load_b128 v[50:53], v[54:55], off
	global_load_b64 v[84:85], v15, s[10:11] scale_offset
	s_wait_xcnt 0x0
	v_add_nc_u32_e32 v15, 4, v21
	s_clause 0x1
	global_load_b128 v[54:57], v[62:63], off offset:16
	global_load_b128 v[58:61], v[62:63], off
	global_load_b64 v[86:87], v15, s[10:11] scale_offset
	s_wait_xcnt 0x0
	v_add_nc_u32_e32 v15, 5, v21
	s_clause 0x1
	global_load_b128 v[62:65], v[70:71], off offset:16
	global_load_b128 v[66:69], v[70:71], off
	global_load_b64 v[88:89], v15, s[10:11] scale_offset
	s_wait_xcnt 0x0
	v_mov_b32_e32 v15, v17
	s_delay_alu instid0(VALU_DEP_1)
	v_lshl_add_u64 v[90:91], v[14:15], 3, s[8:9]
	v_add_nc_u32_e32 v15, 6, v21
	v_add_nc_u32_e32 v14, 0xe0, v14
	s_clause 0x1
	global_load_b128 v[70:73], v[90:91], off offset:16
	global_load_b128 v[74:77], v[90:91], off
	global_load_b64 v[92:93], v15, s[10:11] scale_offset
	s_wait_loadcnt 0x12
	v_fmac_f64_e32 v[0:1], v[26:27], v[78:79]
	v_fmac_f64_e32 v[12:13], v[28:29], v[78:79]
	;; [unrolled: 1-line block ×4, first 2 shown]
	s_wait_loadcnt 0xf
	s_delay_alu instid0(VALU_DEP_4) | instskip(NEXT) | instid1(VALU_DEP_4)
	v_fmac_f64_e32 v[0:1], v[34:35], v[80:81]
	v_fmac_f64_e32 v[12:13], v[36:37], v[80:81]
	s_delay_alu instid0(VALU_DEP_4) | instskip(NEXT) | instid1(VALU_DEP_4)
	v_fmac_f64_e32 v[10:11], v[30:31], v[80:81]
	v_fmac_f64_e32 v[8:9], v[32:33], v[80:81]
	s_wait_loadcnt 0xc
	s_delay_alu instid0(VALU_DEP_4) | instskip(NEXT) | instid1(VALU_DEP_4)
	v_fmac_f64_e32 v[0:1], v[42:43], v[82:83]
	v_fmac_f64_e32 v[12:13], v[44:45], v[82:83]
	s_delay_alu instid0(VALU_DEP_4) | instskip(NEXT) | instid1(VALU_DEP_4)
	v_fmac_f64_e32 v[10:11], v[38:39], v[82:83]
	v_fmac_f64_e32 v[8:9], v[40:41], v[82:83]
	;; [unrolled: 7-line block ×6, first 2 shown]
	s_and_not1_b32 exec_lo, exec_lo, s4
	s_cbranch_execnz .LBB63_9
; %bb.10:
	s_or_b32 exec_lo, exec_lo, s4
.LBB63_11:
	s_delay_alu instid0(SALU_CYCLE_1)
	s_or_b32 exec_lo, exec_lo, s3
	s_cbranch_execz .LBB63_13
	s_branch .LBB63_18
.LBB63_12:
                                        ; implicit-def: $vgpr0_vgpr1
                                        ; implicit-def: $vgpr8_vgpr9
                                        ; implicit-def: $vgpr10_vgpr11
                                        ; implicit-def: $vgpr12_vgpr13
.LBB63_13:
	v_mov_b64_e32 v[0:1], 0
	v_mov_b64_e32 v[8:9], 0
	;; [unrolled: 1-line block ×4, first 2 shown]
	s_and_saveexec_b32 s3, s2
	s_cbranch_execz .LBB63_17
; %bb.14:
	v_mad_u32 v16, v19, 28, 27
	v_mov_b64_e32 v[0:1], 0
	v_mov_b64_e32 v[8:9], 0
	;; [unrolled: 1-line block ×4, first 2 shown]
	v_mov_b32_e32 v15, 0
	s_mov_b32 s2, 0
.LBB63_15:                              ; =>This Inner Loop Header: Depth=1
	global_load_b32 v17, v19, s[6:7] scale_offset
	v_subrev_nc_u32_e32 v14, 27, v16
	v_subrev_nc_u32_e32 v36, 20, v16
	v_dual_add_nc_u32 v37, -13, v16 :: v_dual_add_nc_u32 v38, -6, v16
	v_dual_add_nc_u32 v40, -12, v16 :: v_dual_add_nc_u32 v44, -5, v16
	s_delay_alu instid0(VALU_DEP_4)
	v_lshl_add_u64 v[28:29], v[14:15], 3, s[8:9]
	s_clause 0x4
	global_load_b64 v[30:31], v36, s[8:9] scale_offset
	global_load_b64 v[32:33], v37, s[8:9] scale_offset
	;; [unrolled: 1-line block ×3, first 2 shown]
	global_load_b128 v[20:23], v[28:29], off offset:16
	global_load_b128 v[24:27], v[28:29], off
	v_dual_add_nc_u32 v56, -10, v16 :: v_dual_add_nc_u32 v60, -3, v16
	v_dual_add_nc_u32 v67, -9, v16 :: v_dual_add_nc_u32 v70, -2, v16
	;; [unrolled: 1-line block ×3, first 2 shown]
	s_wait_xcnt 0x5
	v_dual_add_nc_u32 v19, 8, v19 :: v_dual_add_nc_u32 v48, -11, v16
	v_dual_add_nc_u32 v66, -16, v16 :: v_dual_add_nc_u32 v76, -15, v16
	v_add_nc_u32_e32 v82, -14, v16
	s_delay_alu instid0(VALU_DEP_3) | instskip(SKIP_4) | instid1(VALU_DEP_2)
	v_cmp_ge_i32_e32 vcc_lo, v19, v18
	s_or_b32 s2, vcc_lo, s2
	s_wait_loadcnt 0x5
	v_subrev_nc_u32_e32 v14, s12, v17
	v_subrev_nc_u32_e32 v17, 19, v16
	v_mul_lo_u32 v14, v14, 7
	v_dual_add_nc_u32 v52, -4, v16 :: v_dual_add_nc_u32 v83, -7, v16
	global_load_b64 v[28:29], v14, s[10:11] scale_offset
	s_clause 0x1
	global_load_b64 v[36:37], v17, s[8:9] scale_offset
	global_load_b64 v[38:39], v40, s[8:9] scale_offset
	s_wait_xcnt 0x1
	v_add_nc_u32_e32 v17, 1, v14
	global_load_b64 v[40:41], v44, s[8:9] scale_offset
	global_load_b64 v[42:43], v17, s[10:11] scale_offset
	s_wait_xcnt 0x0
	v_subrev_nc_u32_e32 v17, 18, v16
	s_clause 0x1
	global_load_b64 v[44:45], v17, s[8:9] scale_offset
	global_load_b64 v[46:47], v48, s[8:9] scale_offset
	s_wait_xcnt 0x1
	v_add_nc_u32_e32 v17, 2, v14
	global_load_b64 v[48:49], v52, s[8:9] scale_offset
	global_load_b64 v[50:51], v17, s[10:11] scale_offset
	s_wait_xcnt 0x0
	v_subrev_nc_u32_e32 v17, 17, v16
	;; [unrolled: 9-line block ×3, first 2 shown]
	s_clause 0x2
	global_load_b64 v[60:61], v17, s[8:9] scale_offset
	global_load_b64 v[62:63], v66, s[8:9] scale_offset
	;; [unrolled: 1-line block ×3, first 2 shown]
	s_wait_xcnt 0x2
	v_add_nc_u32_e32 v17, 4, v14
	global_load_b64 v[66:67], v70, s[8:9] scale_offset
	global_load_b64 v[68:69], v17, s[10:11] scale_offset
	s_wait_xcnt 0x0
	v_subrev_nc_u32_e32 v17, 22, v16
	s_clause 0x2
	global_load_b64 v[70:71], v17, s[8:9] scale_offset
	global_load_b64 v[72:73], v76, s[8:9] scale_offset
	;; [unrolled: 1-line block ×3, first 2 shown]
	s_wait_xcnt 0x2
	v_add_nc_u32_e32 v17, 5, v14
	global_load_b64 v[76:77], v80, s[8:9] scale_offset
	global_load_b64 v[78:79], v17, s[10:11] scale_offset
	s_wait_xcnt 0x0
	v_subrev_nc_u32_e32 v17, 21, v16
	v_add_nc_u32_e32 v14, 6, v14
	s_wait_loadcnt 0x16
	v_fmac_f64_e32 v[12:13], v[30:31], v[28:29]
	global_load_b64 v[30:31], v17, s[8:9] scale_offset
	v_fmac_f64_e32 v[10:11], v[32:33], v[28:29]
	s_clause 0x1
	global_load_b64 v[32:33], v82, s[8:9] scale_offset
	global_load_b64 v[80:81], v83, s[8:9] scale_offset
	v_fmac_f64_e32 v[8:9], v[34:35], v[28:29]
	global_load_b64 v[34:35], v16, s[8:9] scale_offset
	v_fmac_f64_e32 v[0:1], v[24:25], v[28:29]
	global_load_b64 v[24:25], v14, s[10:11] scale_offset
	s_wait_xcnt 0x1
	v_add_nc_u32_e32 v16, 0xe0, v16
	s_wait_loadcnt 0x17
	v_fmac_f64_e32 v[12:13], v[36:37], v[42:43]
	v_fmac_f64_e32 v[10:11], v[38:39], v[42:43]
	;; [unrolled: 1-line block ×4, first 2 shown]
	s_wait_loadcnt 0x13
	s_delay_alu instid0(VALU_DEP_4) | instskip(NEXT) | instid1(VALU_DEP_4)
	v_fmac_f64_e32 v[12:13], v[44:45], v[50:51]
	v_fmac_f64_e32 v[10:11], v[46:47], v[50:51]
	s_delay_alu instid0(VALU_DEP_4) | instskip(NEXT) | instid1(VALU_DEP_4)
	v_fmac_f64_e32 v[8:9], v[48:49], v[50:51]
	v_fmac_f64_e32 v[0:1], v[20:21], v[50:51]
	s_wait_loadcnt 0xf
	s_delay_alu instid0(VALU_DEP_4) | instskip(NEXT) | instid1(VALU_DEP_4)
	v_fmac_f64_e32 v[12:13], v[52:53], v[58:59]
	v_fmac_f64_e32 v[10:11], v[54:55], v[58:59]
	s_delay_alu instid0(VALU_DEP_4) | instskip(NEXT) | instid1(VALU_DEP_4)
	v_fmac_f64_e32 v[8:9], v[56:57], v[58:59]
	v_fmac_f64_e32 v[0:1], v[22:23], v[58:59]
	;; [unrolled: 7-line block ×4, first 2 shown]
	s_wait_loadcnt 0x0
	s_delay_alu instid0(VALU_DEP_1)
	v_fmac_f64_e32 v[0:1], v[30:31], v[24:25]
	v_fmac_f64_e32 v[12:13], v[32:33], v[24:25]
	;; [unrolled: 1-line block ×4, first 2 shown]
	s_and_not1_b32 exec_lo, exec_lo, s2
	s_cbranch_execnz .LBB63_15
; %bb.16:
	s_or_b32 exec_lo, exec_lo, s2
.LBB63_17:
	s_delay_alu instid0(SALU_CYCLE_1)
	s_or_b32 exec_lo, exec_lo, s3
.LBB63_18:
	v_mbcnt_lo_u32_b32 v24, -1, 0
	s_delay_alu instid0(VALU_DEP_1) | instskip(NEXT) | instid1(VALU_DEP_1)
	v_xor_b32_e32 v14, 4, v24
	v_cmp_gt_i32_e32 vcc_lo, 32, v14
	v_cndmask_b32_e32 v14, v24, v14, vcc_lo
	s_delay_alu instid0(VALU_DEP_1)
	v_lshlrev_b32_e32 v21, 2, v14
	ds_bpermute_b32 v14, v21, v0
	ds_bpermute_b32 v15, v21, v1
	;; [unrolled: 1-line block ×4, first 2 shown]
	s_wait_dscnt 0x2
	v_add_f64_e32 v[0:1], v[0:1], v[14:15]
	s_wait_dscnt 0x0
	v_add_f64_e32 v[14:15], v[12:13], v[16:17]
	ds_bpermute_b32 v18, v21, v10
	ds_bpermute_b32 v19, v21, v11
	;; [unrolled: 1-line block ×4, first 2 shown]
	s_wait_dscnt 0x2
	v_dual_add_f64 v[16:17], v[10:11], v[18:19] :: v_dual_bitop2_b32 v10, 2, v24 bitop3:0x14
	s_delay_alu instid0(VALU_DEP_1) | instskip(SKIP_2) | instid1(VALU_DEP_1)
	v_cmp_gt_i32_e32 vcc_lo, 32, v10
	v_cndmask_b32_e32 v10, v24, v10, vcc_lo
	s_wait_dscnt 0x0
	v_dual_add_f64 v[8:9], v[8:9], v[20:21] :: v_dual_lshlrev_b32 v12, 2, v10
	ds_bpermute_b32 v10, v12, v0
	ds_bpermute_b32 v11, v12, v1
	;; [unrolled: 1-line block ×8, first 2 shown]
	s_wait_dscnt 0x6
	v_add_f64_e32 v[12:13], v[0:1], v[10:11]
	s_wait_dscnt 0x4
	v_dual_add_f64 v[10:11], v[14:15], v[18:19] :: v_dual_bitop2_b32 v14, 1, v24 bitop3:0x14
	s_delay_alu instid0(VALU_DEP_1) | instskip(SKIP_4) | instid1(VALU_DEP_3)
	v_cmp_gt_i32_e32 vcc_lo, 32, v14
	v_cndmask_b32_e32 v14, v24, v14, vcc_lo
	s_wait_dscnt 0x2
	v_add_f64_e32 v[0:1], v[16:17], v[20:21]
	v_cmp_eq_u32_e32 vcc_lo, 7, v7
	v_lshlrev_b32_e32 v15, 2, v14
	s_wait_dscnt 0x0
	v_add_f64_e32 v[8:9], v[8:9], v[22:23]
	ds_bpermute_b32 v20, v15, v12
	ds_bpermute_b32 v21, v15, v13
	;; [unrolled: 1-line block ×8, first 2 shown]
	s_and_b32 exec_lo, exec_lo, vcc_lo
	s_cbranch_execz .LBB63_23
; %bb.19:
	s_wait_dscnt 0x6
	v_add_f64_e32 v[12:13], v[12:13], v[20:21]
	s_wait_dscnt 0x4
	v_add_f64_e32 v[10:11], v[10:11], v[18:19]
	;; [unrolled: 2-line block ×4, first 2 shown]
	s_load_b64 s[0:1], s[0:1], 0x38
	s_mov_b32 s2, exec_lo
	v_cmpx_eq_f64_e32 0, v[4:5]
	s_xor_b32 s2, exec_lo, s2
	s_cbranch_execz .LBB63_21
; %bb.20:
	v_dual_mul_f64 v[12:13], v[2:3], v[12:13] :: v_dual_lshlrev_b32 v4, 2, v6
	v_mul_f64_e32 v[14:15], v[2:3], v[10:11]
	v_mul_f64_e32 v[0:1], v[2:3], v[0:1]
	;; [unrolled: 1-line block ×3, first 2 shown]
                                        ; implicit-def: $vgpr6
                                        ; implicit-def: $vgpr10_vgpr11
                                        ; implicit-def: $vgpr8_vgpr9
	s_delay_alu instid0(VALU_DEP_4) | instskip(SKIP_1) | instid1(VALU_DEP_1)
	v_ashrrev_i32_e32 v5, 31, v4
	s_wait_kmcnt 0x0
	v_lshl_add_u64 v[4:5], v[4:5], 3, s[0:1]
	s_clause 0x1
	global_store_b128 v[4:5], v[12:15], off
	global_store_b128 v[4:5], v[0:3], off offset:16
                                        ; implicit-def: $vgpr2_vgpr3
                                        ; implicit-def: $vgpr12_vgpr13
                                        ; implicit-def: $vgpr4_vgpr5
                                        ; implicit-def: $vgpr0_vgpr1
.LBB63_21:
	s_wait_xcnt 0x0
	s_and_not1_saveexec_b32 s2, s2
	s_cbranch_execz .LBB63_23
; %bb.22:
	v_dual_mul_f64 v[22:23], v[2:3], v[12:13] :: v_dual_lshlrev_b32 v6, 2, v6
	v_mul_f64_e32 v[24:25], v[2:3], v[10:11]
	v_mul_f64_e32 v[0:1], v[2:3], v[0:1]
	s_delay_alu instid0(VALU_DEP_3) | instskip(SKIP_1) | instid1(VALU_DEP_1)
	v_dual_mul_f64 v[2:3], v[2:3], v[8:9] :: v_dual_ashrrev_i32 v7, 31, v6
	s_wait_kmcnt 0x0
	v_lshl_add_u64 v[6:7], v[6:7], 3, s[0:1]
	s_clause 0x1
	global_load_b128 v[14:17], v[6:7], off
	global_load_b128 v[18:21], v[6:7], off offset:16
	s_wait_loadcnt 0x1
	v_fmac_f64_e32 v[22:23], v[4:5], v[14:15]
	v_fmac_f64_e32 v[24:25], v[4:5], v[16:17]
	s_wait_loadcnt 0x0
	v_fmac_f64_e32 v[0:1], v[4:5], v[18:19]
	v_fmac_f64_e32 v[2:3], v[4:5], v[20:21]
	s_clause 0x1
	global_store_b128 v[6:7], v[22:25], off
	global_store_b128 v[6:7], v[0:3], off offset:16
.LBB63_23:
	s_sendmsg sendmsg(MSG_DEALLOC_VGPRS)
	s_endpgm
	.section	.rodata,"a",@progbits
	.p2align	6, 0x0
	.amdhsa_kernel _ZN9rocsparseL19gebsrmvn_4xn_kernelILj128ELj7ELj8EdEEvi20rocsparse_direction_NS_24const_host_device_scalarIT2_EEPKiS6_PKS3_S8_S4_PS3_21rocsparse_index_base_b
		.amdhsa_group_segment_fixed_size 0
		.amdhsa_private_segment_fixed_size 0
		.amdhsa_kernarg_size 72
		.amdhsa_user_sgpr_count 2
		.amdhsa_user_sgpr_dispatch_ptr 0
		.amdhsa_user_sgpr_queue_ptr 0
		.amdhsa_user_sgpr_kernarg_segment_ptr 1
		.amdhsa_user_sgpr_dispatch_id 0
		.amdhsa_user_sgpr_kernarg_preload_length 0
		.amdhsa_user_sgpr_kernarg_preload_offset 0
		.amdhsa_user_sgpr_private_segment_size 0
		.amdhsa_wavefront_size32 1
		.amdhsa_uses_dynamic_stack 0
		.amdhsa_enable_private_segment 0
		.amdhsa_system_sgpr_workgroup_id_x 1
		.amdhsa_system_sgpr_workgroup_id_y 0
		.amdhsa_system_sgpr_workgroup_id_z 0
		.amdhsa_system_sgpr_workgroup_info 0
		.amdhsa_system_vgpr_workitem_id 0
		.amdhsa_next_free_vgpr 94
		.amdhsa_next_free_sgpr 14
		.amdhsa_named_barrier_count 0
		.amdhsa_reserve_vcc 1
		.amdhsa_float_round_mode_32 0
		.amdhsa_float_round_mode_16_64 0
		.amdhsa_float_denorm_mode_32 3
		.amdhsa_float_denorm_mode_16_64 3
		.amdhsa_fp16_overflow 0
		.amdhsa_memory_ordered 1
		.amdhsa_forward_progress 1
		.amdhsa_inst_pref_size 21
		.amdhsa_round_robin_scheduling 0
		.amdhsa_exception_fp_ieee_invalid_op 0
		.amdhsa_exception_fp_denorm_src 0
		.amdhsa_exception_fp_ieee_div_zero 0
		.amdhsa_exception_fp_ieee_overflow 0
		.amdhsa_exception_fp_ieee_underflow 0
		.amdhsa_exception_fp_ieee_inexact 0
		.amdhsa_exception_int_div_zero 0
	.end_amdhsa_kernel
	.section	.text._ZN9rocsparseL19gebsrmvn_4xn_kernelILj128ELj7ELj8EdEEvi20rocsparse_direction_NS_24const_host_device_scalarIT2_EEPKiS6_PKS3_S8_S4_PS3_21rocsparse_index_base_b,"axG",@progbits,_ZN9rocsparseL19gebsrmvn_4xn_kernelILj128ELj7ELj8EdEEvi20rocsparse_direction_NS_24const_host_device_scalarIT2_EEPKiS6_PKS3_S8_S4_PS3_21rocsparse_index_base_b,comdat
.Lfunc_end63:
	.size	_ZN9rocsparseL19gebsrmvn_4xn_kernelILj128ELj7ELj8EdEEvi20rocsparse_direction_NS_24const_host_device_scalarIT2_EEPKiS6_PKS3_S8_S4_PS3_21rocsparse_index_base_b, .Lfunc_end63-_ZN9rocsparseL19gebsrmvn_4xn_kernelILj128ELj7ELj8EdEEvi20rocsparse_direction_NS_24const_host_device_scalarIT2_EEPKiS6_PKS3_S8_S4_PS3_21rocsparse_index_base_b
                                        ; -- End function
	.set _ZN9rocsparseL19gebsrmvn_4xn_kernelILj128ELj7ELj8EdEEvi20rocsparse_direction_NS_24const_host_device_scalarIT2_EEPKiS6_PKS3_S8_S4_PS3_21rocsparse_index_base_b.num_vgpr, 94
	.set _ZN9rocsparseL19gebsrmvn_4xn_kernelILj128ELj7ELj8EdEEvi20rocsparse_direction_NS_24const_host_device_scalarIT2_EEPKiS6_PKS3_S8_S4_PS3_21rocsparse_index_base_b.num_agpr, 0
	.set _ZN9rocsparseL19gebsrmvn_4xn_kernelILj128ELj7ELj8EdEEvi20rocsparse_direction_NS_24const_host_device_scalarIT2_EEPKiS6_PKS3_S8_S4_PS3_21rocsparse_index_base_b.numbered_sgpr, 14
	.set _ZN9rocsparseL19gebsrmvn_4xn_kernelILj128ELj7ELj8EdEEvi20rocsparse_direction_NS_24const_host_device_scalarIT2_EEPKiS6_PKS3_S8_S4_PS3_21rocsparse_index_base_b.num_named_barrier, 0
	.set _ZN9rocsparseL19gebsrmvn_4xn_kernelILj128ELj7ELj8EdEEvi20rocsparse_direction_NS_24const_host_device_scalarIT2_EEPKiS6_PKS3_S8_S4_PS3_21rocsparse_index_base_b.private_seg_size, 0
	.set _ZN9rocsparseL19gebsrmvn_4xn_kernelILj128ELj7ELj8EdEEvi20rocsparse_direction_NS_24const_host_device_scalarIT2_EEPKiS6_PKS3_S8_S4_PS3_21rocsparse_index_base_b.uses_vcc, 1
	.set _ZN9rocsparseL19gebsrmvn_4xn_kernelILj128ELj7ELj8EdEEvi20rocsparse_direction_NS_24const_host_device_scalarIT2_EEPKiS6_PKS3_S8_S4_PS3_21rocsparse_index_base_b.uses_flat_scratch, 0
	.set _ZN9rocsparseL19gebsrmvn_4xn_kernelILj128ELj7ELj8EdEEvi20rocsparse_direction_NS_24const_host_device_scalarIT2_EEPKiS6_PKS3_S8_S4_PS3_21rocsparse_index_base_b.has_dyn_sized_stack, 0
	.set _ZN9rocsparseL19gebsrmvn_4xn_kernelILj128ELj7ELj8EdEEvi20rocsparse_direction_NS_24const_host_device_scalarIT2_EEPKiS6_PKS3_S8_S4_PS3_21rocsparse_index_base_b.has_recursion, 0
	.set _ZN9rocsparseL19gebsrmvn_4xn_kernelILj128ELj7ELj8EdEEvi20rocsparse_direction_NS_24const_host_device_scalarIT2_EEPKiS6_PKS3_S8_S4_PS3_21rocsparse_index_base_b.has_indirect_call, 0
	.section	.AMDGPU.csdata,"",@progbits
; Kernel info:
; codeLenInByte = 2620
; TotalNumSgprs: 16
; NumVgprs: 94
; ScratchSize: 0
; MemoryBound: 1
; FloatMode: 240
; IeeeMode: 1
; LDSByteSize: 0 bytes/workgroup (compile time only)
; SGPRBlocks: 0
; VGPRBlocks: 5
; NumSGPRsForWavesPerEU: 16
; NumVGPRsForWavesPerEU: 94
; NamedBarCnt: 0
; Occupancy: 10
; WaveLimiterHint : 1
; COMPUTE_PGM_RSRC2:SCRATCH_EN: 0
; COMPUTE_PGM_RSRC2:USER_SGPR: 2
; COMPUTE_PGM_RSRC2:TRAP_HANDLER: 0
; COMPUTE_PGM_RSRC2:TGID_X_EN: 1
; COMPUTE_PGM_RSRC2:TGID_Y_EN: 0
; COMPUTE_PGM_RSRC2:TGID_Z_EN: 0
; COMPUTE_PGM_RSRC2:TIDIG_COMP_CNT: 0
	.section	.text._ZN9rocsparseL19gebsrmvn_4xn_kernelILj128ELj7ELj16EdEEvi20rocsparse_direction_NS_24const_host_device_scalarIT2_EEPKiS6_PKS3_S8_S4_PS3_21rocsparse_index_base_b,"axG",@progbits,_ZN9rocsparseL19gebsrmvn_4xn_kernelILj128ELj7ELj16EdEEvi20rocsparse_direction_NS_24const_host_device_scalarIT2_EEPKiS6_PKS3_S8_S4_PS3_21rocsparse_index_base_b,comdat
	.globl	_ZN9rocsparseL19gebsrmvn_4xn_kernelILj128ELj7ELj16EdEEvi20rocsparse_direction_NS_24const_host_device_scalarIT2_EEPKiS6_PKS3_S8_S4_PS3_21rocsparse_index_base_b ; -- Begin function _ZN9rocsparseL19gebsrmvn_4xn_kernelILj128ELj7ELj16EdEEvi20rocsparse_direction_NS_24const_host_device_scalarIT2_EEPKiS6_PKS3_S8_S4_PS3_21rocsparse_index_base_b
	.p2align	8
	.type	_ZN9rocsparseL19gebsrmvn_4xn_kernelILj128ELj7ELj16EdEEvi20rocsparse_direction_NS_24const_host_device_scalarIT2_EEPKiS6_PKS3_S8_S4_PS3_21rocsparse_index_base_b,@function
_ZN9rocsparseL19gebsrmvn_4xn_kernelILj128ELj7ELj16EdEEvi20rocsparse_direction_NS_24const_host_device_scalarIT2_EEPKiS6_PKS3_S8_S4_PS3_21rocsparse_index_base_b: ; @_ZN9rocsparseL19gebsrmvn_4xn_kernelILj128ELj7ELj16EdEEvi20rocsparse_direction_NS_24const_host_device_scalarIT2_EEPKiS6_PKS3_S8_S4_PS3_21rocsparse_index_base_b
; %bb.0:
	s_clause 0x2
	s_load_b64 s[12:13], s[0:1], 0x40
	s_load_b64 s[4:5], s[0:1], 0x8
	;; [unrolled: 1-line block ×3, first 2 shown]
	s_wait_kmcnt 0x0
	s_bitcmp1_b32 s13, 0
	v_mov_b64_e32 v[2:3], s[4:5]
	s_cselect_b32 s6, -1, 0
	s_delay_alu instid0(SALU_CYCLE_1)
	s_and_b32 vcc_lo, exec_lo, s6
	s_xor_b32 s6, s6, -1
	s_cbranch_vccnz .LBB64_2
; %bb.1:
	v_mov_b32_e32 v1, 0
	flat_load_b64 v[2:3], v1, s[4:5]
.LBB64_2:
	v_mov_b64_e32 v[4:5], s[2:3]
	s_and_not1_b32 vcc_lo, exec_lo, s6
	s_cbranch_vccnz .LBB64_4
; %bb.3:
	s_wait_xcnt 0x0
	v_mov_b32_e32 v1, 0
	flat_load_b64 v[4:5], v1, s[2:3]
.LBB64_4:
	s_wait_loadcnt_dscnt 0x0
	v_cmp_neq_f64_e32 vcc_lo, 0, v[2:3]
	s_delay_alu instid0(VALU_DEP_2) | instskip(SKIP_1) | instid1(SALU_CYCLE_1)
	v_cmp_neq_f64_e64 s2, 1.0, v[4:5]
	s_or_b32 s2, vcc_lo, s2
	s_and_saveexec_b32 s3, s2
	s_cbranch_execz .LBB64_23
; %bb.5:
	s_load_b64 s[2:3], s[0:1], 0x0
	s_bfe_u32 s4, ttmp6, 0x4000c
	s_and_b32 s5, ttmp6, 15
	s_add_co_i32 s4, s4, 1
	s_getreg_b32 s6, hwreg(HW_REG_IB_STS2, 6, 4)
	s_mul_i32 s4, ttmp9, s4
	v_lshrrev_b32_e32 v1, 4, v0
	s_add_co_i32 s5, s5, s4
	s_cmp_eq_u32 s6, 0
	s_cselect_b32 s4, ttmp9, s5
	s_delay_alu instid0(VALU_DEP_1) | instid1(SALU_CYCLE_1)
	v_lshl_or_b32 v6, s4, 3, v1
	s_wait_kmcnt 0x0
	s_delay_alu instid0(VALU_DEP_1)
	v_cmp_gt_i32_e32 vcc_lo, s2, v6
	s_and_b32 exec_lo, exec_lo, vcc_lo
	s_cbranch_execz .LBB64_23
; %bb.6:
	s_load_b256 s[4:11], s[0:1], 0x10
	v_ashrrev_i32_e32 v7, 31, v6
	s_cmp_lg_u32 s3, 0
	s_wait_kmcnt 0x0
	s_delay_alu instid0(VALU_DEP_1)
	v_lshl_add_u64 v[8:9], v[6:7], 2, s[4:5]
	v_and_b32_e32 v7, 15, v0
	global_load_b64 v[8:9], v[8:9], off
	s_wait_loadcnt 0x0
	v_subrev_nc_u32_e32 v0, s12, v8
	v_subrev_nc_u32_e32 v18, s12, v9
	s_delay_alu instid0(VALU_DEP_2) | instskip(NEXT) | instid1(VALU_DEP_1)
	v_add_nc_u32_e32 v19, v0, v7
	v_cmp_lt_i32_e64 s2, v19, v18
	s_cbranch_scc0 .LBB64_12
; %bb.7:
	v_mov_b64_e32 v[0:1], 0
	v_mov_b64_e32 v[8:9], 0
	;; [unrolled: 1-line block ×4, first 2 shown]
	s_and_saveexec_b32 s3, s2
	s_cbranch_execz .LBB64_11
; %bb.8:
	v_mad_u32 v14, v19, 28, 24
	v_mov_b64_e32 v[0:1], 0
	v_mov_b64_e32 v[8:9], 0
	;; [unrolled: 1-line block ×4, first 2 shown]
	v_dual_mov_b32 v17, 0 :: v_dual_mov_b32 v20, v19
	s_mov_b32 s4, 0
.LBB64_9:                               ; =>This Inner Loop Header: Depth=1
	global_load_b32 v15, v20, s[6:7] scale_offset
	v_subrev_nc_u32_e32 v16, 24, v14
	s_wait_xcnt 0x0
	v_add_nc_u32_e32 v20, 16, v20
	s_delay_alu instid0(VALU_DEP_2) | instskip(SKIP_1) | instid1(VALU_DEP_3)
	v_lshl_add_u64 v[30:31], v[16:17], 3, s[8:9]
	v_subrev_nc_u32_e32 v16, 20, v14
	v_cmp_ge_i32_e32 vcc_lo, v20, v18
	s_delay_alu instid0(VALU_DEP_2) | instskip(SKIP_2) | instid1(VALU_DEP_1)
	v_lshl_add_u64 v[38:39], v[16:17], 3, s[8:9]
	v_add_nc_u32_e32 v16, -16, v14
	s_or_b32 s4, vcc_lo, s4
	v_lshl_add_u64 v[46:47], v[16:17], 3, s[8:9]
	v_add_nc_u32_e32 v16, -12, v14
	s_delay_alu instid0(VALU_DEP_1) | instskip(SKIP_1) | instid1(VALU_DEP_1)
	v_lshl_add_u64 v[54:55], v[16:17], 3, s[8:9]
	v_add_nc_u32_e32 v16, -8, v14
	v_lshl_add_u64 v[62:63], v[16:17], 3, s[8:9]
	v_add_nc_u32_e32 v16, -4, v14
	s_delay_alu instid0(VALU_DEP_1) | instskip(SKIP_2) | instid1(VALU_DEP_1)
	v_lshl_add_u64 v[70:71], v[16:17], 3, s[8:9]
	s_wait_loadcnt 0x0
	v_subrev_nc_u32_e32 v15, s12, v15
	v_mul_lo_u32 v21, v15, 7
	s_clause 0x1
	global_load_b128 v[22:25], v[30:31], off offset:16
	global_load_b128 v[26:29], v[30:31], off
	global_load_b64 v[78:79], v21, s[10:11] scale_offset
	global_load_b128 v[30:33], v[38:39], off offset:16
	v_add_nc_u32_e32 v15, 1, v21
	global_load_b128 v[34:37], v[38:39], off
	global_load_b64 v[80:81], v15, s[10:11] scale_offset
	s_wait_xcnt 0x0
	v_add_nc_u32_e32 v15, 2, v21
	s_clause 0x1
	global_load_b128 v[38:41], v[46:47], off offset:16
	global_load_b128 v[42:45], v[46:47], off
	global_load_b64 v[82:83], v15, s[10:11] scale_offset
	s_wait_xcnt 0x0
	v_add_nc_u32_e32 v15, 3, v21
	s_clause 0x1
	global_load_b128 v[46:49], v[54:55], off offset:16
	;; [unrolled: 6-line block ×4, first 2 shown]
	global_load_b128 v[66:69], v[70:71], off
	global_load_b64 v[88:89], v15, s[10:11] scale_offset
	s_wait_xcnt 0x0
	v_mov_b32_e32 v15, v17
	s_delay_alu instid0(VALU_DEP_1)
	v_lshl_add_u64 v[90:91], v[14:15], 3, s[8:9]
	v_add_nc_u32_e32 v15, 6, v21
	v_add_nc_u32_e32 v14, 0x1c0, v14
	s_clause 0x1
	global_load_b128 v[70:73], v[90:91], off offset:16
	global_load_b128 v[74:77], v[90:91], off
	global_load_b64 v[92:93], v15, s[10:11] scale_offset
	s_wait_loadcnt 0x12
	v_fmac_f64_e32 v[0:1], v[26:27], v[78:79]
	v_fmac_f64_e32 v[12:13], v[28:29], v[78:79]
	;; [unrolled: 1-line block ×4, first 2 shown]
	s_wait_loadcnt 0xf
	s_delay_alu instid0(VALU_DEP_4) | instskip(NEXT) | instid1(VALU_DEP_4)
	v_fmac_f64_e32 v[0:1], v[34:35], v[80:81]
	v_fmac_f64_e32 v[12:13], v[36:37], v[80:81]
	s_delay_alu instid0(VALU_DEP_4) | instskip(NEXT) | instid1(VALU_DEP_4)
	v_fmac_f64_e32 v[10:11], v[30:31], v[80:81]
	v_fmac_f64_e32 v[8:9], v[32:33], v[80:81]
	s_wait_loadcnt 0xc
	s_delay_alu instid0(VALU_DEP_4) | instskip(NEXT) | instid1(VALU_DEP_4)
	v_fmac_f64_e32 v[0:1], v[42:43], v[82:83]
	v_fmac_f64_e32 v[12:13], v[44:45], v[82:83]
	s_delay_alu instid0(VALU_DEP_4) | instskip(NEXT) | instid1(VALU_DEP_4)
	v_fmac_f64_e32 v[10:11], v[38:39], v[82:83]
	v_fmac_f64_e32 v[8:9], v[40:41], v[82:83]
	s_wait_loadcnt 0x9
	s_delay_alu instid0(VALU_DEP_4) | instskip(NEXT) | instid1(VALU_DEP_4)
	v_fmac_f64_e32 v[0:1], v[50:51], v[84:85]
	v_fmac_f64_e32 v[12:13], v[52:53], v[84:85]
	s_delay_alu instid0(VALU_DEP_4) | instskip(NEXT) | instid1(VALU_DEP_4)
	v_fmac_f64_e32 v[10:11], v[46:47], v[84:85]
	v_fmac_f64_e32 v[8:9], v[48:49], v[84:85]
	s_wait_loadcnt 0x6
	s_delay_alu instid0(VALU_DEP_4) | instskip(NEXT) | instid1(VALU_DEP_4)
	v_fmac_f64_e32 v[0:1], v[58:59], v[86:87]
	v_fmac_f64_e32 v[12:13], v[60:61], v[86:87]
	s_delay_alu instid0(VALU_DEP_4) | instskip(NEXT) | instid1(VALU_DEP_4)
	v_fmac_f64_e32 v[10:11], v[54:55], v[86:87]
	v_fmac_f64_e32 v[8:9], v[56:57], v[86:87]
	s_wait_loadcnt 0x3
	s_delay_alu instid0(VALU_DEP_4) | instskip(NEXT) | instid1(VALU_DEP_4)
	v_fmac_f64_e32 v[0:1], v[66:67], v[88:89]
	v_fmac_f64_e32 v[12:13], v[68:69], v[88:89]
	s_delay_alu instid0(VALU_DEP_4) | instskip(NEXT) | instid1(VALU_DEP_4)
	v_fmac_f64_e32 v[10:11], v[62:63], v[88:89]
	v_fmac_f64_e32 v[8:9], v[64:65], v[88:89]
	s_wait_loadcnt 0x0
	s_delay_alu instid0(VALU_DEP_4) | instskip(NEXT) | instid1(VALU_DEP_4)
	v_fmac_f64_e32 v[0:1], v[74:75], v[92:93]
	v_fmac_f64_e32 v[12:13], v[76:77], v[92:93]
	s_delay_alu instid0(VALU_DEP_4) | instskip(NEXT) | instid1(VALU_DEP_4)
	v_fmac_f64_e32 v[10:11], v[70:71], v[92:93]
	v_fmac_f64_e32 v[8:9], v[72:73], v[92:93]
	s_and_not1_b32 exec_lo, exec_lo, s4
	s_cbranch_execnz .LBB64_9
; %bb.10:
	s_or_b32 exec_lo, exec_lo, s4
.LBB64_11:
	s_delay_alu instid0(SALU_CYCLE_1)
	s_or_b32 exec_lo, exec_lo, s3
	s_cbranch_execz .LBB64_13
	s_branch .LBB64_18
.LBB64_12:
                                        ; implicit-def: $vgpr0_vgpr1
                                        ; implicit-def: $vgpr8_vgpr9
                                        ; implicit-def: $vgpr10_vgpr11
                                        ; implicit-def: $vgpr12_vgpr13
.LBB64_13:
	v_mov_b64_e32 v[0:1], 0
	v_mov_b64_e32 v[8:9], 0
	;; [unrolled: 1-line block ×4, first 2 shown]
	s_and_saveexec_b32 s3, s2
	s_cbranch_execz .LBB64_17
; %bb.14:
	v_mad_u32 v16, v19, 28, 27
	v_mov_b64_e32 v[0:1], 0
	v_mov_b64_e32 v[8:9], 0
	;; [unrolled: 1-line block ×4, first 2 shown]
	v_mov_b32_e32 v15, 0
	s_mov_b32 s2, 0
.LBB64_15:                              ; =>This Inner Loop Header: Depth=1
	global_load_b32 v17, v19, s[6:7] scale_offset
	v_subrev_nc_u32_e32 v14, 27, v16
	v_subrev_nc_u32_e32 v36, 20, v16
	v_dual_add_nc_u32 v37, -13, v16 :: v_dual_add_nc_u32 v38, -6, v16
	v_dual_add_nc_u32 v40, -12, v16 :: v_dual_add_nc_u32 v44, -5, v16
	s_delay_alu instid0(VALU_DEP_4)
	v_lshl_add_u64 v[28:29], v[14:15], 3, s[8:9]
	s_clause 0x4
	global_load_b64 v[30:31], v36, s[8:9] scale_offset
	global_load_b64 v[32:33], v37, s[8:9] scale_offset
	;; [unrolled: 1-line block ×3, first 2 shown]
	global_load_b128 v[20:23], v[28:29], off offset:16
	global_load_b128 v[24:27], v[28:29], off
	v_dual_add_nc_u32 v56, -10, v16 :: v_dual_add_nc_u32 v60, -3, v16
	v_dual_add_nc_u32 v67, -9, v16 :: v_dual_add_nc_u32 v70, -2, v16
	;; [unrolled: 1-line block ×3, first 2 shown]
	s_wait_xcnt 0x5
	v_dual_add_nc_u32 v19, 16, v19 :: v_dual_add_nc_u32 v48, -11, v16
	v_dual_add_nc_u32 v66, -16, v16 :: v_dual_add_nc_u32 v76, -15, v16
	v_add_nc_u32_e32 v82, -14, v16
	s_delay_alu instid0(VALU_DEP_3) | instskip(SKIP_4) | instid1(VALU_DEP_2)
	v_cmp_ge_i32_e32 vcc_lo, v19, v18
	s_or_b32 s2, vcc_lo, s2
	s_wait_loadcnt 0x5
	v_subrev_nc_u32_e32 v14, s12, v17
	v_subrev_nc_u32_e32 v17, 19, v16
	v_mul_lo_u32 v14, v14, 7
	v_dual_add_nc_u32 v52, -4, v16 :: v_dual_add_nc_u32 v83, -7, v16
	global_load_b64 v[28:29], v14, s[10:11] scale_offset
	s_clause 0x1
	global_load_b64 v[36:37], v17, s[8:9] scale_offset
	global_load_b64 v[38:39], v40, s[8:9] scale_offset
	s_wait_xcnt 0x1
	v_add_nc_u32_e32 v17, 1, v14
	global_load_b64 v[40:41], v44, s[8:9] scale_offset
	global_load_b64 v[42:43], v17, s[10:11] scale_offset
	s_wait_xcnt 0x0
	v_subrev_nc_u32_e32 v17, 18, v16
	s_clause 0x1
	global_load_b64 v[44:45], v17, s[8:9] scale_offset
	global_load_b64 v[46:47], v48, s[8:9] scale_offset
	s_wait_xcnt 0x1
	v_add_nc_u32_e32 v17, 2, v14
	global_load_b64 v[48:49], v52, s[8:9] scale_offset
	global_load_b64 v[50:51], v17, s[10:11] scale_offset
	s_wait_xcnt 0x0
	v_subrev_nc_u32_e32 v17, 17, v16
	;; [unrolled: 9-line block ×3, first 2 shown]
	s_clause 0x2
	global_load_b64 v[60:61], v17, s[8:9] scale_offset
	global_load_b64 v[62:63], v66, s[8:9] scale_offset
	;; [unrolled: 1-line block ×3, first 2 shown]
	s_wait_xcnt 0x2
	v_add_nc_u32_e32 v17, 4, v14
	global_load_b64 v[66:67], v70, s[8:9] scale_offset
	global_load_b64 v[68:69], v17, s[10:11] scale_offset
	s_wait_xcnt 0x0
	v_subrev_nc_u32_e32 v17, 22, v16
	s_clause 0x2
	global_load_b64 v[70:71], v17, s[8:9] scale_offset
	global_load_b64 v[72:73], v76, s[8:9] scale_offset
	;; [unrolled: 1-line block ×3, first 2 shown]
	s_wait_xcnt 0x2
	v_add_nc_u32_e32 v17, 5, v14
	global_load_b64 v[76:77], v80, s[8:9] scale_offset
	global_load_b64 v[78:79], v17, s[10:11] scale_offset
	s_wait_xcnt 0x0
	v_subrev_nc_u32_e32 v17, 21, v16
	v_add_nc_u32_e32 v14, 6, v14
	s_wait_loadcnt 0x16
	v_fmac_f64_e32 v[12:13], v[30:31], v[28:29]
	global_load_b64 v[30:31], v17, s[8:9] scale_offset
	v_fmac_f64_e32 v[10:11], v[32:33], v[28:29]
	s_clause 0x1
	global_load_b64 v[32:33], v82, s[8:9] scale_offset
	global_load_b64 v[80:81], v83, s[8:9] scale_offset
	v_fmac_f64_e32 v[8:9], v[34:35], v[28:29]
	global_load_b64 v[34:35], v16, s[8:9] scale_offset
	v_fmac_f64_e32 v[0:1], v[24:25], v[28:29]
	global_load_b64 v[24:25], v14, s[10:11] scale_offset
	s_wait_xcnt 0x1
	v_add_nc_u32_e32 v16, 0x1c0, v16
	s_wait_loadcnt 0x17
	v_fmac_f64_e32 v[12:13], v[36:37], v[42:43]
	v_fmac_f64_e32 v[10:11], v[38:39], v[42:43]
	;; [unrolled: 1-line block ×4, first 2 shown]
	s_wait_loadcnt 0x13
	s_delay_alu instid0(VALU_DEP_4) | instskip(NEXT) | instid1(VALU_DEP_4)
	v_fmac_f64_e32 v[12:13], v[44:45], v[50:51]
	v_fmac_f64_e32 v[10:11], v[46:47], v[50:51]
	s_delay_alu instid0(VALU_DEP_4) | instskip(NEXT) | instid1(VALU_DEP_4)
	v_fmac_f64_e32 v[8:9], v[48:49], v[50:51]
	v_fmac_f64_e32 v[0:1], v[20:21], v[50:51]
	s_wait_loadcnt 0xf
	s_delay_alu instid0(VALU_DEP_4) | instskip(NEXT) | instid1(VALU_DEP_4)
	v_fmac_f64_e32 v[12:13], v[52:53], v[58:59]
	v_fmac_f64_e32 v[10:11], v[54:55], v[58:59]
	s_delay_alu instid0(VALU_DEP_4) | instskip(NEXT) | instid1(VALU_DEP_4)
	v_fmac_f64_e32 v[8:9], v[56:57], v[58:59]
	v_fmac_f64_e32 v[0:1], v[22:23], v[58:59]
	;; [unrolled: 7-line block ×4, first 2 shown]
	s_wait_loadcnt 0x0
	s_delay_alu instid0(VALU_DEP_1)
	v_fmac_f64_e32 v[0:1], v[30:31], v[24:25]
	v_fmac_f64_e32 v[12:13], v[32:33], v[24:25]
	;; [unrolled: 1-line block ×4, first 2 shown]
	s_and_not1_b32 exec_lo, exec_lo, s2
	s_cbranch_execnz .LBB64_15
; %bb.16:
	s_or_b32 exec_lo, exec_lo, s2
.LBB64_17:
	s_delay_alu instid0(SALU_CYCLE_1)
	s_or_b32 exec_lo, exec_lo, s3
.LBB64_18:
	v_mbcnt_lo_u32_b32 v24, -1, 0
	s_delay_alu instid0(VALU_DEP_1) | instskip(NEXT) | instid1(VALU_DEP_1)
	v_xor_b32_e32 v14, 8, v24
	v_cmp_gt_i32_e32 vcc_lo, 32, v14
	v_cndmask_b32_e32 v14, v24, v14, vcc_lo
	s_delay_alu instid0(VALU_DEP_1)
	v_lshlrev_b32_e32 v21, 2, v14
	ds_bpermute_b32 v16, v21, v12
	ds_bpermute_b32 v17, v21, v13
	s_wait_dscnt 0x0
	v_add_f64_e32 v[12:13], v[12:13], v[16:17]
	ds_bpermute_b32 v14, v21, v0
	ds_bpermute_b32 v15, v21, v1
	;; [unrolled: 1-line block ×6, first 2 shown]
	s_wait_dscnt 0x4
	v_dual_add_f64 v[0:1], v[0:1], v[14:15] :: v_dual_bitop2_b32 v14, 4, v24 bitop3:0x14
	s_wait_dscnt 0x2
	v_add_f64_e32 v[10:11], v[10:11], v[18:19]
	s_delay_alu instid0(VALU_DEP_2) | instskip(SKIP_2) | instid1(VALU_DEP_1)
	v_cmp_gt_i32_e32 vcc_lo, 32, v14
	v_cndmask_b32_e32 v14, v24, v14, vcc_lo
	s_wait_dscnt 0x0
	v_dual_add_f64 v[8:9], v[8:9], v[20:21] :: v_dual_lshlrev_b32 v21, 2, v14
	ds_bpermute_b32 v16, v21, v12
	ds_bpermute_b32 v17, v21, v13
	;; [unrolled: 1-line block ×8, first 2 shown]
	s_wait_dscnt 0x4
	v_add_f64_e32 v[0:1], v[0:1], v[14:15]
	v_add_f64_e32 v[14:15], v[12:13], v[16:17]
	s_wait_dscnt 0x2
	v_dual_add_f64 v[16:17], v[10:11], v[18:19] :: v_dual_bitop2_b32 v10, 2, v24 bitop3:0x14
	s_delay_alu instid0(VALU_DEP_1) | instskip(SKIP_3) | instid1(VALU_DEP_1)
	v_cmp_gt_i32_e32 vcc_lo, 32, v10
	s_wait_dscnt 0x0
	v_add_f64_e32 v[8:9], v[8:9], v[20:21]
	v_cndmask_b32_e32 v10, v24, v10, vcc_lo
	v_lshlrev_b32_e32 v12, 2, v10
	ds_bpermute_b32 v10, v12, v0
	ds_bpermute_b32 v11, v12, v1
	;; [unrolled: 1-line block ×8, first 2 shown]
	s_wait_dscnt 0x6
	v_add_f64_e32 v[12:13], v[0:1], v[10:11]
	s_wait_dscnt 0x4
	v_dual_add_f64 v[10:11], v[14:15], v[18:19] :: v_dual_bitop2_b32 v14, 1, v24 bitop3:0x14
	s_wait_dscnt 0x2
	v_add_f64_e32 v[0:1], v[16:17], v[20:21]
	s_delay_alu instid0(VALU_DEP_2) | instskip(SKIP_2) | instid1(VALU_DEP_2)
	v_cmp_gt_i32_e32 vcc_lo, 32, v14
	v_cndmask_b32_e32 v14, v24, v14, vcc_lo
	v_cmp_eq_u32_e32 vcc_lo, 15, v7
	v_lshlrev_b32_e32 v15, 2, v14
	s_wait_dscnt 0x0
	v_add_f64_e32 v[8:9], v[8:9], v[22:23]
	ds_bpermute_b32 v20, v15, v12
	ds_bpermute_b32 v21, v15, v13
	;; [unrolled: 1-line block ×8, first 2 shown]
	s_and_b32 exec_lo, exec_lo, vcc_lo
	s_cbranch_execz .LBB64_23
; %bb.19:
	s_wait_dscnt 0x6
	v_add_f64_e32 v[12:13], v[12:13], v[20:21]
	s_wait_dscnt 0x4
	v_add_f64_e32 v[10:11], v[10:11], v[18:19]
	;; [unrolled: 2-line block ×4, first 2 shown]
	s_load_b64 s[0:1], s[0:1], 0x38
	s_mov_b32 s2, exec_lo
	v_cmpx_eq_f64_e32 0, v[4:5]
	s_xor_b32 s2, exec_lo, s2
	s_cbranch_execz .LBB64_21
; %bb.20:
	v_dual_mul_f64 v[12:13], v[2:3], v[12:13] :: v_dual_lshlrev_b32 v4, 2, v6
	v_mul_f64_e32 v[14:15], v[2:3], v[10:11]
	v_mul_f64_e32 v[0:1], v[2:3], v[0:1]
	;; [unrolled: 1-line block ×3, first 2 shown]
                                        ; implicit-def: $vgpr6
                                        ; implicit-def: $vgpr10_vgpr11
                                        ; implicit-def: $vgpr8_vgpr9
	s_delay_alu instid0(VALU_DEP_4) | instskip(SKIP_1) | instid1(VALU_DEP_1)
	v_ashrrev_i32_e32 v5, 31, v4
	s_wait_kmcnt 0x0
	v_lshl_add_u64 v[4:5], v[4:5], 3, s[0:1]
	s_clause 0x1
	global_store_b128 v[4:5], v[12:15], off
	global_store_b128 v[4:5], v[0:3], off offset:16
                                        ; implicit-def: $vgpr2_vgpr3
                                        ; implicit-def: $vgpr12_vgpr13
                                        ; implicit-def: $vgpr4_vgpr5
                                        ; implicit-def: $vgpr0_vgpr1
.LBB64_21:
	s_wait_xcnt 0x0
	s_and_not1_saveexec_b32 s2, s2
	s_cbranch_execz .LBB64_23
; %bb.22:
	v_dual_mul_f64 v[22:23], v[2:3], v[12:13] :: v_dual_lshlrev_b32 v6, 2, v6
	v_mul_f64_e32 v[24:25], v[2:3], v[10:11]
	v_mul_f64_e32 v[0:1], v[2:3], v[0:1]
	s_delay_alu instid0(VALU_DEP_3) | instskip(SKIP_1) | instid1(VALU_DEP_1)
	v_dual_mul_f64 v[2:3], v[2:3], v[8:9] :: v_dual_ashrrev_i32 v7, 31, v6
	s_wait_kmcnt 0x0
	v_lshl_add_u64 v[6:7], v[6:7], 3, s[0:1]
	s_clause 0x1
	global_load_b128 v[14:17], v[6:7], off
	global_load_b128 v[18:21], v[6:7], off offset:16
	s_wait_loadcnt 0x1
	v_fmac_f64_e32 v[22:23], v[4:5], v[14:15]
	v_fmac_f64_e32 v[24:25], v[4:5], v[16:17]
	s_wait_loadcnt 0x0
	v_fmac_f64_e32 v[0:1], v[4:5], v[18:19]
	v_fmac_f64_e32 v[2:3], v[4:5], v[20:21]
	s_clause 0x1
	global_store_b128 v[6:7], v[22:25], off
	global_store_b128 v[6:7], v[0:3], off offset:16
.LBB64_23:
	s_sendmsg sendmsg(MSG_DEALLOC_VGPRS)
	s_endpgm
	.section	.rodata,"a",@progbits
	.p2align	6, 0x0
	.amdhsa_kernel _ZN9rocsparseL19gebsrmvn_4xn_kernelILj128ELj7ELj16EdEEvi20rocsparse_direction_NS_24const_host_device_scalarIT2_EEPKiS6_PKS3_S8_S4_PS3_21rocsparse_index_base_b
		.amdhsa_group_segment_fixed_size 0
		.amdhsa_private_segment_fixed_size 0
		.amdhsa_kernarg_size 72
		.amdhsa_user_sgpr_count 2
		.amdhsa_user_sgpr_dispatch_ptr 0
		.amdhsa_user_sgpr_queue_ptr 0
		.amdhsa_user_sgpr_kernarg_segment_ptr 1
		.amdhsa_user_sgpr_dispatch_id 0
		.amdhsa_user_sgpr_kernarg_preload_length 0
		.amdhsa_user_sgpr_kernarg_preload_offset 0
		.amdhsa_user_sgpr_private_segment_size 0
		.amdhsa_wavefront_size32 1
		.amdhsa_uses_dynamic_stack 0
		.amdhsa_enable_private_segment 0
		.amdhsa_system_sgpr_workgroup_id_x 1
		.amdhsa_system_sgpr_workgroup_id_y 0
		.amdhsa_system_sgpr_workgroup_id_z 0
		.amdhsa_system_sgpr_workgroup_info 0
		.amdhsa_system_vgpr_workitem_id 0
		.amdhsa_next_free_vgpr 94
		.amdhsa_next_free_sgpr 14
		.amdhsa_named_barrier_count 0
		.amdhsa_reserve_vcc 1
		.amdhsa_float_round_mode_32 0
		.amdhsa_float_round_mode_16_64 0
		.amdhsa_float_denorm_mode_32 3
		.amdhsa_float_denorm_mode_16_64 3
		.amdhsa_fp16_overflow 0
		.amdhsa_memory_ordered 1
		.amdhsa_forward_progress 1
		.amdhsa_inst_pref_size 22
		.amdhsa_round_robin_scheduling 0
		.amdhsa_exception_fp_ieee_invalid_op 0
		.amdhsa_exception_fp_denorm_src 0
		.amdhsa_exception_fp_ieee_div_zero 0
		.amdhsa_exception_fp_ieee_overflow 0
		.amdhsa_exception_fp_ieee_underflow 0
		.amdhsa_exception_fp_ieee_inexact 0
		.amdhsa_exception_int_div_zero 0
	.end_amdhsa_kernel
	.section	.text._ZN9rocsparseL19gebsrmvn_4xn_kernelILj128ELj7ELj16EdEEvi20rocsparse_direction_NS_24const_host_device_scalarIT2_EEPKiS6_PKS3_S8_S4_PS3_21rocsparse_index_base_b,"axG",@progbits,_ZN9rocsparseL19gebsrmvn_4xn_kernelILj128ELj7ELj16EdEEvi20rocsparse_direction_NS_24const_host_device_scalarIT2_EEPKiS6_PKS3_S8_S4_PS3_21rocsparse_index_base_b,comdat
.Lfunc_end64:
	.size	_ZN9rocsparseL19gebsrmvn_4xn_kernelILj128ELj7ELj16EdEEvi20rocsparse_direction_NS_24const_host_device_scalarIT2_EEPKiS6_PKS3_S8_S4_PS3_21rocsparse_index_base_b, .Lfunc_end64-_ZN9rocsparseL19gebsrmvn_4xn_kernelILj128ELj7ELj16EdEEvi20rocsparse_direction_NS_24const_host_device_scalarIT2_EEPKiS6_PKS3_S8_S4_PS3_21rocsparse_index_base_b
                                        ; -- End function
	.set _ZN9rocsparseL19gebsrmvn_4xn_kernelILj128ELj7ELj16EdEEvi20rocsparse_direction_NS_24const_host_device_scalarIT2_EEPKiS6_PKS3_S8_S4_PS3_21rocsparse_index_base_b.num_vgpr, 94
	.set _ZN9rocsparseL19gebsrmvn_4xn_kernelILj128ELj7ELj16EdEEvi20rocsparse_direction_NS_24const_host_device_scalarIT2_EEPKiS6_PKS3_S8_S4_PS3_21rocsparse_index_base_b.num_agpr, 0
	.set _ZN9rocsparseL19gebsrmvn_4xn_kernelILj128ELj7ELj16EdEEvi20rocsparse_direction_NS_24const_host_device_scalarIT2_EEPKiS6_PKS3_S8_S4_PS3_21rocsparse_index_base_b.numbered_sgpr, 14
	.set _ZN9rocsparseL19gebsrmvn_4xn_kernelILj128ELj7ELj16EdEEvi20rocsparse_direction_NS_24const_host_device_scalarIT2_EEPKiS6_PKS3_S8_S4_PS3_21rocsparse_index_base_b.num_named_barrier, 0
	.set _ZN9rocsparseL19gebsrmvn_4xn_kernelILj128ELj7ELj16EdEEvi20rocsparse_direction_NS_24const_host_device_scalarIT2_EEPKiS6_PKS3_S8_S4_PS3_21rocsparse_index_base_b.private_seg_size, 0
	.set _ZN9rocsparseL19gebsrmvn_4xn_kernelILj128ELj7ELj16EdEEvi20rocsparse_direction_NS_24const_host_device_scalarIT2_EEPKiS6_PKS3_S8_S4_PS3_21rocsparse_index_base_b.uses_vcc, 1
	.set _ZN9rocsparseL19gebsrmvn_4xn_kernelILj128ELj7ELj16EdEEvi20rocsparse_direction_NS_24const_host_device_scalarIT2_EEPKiS6_PKS3_S8_S4_PS3_21rocsparse_index_base_b.uses_flat_scratch, 0
	.set _ZN9rocsparseL19gebsrmvn_4xn_kernelILj128ELj7ELj16EdEEvi20rocsparse_direction_NS_24const_host_device_scalarIT2_EEPKiS6_PKS3_S8_S4_PS3_21rocsparse_index_base_b.has_dyn_sized_stack, 0
	.set _ZN9rocsparseL19gebsrmvn_4xn_kernelILj128ELj7ELj16EdEEvi20rocsparse_direction_NS_24const_host_device_scalarIT2_EEPKiS6_PKS3_S8_S4_PS3_21rocsparse_index_base_b.has_recursion, 0
	.set _ZN9rocsparseL19gebsrmvn_4xn_kernelILj128ELj7ELj16EdEEvi20rocsparse_direction_NS_24const_host_device_scalarIT2_EEPKiS6_PKS3_S8_S4_PS3_21rocsparse_index_base_b.has_indirect_call, 0
	.section	.AMDGPU.csdata,"",@progbits
; Kernel info:
; codeLenInByte = 2736
; TotalNumSgprs: 16
; NumVgprs: 94
; ScratchSize: 0
; MemoryBound: 1
; FloatMode: 240
; IeeeMode: 1
; LDSByteSize: 0 bytes/workgroup (compile time only)
; SGPRBlocks: 0
; VGPRBlocks: 5
; NumSGPRsForWavesPerEU: 16
; NumVGPRsForWavesPerEU: 94
; NamedBarCnt: 0
; Occupancy: 10
; WaveLimiterHint : 1
; COMPUTE_PGM_RSRC2:SCRATCH_EN: 0
; COMPUTE_PGM_RSRC2:USER_SGPR: 2
; COMPUTE_PGM_RSRC2:TRAP_HANDLER: 0
; COMPUTE_PGM_RSRC2:TGID_X_EN: 1
; COMPUTE_PGM_RSRC2:TGID_Y_EN: 0
; COMPUTE_PGM_RSRC2:TGID_Z_EN: 0
; COMPUTE_PGM_RSRC2:TIDIG_COMP_CNT: 0
	.section	.text._ZN9rocsparseL19gebsrmvn_4xn_kernelILj128ELj7ELj32EdEEvi20rocsparse_direction_NS_24const_host_device_scalarIT2_EEPKiS6_PKS3_S8_S4_PS3_21rocsparse_index_base_b,"axG",@progbits,_ZN9rocsparseL19gebsrmvn_4xn_kernelILj128ELj7ELj32EdEEvi20rocsparse_direction_NS_24const_host_device_scalarIT2_EEPKiS6_PKS3_S8_S4_PS3_21rocsparse_index_base_b,comdat
	.globl	_ZN9rocsparseL19gebsrmvn_4xn_kernelILj128ELj7ELj32EdEEvi20rocsparse_direction_NS_24const_host_device_scalarIT2_EEPKiS6_PKS3_S8_S4_PS3_21rocsparse_index_base_b ; -- Begin function _ZN9rocsparseL19gebsrmvn_4xn_kernelILj128ELj7ELj32EdEEvi20rocsparse_direction_NS_24const_host_device_scalarIT2_EEPKiS6_PKS3_S8_S4_PS3_21rocsparse_index_base_b
	.p2align	8
	.type	_ZN9rocsparseL19gebsrmvn_4xn_kernelILj128ELj7ELj32EdEEvi20rocsparse_direction_NS_24const_host_device_scalarIT2_EEPKiS6_PKS3_S8_S4_PS3_21rocsparse_index_base_b,@function
_ZN9rocsparseL19gebsrmvn_4xn_kernelILj128ELj7ELj32EdEEvi20rocsparse_direction_NS_24const_host_device_scalarIT2_EEPKiS6_PKS3_S8_S4_PS3_21rocsparse_index_base_b: ; @_ZN9rocsparseL19gebsrmvn_4xn_kernelILj128ELj7ELj32EdEEvi20rocsparse_direction_NS_24const_host_device_scalarIT2_EEPKiS6_PKS3_S8_S4_PS3_21rocsparse_index_base_b
; %bb.0:
	s_clause 0x2
	s_load_b64 s[12:13], s[0:1], 0x40
	s_load_b64 s[4:5], s[0:1], 0x8
	s_load_b64 s[2:3], s[0:1], 0x30
	s_wait_kmcnt 0x0
	s_bitcmp1_b32 s13, 0
	v_mov_b64_e32 v[2:3], s[4:5]
	s_cselect_b32 s6, -1, 0
	s_delay_alu instid0(SALU_CYCLE_1)
	s_and_b32 vcc_lo, exec_lo, s6
	s_xor_b32 s6, s6, -1
	s_cbranch_vccnz .LBB65_2
; %bb.1:
	v_mov_b32_e32 v1, 0
	flat_load_b64 v[2:3], v1, s[4:5]
.LBB65_2:
	v_mov_b64_e32 v[4:5], s[2:3]
	s_and_not1_b32 vcc_lo, exec_lo, s6
	s_cbranch_vccnz .LBB65_4
; %bb.3:
	s_wait_xcnt 0x0
	v_mov_b32_e32 v1, 0
	flat_load_b64 v[4:5], v1, s[2:3]
.LBB65_4:
	s_wait_loadcnt_dscnt 0x0
	v_cmp_neq_f64_e32 vcc_lo, 0, v[2:3]
	s_delay_alu instid0(VALU_DEP_2) | instskip(SKIP_1) | instid1(SALU_CYCLE_1)
	v_cmp_neq_f64_e64 s2, 1.0, v[4:5]
	s_or_b32 s2, vcc_lo, s2
	s_and_saveexec_b32 s3, s2
	s_cbranch_execz .LBB65_23
; %bb.5:
	s_load_b64 s[2:3], s[0:1], 0x0
	s_bfe_u32 s4, ttmp6, 0x4000c
	s_and_b32 s5, ttmp6, 15
	s_add_co_i32 s4, s4, 1
	s_getreg_b32 s6, hwreg(HW_REG_IB_STS2, 6, 4)
	s_mul_i32 s4, ttmp9, s4
	v_lshrrev_b32_e32 v1, 5, v0
	s_add_co_i32 s5, s5, s4
	s_cmp_eq_u32 s6, 0
	s_cselect_b32 s4, ttmp9, s5
	s_delay_alu instid0(VALU_DEP_1) | instid1(SALU_CYCLE_1)
	v_lshl_or_b32 v6, s4, 2, v1
	s_wait_kmcnt 0x0
	s_delay_alu instid0(VALU_DEP_1)
	v_cmp_gt_i32_e32 vcc_lo, s2, v6
	s_and_b32 exec_lo, exec_lo, vcc_lo
	s_cbranch_execz .LBB65_23
; %bb.6:
	s_load_b256 s[4:11], s[0:1], 0x10
	v_ashrrev_i32_e32 v7, 31, v6
	s_cmp_lg_u32 s3, 0
	s_wait_kmcnt 0x0
	s_delay_alu instid0(VALU_DEP_1)
	v_lshl_add_u64 v[8:9], v[6:7], 2, s[4:5]
	v_and_b32_e32 v7, 31, v0
	global_load_b64 v[8:9], v[8:9], off
	s_wait_loadcnt 0x0
	v_subrev_nc_u32_e32 v0, s12, v8
	v_subrev_nc_u32_e32 v18, s12, v9
	s_delay_alu instid0(VALU_DEP_2) | instskip(NEXT) | instid1(VALU_DEP_1)
	v_add_nc_u32_e32 v19, v0, v7
	v_cmp_lt_i32_e64 s2, v19, v18
	s_cbranch_scc0 .LBB65_12
; %bb.7:
	v_mov_b64_e32 v[0:1], 0
	v_mov_b64_e32 v[8:9], 0
	;; [unrolled: 1-line block ×4, first 2 shown]
	s_and_saveexec_b32 s3, s2
	s_cbranch_execz .LBB65_11
; %bb.8:
	v_mad_u32 v14, v19, 28, 24
	v_mov_b64_e32 v[0:1], 0
	v_mov_b64_e32 v[8:9], 0
	;; [unrolled: 1-line block ×4, first 2 shown]
	v_dual_mov_b32 v17, 0 :: v_dual_mov_b32 v20, v19
	s_mov_b32 s4, 0
.LBB65_9:                               ; =>This Inner Loop Header: Depth=1
	global_load_b32 v15, v20, s[6:7] scale_offset
	v_subrev_nc_u32_e32 v16, 24, v14
	s_wait_xcnt 0x0
	v_add_nc_u32_e32 v20, 32, v20
	s_delay_alu instid0(VALU_DEP_2) | instskip(SKIP_1) | instid1(VALU_DEP_3)
	v_lshl_add_u64 v[30:31], v[16:17], 3, s[8:9]
	v_subrev_nc_u32_e32 v16, 20, v14
	v_cmp_ge_i32_e32 vcc_lo, v20, v18
	s_delay_alu instid0(VALU_DEP_2) | instskip(SKIP_2) | instid1(VALU_DEP_1)
	v_lshl_add_u64 v[38:39], v[16:17], 3, s[8:9]
	v_add_nc_u32_e32 v16, -16, v14
	s_or_b32 s4, vcc_lo, s4
	v_lshl_add_u64 v[46:47], v[16:17], 3, s[8:9]
	v_add_nc_u32_e32 v16, -12, v14
	s_delay_alu instid0(VALU_DEP_1) | instskip(SKIP_1) | instid1(VALU_DEP_1)
	v_lshl_add_u64 v[54:55], v[16:17], 3, s[8:9]
	v_add_nc_u32_e32 v16, -8, v14
	v_lshl_add_u64 v[62:63], v[16:17], 3, s[8:9]
	v_add_nc_u32_e32 v16, -4, v14
	s_delay_alu instid0(VALU_DEP_1) | instskip(SKIP_2) | instid1(VALU_DEP_1)
	v_lshl_add_u64 v[70:71], v[16:17], 3, s[8:9]
	s_wait_loadcnt 0x0
	v_subrev_nc_u32_e32 v15, s12, v15
	v_mul_lo_u32 v21, v15, 7
	s_clause 0x1
	global_load_b128 v[22:25], v[30:31], off offset:16
	global_load_b128 v[26:29], v[30:31], off
	global_load_b64 v[78:79], v21, s[10:11] scale_offset
	global_load_b128 v[30:33], v[38:39], off offset:16
	v_add_nc_u32_e32 v15, 1, v21
	global_load_b128 v[34:37], v[38:39], off
	global_load_b64 v[80:81], v15, s[10:11] scale_offset
	s_wait_xcnt 0x0
	v_add_nc_u32_e32 v15, 2, v21
	s_clause 0x1
	global_load_b128 v[38:41], v[46:47], off offset:16
	global_load_b128 v[42:45], v[46:47], off
	global_load_b64 v[82:83], v15, s[10:11] scale_offset
	s_wait_xcnt 0x0
	v_add_nc_u32_e32 v15, 3, v21
	s_clause 0x1
	global_load_b128 v[46:49], v[54:55], off offset:16
	;; [unrolled: 6-line block ×4, first 2 shown]
	global_load_b128 v[66:69], v[70:71], off
	global_load_b64 v[88:89], v15, s[10:11] scale_offset
	s_wait_xcnt 0x0
	v_mov_b32_e32 v15, v17
	s_delay_alu instid0(VALU_DEP_1)
	v_lshl_add_u64 v[90:91], v[14:15], 3, s[8:9]
	v_add_nc_u32_e32 v15, 6, v21
	v_add_nc_u32_e32 v14, 0x380, v14
	s_clause 0x1
	global_load_b128 v[70:73], v[90:91], off offset:16
	global_load_b128 v[74:77], v[90:91], off
	global_load_b64 v[92:93], v15, s[10:11] scale_offset
	s_wait_loadcnt 0x12
	v_fmac_f64_e32 v[0:1], v[26:27], v[78:79]
	v_fmac_f64_e32 v[12:13], v[28:29], v[78:79]
	;; [unrolled: 1-line block ×4, first 2 shown]
	s_wait_loadcnt 0xf
	s_delay_alu instid0(VALU_DEP_4) | instskip(NEXT) | instid1(VALU_DEP_4)
	v_fmac_f64_e32 v[0:1], v[34:35], v[80:81]
	v_fmac_f64_e32 v[12:13], v[36:37], v[80:81]
	s_delay_alu instid0(VALU_DEP_4) | instskip(NEXT) | instid1(VALU_DEP_4)
	v_fmac_f64_e32 v[10:11], v[30:31], v[80:81]
	v_fmac_f64_e32 v[8:9], v[32:33], v[80:81]
	s_wait_loadcnt 0xc
	s_delay_alu instid0(VALU_DEP_4) | instskip(NEXT) | instid1(VALU_DEP_4)
	v_fmac_f64_e32 v[0:1], v[42:43], v[82:83]
	v_fmac_f64_e32 v[12:13], v[44:45], v[82:83]
	s_delay_alu instid0(VALU_DEP_4) | instskip(NEXT) | instid1(VALU_DEP_4)
	v_fmac_f64_e32 v[10:11], v[38:39], v[82:83]
	v_fmac_f64_e32 v[8:9], v[40:41], v[82:83]
	;; [unrolled: 7-line block ×6, first 2 shown]
	s_and_not1_b32 exec_lo, exec_lo, s4
	s_cbranch_execnz .LBB65_9
; %bb.10:
	s_or_b32 exec_lo, exec_lo, s4
.LBB65_11:
	s_delay_alu instid0(SALU_CYCLE_1)
	s_or_b32 exec_lo, exec_lo, s3
	s_cbranch_execz .LBB65_13
	s_branch .LBB65_18
.LBB65_12:
                                        ; implicit-def: $vgpr0_vgpr1
                                        ; implicit-def: $vgpr8_vgpr9
                                        ; implicit-def: $vgpr10_vgpr11
                                        ; implicit-def: $vgpr12_vgpr13
.LBB65_13:
	v_mov_b64_e32 v[0:1], 0
	v_mov_b64_e32 v[8:9], 0
	;; [unrolled: 1-line block ×4, first 2 shown]
	s_and_saveexec_b32 s3, s2
	s_cbranch_execz .LBB65_17
; %bb.14:
	v_mad_u32 v16, v19, 28, 27
	v_mov_b64_e32 v[0:1], 0
	v_mov_b64_e32 v[8:9], 0
	;; [unrolled: 1-line block ×4, first 2 shown]
	v_mov_b32_e32 v15, 0
	s_mov_b32 s2, 0
.LBB65_15:                              ; =>This Inner Loop Header: Depth=1
	global_load_b32 v17, v19, s[6:7] scale_offset
	v_subrev_nc_u32_e32 v14, 27, v16
	v_subrev_nc_u32_e32 v36, 20, v16
	v_dual_add_nc_u32 v37, -13, v16 :: v_dual_add_nc_u32 v38, -6, v16
	v_dual_add_nc_u32 v40, -12, v16 :: v_dual_add_nc_u32 v44, -5, v16
	s_delay_alu instid0(VALU_DEP_4)
	v_lshl_add_u64 v[28:29], v[14:15], 3, s[8:9]
	s_clause 0x4
	global_load_b64 v[30:31], v36, s[8:9] scale_offset
	global_load_b64 v[32:33], v37, s[8:9] scale_offset
	;; [unrolled: 1-line block ×3, first 2 shown]
	global_load_b128 v[20:23], v[28:29], off offset:16
	global_load_b128 v[24:27], v[28:29], off
	v_dual_add_nc_u32 v56, -10, v16 :: v_dual_add_nc_u32 v60, -3, v16
	v_dual_add_nc_u32 v67, -9, v16 :: v_dual_add_nc_u32 v70, -2, v16
	v_dual_add_nc_u32 v77, -8, v16 :: v_dual_add_nc_u32 v80, -1, v16
	s_wait_xcnt 0x5
	v_dual_add_nc_u32 v19, 32, v19 :: v_dual_add_nc_u32 v48, -11, v16
	v_dual_add_nc_u32 v66, -16, v16 :: v_dual_add_nc_u32 v76, -15, v16
	v_add_nc_u32_e32 v82, -14, v16
	s_delay_alu instid0(VALU_DEP_3) | instskip(SKIP_4) | instid1(VALU_DEP_2)
	v_cmp_ge_i32_e32 vcc_lo, v19, v18
	s_or_b32 s2, vcc_lo, s2
	s_wait_loadcnt 0x5
	v_subrev_nc_u32_e32 v14, s12, v17
	v_subrev_nc_u32_e32 v17, 19, v16
	v_mul_lo_u32 v14, v14, 7
	v_dual_add_nc_u32 v52, -4, v16 :: v_dual_add_nc_u32 v83, -7, v16
	global_load_b64 v[28:29], v14, s[10:11] scale_offset
	s_clause 0x1
	global_load_b64 v[36:37], v17, s[8:9] scale_offset
	global_load_b64 v[38:39], v40, s[8:9] scale_offset
	s_wait_xcnt 0x1
	v_add_nc_u32_e32 v17, 1, v14
	global_load_b64 v[40:41], v44, s[8:9] scale_offset
	global_load_b64 v[42:43], v17, s[10:11] scale_offset
	s_wait_xcnt 0x0
	v_subrev_nc_u32_e32 v17, 18, v16
	s_clause 0x1
	global_load_b64 v[44:45], v17, s[8:9] scale_offset
	global_load_b64 v[46:47], v48, s[8:9] scale_offset
	s_wait_xcnt 0x1
	v_add_nc_u32_e32 v17, 2, v14
	global_load_b64 v[48:49], v52, s[8:9] scale_offset
	global_load_b64 v[50:51], v17, s[10:11] scale_offset
	s_wait_xcnt 0x0
	v_subrev_nc_u32_e32 v17, 17, v16
	;; [unrolled: 9-line block ×3, first 2 shown]
	s_clause 0x2
	global_load_b64 v[60:61], v17, s[8:9] scale_offset
	global_load_b64 v[62:63], v66, s[8:9] scale_offset
	;; [unrolled: 1-line block ×3, first 2 shown]
	s_wait_xcnt 0x2
	v_add_nc_u32_e32 v17, 4, v14
	global_load_b64 v[66:67], v70, s[8:9] scale_offset
	global_load_b64 v[68:69], v17, s[10:11] scale_offset
	s_wait_xcnt 0x0
	v_subrev_nc_u32_e32 v17, 22, v16
	s_clause 0x2
	global_load_b64 v[70:71], v17, s[8:9] scale_offset
	global_load_b64 v[72:73], v76, s[8:9] scale_offset
	;; [unrolled: 1-line block ×3, first 2 shown]
	s_wait_xcnt 0x2
	v_add_nc_u32_e32 v17, 5, v14
	global_load_b64 v[76:77], v80, s[8:9] scale_offset
	global_load_b64 v[78:79], v17, s[10:11] scale_offset
	s_wait_xcnt 0x0
	v_subrev_nc_u32_e32 v17, 21, v16
	v_add_nc_u32_e32 v14, 6, v14
	s_wait_loadcnt 0x16
	v_fmac_f64_e32 v[12:13], v[30:31], v[28:29]
	global_load_b64 v[30:31], v17, s[8:9] scale_offset
	v_fmac_f64_e32 v[10:11], v[32:33], v[28:29]
	s_clause 0x1
	global_load_b64 v[32:33], v82, s[8:9] scale_offset
	global_load_b64 v[80:81], v83, s[8:9] scale_offset
	v_fmac_f64_e32 v[8:9], v[34:35], v[28:29]
	global_load_b64 v[34:35], v16, s[8:9] scale_offset
	v_fmac_f64_e32 v[0:1], v[24:25], v[28:29]
	global_load_b64 v[24:25], v14, s[10:11] scale_offset
	s_wait_xcnt 0x1
	v_add_nc_u32_e32 v16, 0x380, v16
	s_wait_loadcnt 0x17
	v_fmac_f64_e32 v[12:13], v[36:37], v[42:43]
	v_fmac_f64_e32 v[10:11], v[38:39], v[42:43]
	;; [unrolled: 1-line block ×4, first 2 shown]
	s_wait_loadcnt 0x13
	s_delay_alu instid0(VALU_DEP_4) | instskip(NEXT) | instid1(VALU_DEP_4)
	v_fmac_f64_e32 v[12:13], v[44:45], v[50:51]
	v_fmac_f64_e32 v[10:11], v[46:47], v[50:51]
	s_delay_alu instid0(VALU_DEP_4) | instskip(NEXT) | instid1(VALU_DEP_4)
	v_fmac_f64_e32 v[8:9], v[48:49], v[50:51]
	v_fmac_f64_e32 v[0:1], v[20:21], v[50:51]
	s_wait_loadcnt 0xf
	s_delay_alu instid0(VALU_DEP_4) | instskip(NEXT) | instid1(VALU_DEP_4)
	v_fmac_f64_e32 v[12:13], v[52:53], v[58:59]
	v_fmac_f64_e32 v[10:11], v[54:55], v[58:59]
	s_delay_alu instid0(VALU_DEP_4) | instskip(NEXT) | instid1(VALU_DEP_4)
	v_fmac_f64_e32 v[8:9], v[56:57], v[58:59]
	v_fmac_f64_e32 v[0:1], v[22:23], v[58:59]
	;; [unrolled: 7-line block ×4, first 2 shown]
	s_wait_loadcnt 0x0
	s_delay_alu instid0(VALU_DEP_1)
	v_fmac_f64_e32 v[0:1], v[30:31], v[24:25]
	v_fmac_f64_e32 v[12:13], v[32:33], v[24:25]
	;; [unrolled: 1-line block ×4, first 2 shown]
	s_and_not1_b32 exec_lo, exec_lo, s2
	s_cbranch_execnz .LBB65_15
; %bb.16:
	s_or_b32 exec_lo, exec_lo, s2
.LBB65_17:
	s_delay_alu instid0(SALU_CYCLE_1)
	s_or_b32 exec_lo, exec_lo, s3
.LBB65_18:
	v_mbcnt_lo_u32_b32 v24, -1, 0
	s_delay_alu instid0(VALU_DEP_1) | instskip(NEXT) | instid1(VALU_DEP_1)
	v_xor_b32_e32 v14, 16, v24
	v_cmp_gt_i32_e32 vcc_lo, 32, v14
	v_cndmask_b32_e32 v14, v24, v14, vcc_lo
	s_delay_alu instid0(VALU_DEP_1)
	v_lshlrev_b32_e32 v21, 2, v14
	ds_bpermute_b32 v16, v21, v12
	ds_bpermute_b32 v17, v21, v13
	s_wait_dscnt 0x0
	v_add_f64_e32 v[12:13], v[12:13], v[16:17]
	ds_bpermute_b32 v14, v21, v0
	ds_bpermute_b32 v15, v21, v1
	;; [unrolled: 1-line block ×6, first 2 shown]
	s_wait_dscnt 0x4
	v_dual_add_f64 v[0:1], v[0:1], v[14:15] :: v_dual_bitop2_b32 v14, 8, v24 bitop3:0x14
	s_wait_dscnt 0x2
	v_add_f64_e32 v[10:11], v[10:11], v[18:19]
	s_delay_alu instid0(VALU_DEP_2) | instskip(SKIP_2) | instid1(VALU_DEP_1)
	v_cmp_gt_i32_e32 vcc_lo, 32, v14
	v_cndmask_b32_e32 v14, v24, v14, vcc_lo
	s_wait_dscnt 0x0
	v_dual_add_f64 v[8:9], v[8:9], v[20:21] :: v_dual_lshlrev_b32 v21, 2, v14
	ds_bpermute_b32 v16, v21, v12
	ds_bpermute_b32 v17, v21, v13
	;; [unrolled: 1-line block ×8, first 2 shown]
	s_wait_dscnt 0x4
	v_dual_add_f64 v[0:1], v[0:1], v[14:15] :: v_dual_bitop2_b32 v14, 4, v24 bitop3:0x14
	s_wait_dscnt 0x2
	v_add_f64_e32 v[10:11], v[10:11], v[18:19]
	s_delay_alu instid0(VALU_DEP_2) | instskip(SKIP_3) | instid1(VALU_DEP_2)
	v_cmp_gt_i32_e32 vcc_lo, 32, v14
	v_cndmask_b32_e32 v14, v24, v14, vcc_lo
	v_add_f64_e32 v[12:13], v[12:13], v[16:17]
	s_wait_dscnt 0x0
	v_dual_add_f64 v[8:9], v[8:9], v[20:21] :: v_dual_lshlrev_b32 v21, 2, v14
	ds_bpermute_b32 v14, v21, v0
	ds_bpermute_b32 v15, v21, v1
	;; [unrolled: 1-line block ×6, first 2 shown]
	s_wait_dscnt 0x4
	v_add_f64_e32 v[0:1], v[0:1], v[14:15]
	s_wait_dscnt 0x0
	v_add_f64_e32 v[14:15], v[12:13], v[16:17]
	v_dual_add_f64 v[16:17], v[10:11], v[18:19] :: v_dual_bitop2_b32 v10, 2, v24 bitop3:0x14
	s_delay_alu instid0(VALU_DEP_1) | instskip(SKIP_1) | instid1(VALU_DEP_1)
	v_cmp_gt_i32_e32 vcc_lo, 32, v10
	v_cndmask_b32_e32 v10, v24, v10, vcc_lo
	v_lshlrev_b32_e32 v12, 2, v10
	ds_bpermute_b32 v20, v21, v8
	ds_bpermute_b32 v21, v21, v9
	;; [unrolled: 1-line block ×6, first 2 shown]
	s_wait_dscnt 0x4
	v_add_f64_e32 v[8:9], v[8:9], v[20:21]
	ds_bpermute_b32 v20, v12, v16
	ds_bpermute_b32 v21, v12, v17
	;; [unrolled: 1-line block ×4, first 2 shown]
	s_wait_dscnt 0x6
	v_add_f64_e32 v[12:13], v[0:1], v[10:11]
	s_wait_dscnt 0x4
	v_dual_add_f64 v[10:11], v[14:15], v[18:19] :: v_dual_bitop2_b32 v14, 1, v24 bitop3:0x14
	s_wait_dscnt 0x2
	v_add_f64_e32 v[0:1], v[16:17], v[20:21]
	s_delay_alu instid0(VALU_DEP_2) | instskip(SKIP_2) | instid1(VALU_DEP_2)
	v_cmp_gt_i32_e32 vcc_lo, 32, v14
	v_cndmask_b32_e32 v14, v24, v14, vcc_lo
	v_cmp_eq_u32_e32 vcc_lo, 31, v7
	v_lshlrev_b32_e32 v15, 2, v14
	s_wait_dscnt 0x0
	v_add_f64_e32 v[8:9], v[8:9], v[22:23]
	ds_bpermute_b32 v20, v15, v12
	ds_bpermute_b32 v21, v15, v13
	ds_bpermute_b32 v18, v15, v10
	ds_bpermute_b32 v19, v15, v11
	ds_bpermute_b32 v16, v15, v0
	ds_bpermute_b32 v17, v15, v1
	ds_bpermute_b32 v14, v15, v8
	ds_bpermute_b32 v15, v15, v9
	s_and_b32 exec_lo, exec_lo, vcc_lo
	s_cbranch_execz .LBB65_23
; %bb.19:
	s_wait_dscnt 0x6
	v_add_f64_e32 v[12:13], v[12:13], v[20:21]
	s_wait_dscnt 0x4
	v_add_f64_e32 v[10:11], v[10:11], v[18:19]
	s_wait_dscnt 0x2
	v_add_f64_e32 v[0:1], v[0:1], v[16:17]
	s_wait_dscnt 0x0
	v_add_f64_e32 v[8:9], v[8:9], v[14:15]
	s_load_b64 s[0:1], s[0:1], 0x38
	s_mov_b32 s2, exec_lo
	v_cmpx_eq_f64_e32 0, v[4:5]
	s_xor_b32 s2, exec_lo, s2
	s_cbranch_execz .LBB65_21
; %bb.20:
	v_dual_mul_f64 v[12:13], v[2:3], v[12:13] :: v_dual_lshlrev_b32 v4, 2, v6
	v_mul_f64_e32 v[14:15], v[2:3], v[10:11]
	v_mul_f64_e32 v[0:1], v[2:3], v[0:1]
	;; [unrolled: 1-line block ×3, first 2 shown]
                                        ; implicit-def: $vgpr6
                                        ; implicit-def: $vgpr10_vgpr11
                                        ; implicit-def: $vgpr8_vgpr9
	s_delay_alu instid0(VALU_DEP_4) | instskip(SKIP_1) | instid1(VALU_DEP_1)
	v_ashrrev_i32_e32 v5, 31, v4
	s_wait_kmcnt 0x0
	v_lshl_add_u64 v[4:5], v[4:5], 3, s[0:1]
	s_clause 0x1
	global_store_b128 v[4:5], v[12:15], off
	global_store_b128 v[4:5], v[0:3], off offset:16
                                        ; implicit-def: $vgpr2_vgpr3
                                        ; implicit-def: $vgpr12_vgpr13
                                        ; implicit-def: $vgpr4_vgpr5
                                        ; implicit-def: $vgpr0_vgpr1
.LBB65_21:
	s_wait_xcnt 0x0
	s_and_not1_saveexec_b32 s2, s2
	s_cbranch_execz .LBB65_23
; %bb.22:
	v_dual_mul_f64 v[22:23], v[2:3], v[12:13] :: v_dual_lshlrev_b32 v6, 2, v6
	v_mul_f64_e32 v[24:25], v[2:3], v[10:11]
	v_mul_f64_e32 v[0:1], v[2:3], v[0:1]
	s_delay_alu instid0(VALU_DEP_3) | instskip(SKIP_1) | instid1(VALU_DEP_1)
	v_dual_mul_f64 v[2:3], v[2:3], v[8:9] :: v_dual_ashrrev_i32 v7, 31, v6
	s_wait_kmcnt 0x0
	v_lshl_add_u64 v[6:7], v[6:7], 3, s[0:1]
	s_clause 0x1
	global_load_b128 v[14:17], v[6:7], off
	global_load_b128 v[18:21], v[6:7], off offset:16
	s_wait_loadcnt 0x1
	v_fmac_f64_e32 v[22:23], v[4:5], v[14:15]
	v_fmac_f64_e32 v[24:25], v[4:5], v[16:17]
	s_wait_loadcnt 0x0
	v_fmac_f64_e32 v[0:1], v[4:5], v[18:19]
	v_fmac_f64_e32 v[2:3], v[4:5], v[20:21]
	s_clause 0x1
	global_store_b128 v[6:7], v[22:25], off
	global_store_b128 v[6:7], v[0:3], off offset:16
.LBB65_23:
	s_sendmsg sendmsg(MSG_DEALLOC_VGPRS)
	s_endpgm
	.section	.rodata,"a",@progbits
	.p2align	6, 0x0
	.amdhsa_kernel _ZN9rocsparseL19gebsrmvn_4xn_kernelILj128ELj7ELj32EdEEvi20rocsparse_direction_NS_24const_host_device_scalarIT2_EEPKiS6_PKS3_S8_S4_PS3_21rocsparse_index_base_b
		.amdhsa_group_segment_fixed_size 0
		.amdhsa_private_segment_fixed_size 0
		.amdhsa_kernarg_size 72
		.amdhsa_user_sgpr_count 2
		.amdhsa_user_sgpr_dispatch_ptr 0
		.amdhsa_user_sgpr_queue_ptr 0
		.amdhsa_user_sgpr_kernarg_segment_ptr 1
		.amdhsa_user_sgpr_dispatch_id 0
		.amdhsa_user_sgpr_kernarg_preload_length 0
		.amdhsa_user_sgpr_kernarg_preload_offset 0
		.amdhsa_user_sgpr_private_segment_size 0
		.amdhsa_wavefront_size32 1
		.amdhsa_uses_dynamic_stack 0
		.amdhsa_enable_private_segment 0
		.amdhsa_system_sgpr_workgroup_id_x 1
		.amdhsa_system_sgpr_workgroup_id_y 0
		.amdhsa_system_sgpr_workgroup_id_z 0
		.amdhsa_system_sgpr_workgroup_info 0
		.amdhsa_system_vgpr_workitem_id 0
		.amdhsa_next_free_vgpr 94
		.amdhsa_next_free_sgpr 14
		.amdhsa_named_barrier_count 0
		.amdhsa_reserve_vcc 1
		.amdhsa_float_round_mode_32 0
		.amdhsa_float_round_mode_16_64 0
		.amdhsa_float_denorm_mode_32 3
		.amdhsa_float_denorm_mode_16_64 3
		.amdhsa_fp16_overflow 0
		.amdhsa_memory_ordered 1
		.amdhsa_forward_progress 1
		.amdhsa_inst_pref_size 23
		.amdhsa_round_robin_scheduling 0
		.amdhsa_exception_fp_ieee_invalid_op 0
		.amdhsa_exception_fp_denorm_src 0
		.amdhsa_exception_fp_ieee_div_zero 0
		.amdhsa_exception_fp_ieee_overflow 0
		.amdhsa_exception_fp_ieee_underflow 0
		.amdhsa_exception_fp_ieee_inexact 0
		.amdhsa_exception_int_div_zero 0
	.end_amdhsa_kernel
	.section	.text._ZN9rocsparseL19gebsrmvn_4xn_kernelILj128ELj7ELj32EdEEvi20rocsparse_direction_NS_24const_host_device_scalarIT2_EEPKiS6_PKS3_S8_S4_PS3_21rocsparse_index_base_b,"axG",@progbits,_ZN9rocsparseL19gebsrmvn_4xn_kernelILj128ELj7ELj32EdEEvi20rocsparse_direction_NS_24const_host_device_scalarIT2_EEPKiS6_PKS3_S8_S4_PS3_21rocsparse_index_base_b,comdat
.Lfunc_end65:
	.size	_ZN9rocsparseL19gebsrmvn_4xn_kernelILj128ELj7ELj32EdEEvi20rocsparse_direction_NS_24const_host_device_scalarIT2_EEPKiS6_PKS3_S8_S4_PS3_21rocsparse_index_base_b, .Lfunc_end65-_ZN9rocsparseL19gebsrmvn_4xn_kernelILj128ELj7ELj32EdEEvi20rocsparse_direction_NS_24const_host_device_scalarIT2_EEPKiS6_PKS3_S8_S4_PS3_21rocsparse_index_base_b
                                        ; -- End function
	.set _ZN9rocsparseL19gebsrmvn_4xn_kernelILj128ELj7ELj32EdEEvi20rocsparse_direction_NS_24const_host_device_scalarIT2_EEPKiS6_PKS3_S8_S4_PS3_21rocsparse_index_base_b.num_vgpr, 94
	.set _ZN9rocsparseL19gebsrmvn_4xn_kernelILj128ELj7ELj32EdEEvi20rocsparse_direction_NS_24const_host_device_scalarIT2_EEPKiS6_PKS3_S8_S4_PS3_21rocsparse_index_base_b.num_agpr, 0
	.set _ZN9rocsparseL19gebsrmvn_4xn_kernelILj128ELj7ELj32EdEEvi20rocsparse_direction_NS_24const_host_device_scalarIT2_EEPKiS6_PKS3_S8_S4_PS3_21rocsparse_index_base_b.numbered_sgpr, 14
	.set _ZN9rocsparseL19gebsrmvn_4xn_kernelILj128ELj7ELj32EdEEvi20rocsparse_direction_NS_24const_host_device_scalarIT2_EEPKiS6_PKS3_S8_S4_PS3_21rocsparse_index_base_b.num_named_barrier, 0
	.set _ZN9rocsparseL19gebsrmvn_4xn_kernelILj128ELj7ELj32EdEEvi20rocsparse_direction_NS_24const_host_device_scalarIT2_EEPKiS6_PKS3_S8_S4_PS3_21rocsparse_index_base_b.private_seg_size, 0
	.set _ZN9rocsparseL19gebsrmvn_4xn_kernelILj128ELj7ELj32EdEEvi20rocsparse_direction_NS_24const_host_device_scalarIT2_EEPKiS6_PKS3_S8_S4_PS3_21rocsparse_index_base_b.uses_vcc, 1
	.set _ZN9rocsparseL19gebsrmvn_4xn_kernelILj128ELj7ELj32EdEEvi20rocsparse_direction_NS_24const_host_device_scalarIT2_EEPKiS6_PKS3_S8_S4_PS3_21rocsparse_index_base_b.uses_flat_scratch, 0
	.set _ZN9rocsparseL19gebsrmvn_4xn_kernelILj128ELj7ELj32EdEEvi20rocsparse_direction_NS_24const_host_device_scalarIT2_EEPKiS6_PKS3_S8_S4_PS3_21rocsparse_index_base_b.has_dyn_sized_stack, 0
	.set _ZN9rocsparseL19gebsrmvn_4xn_kernelILj128ELj7ELj32EdEEvi20rocsparse_direction_NS_24const_host_device_scalarIT2_EEPKiS6_PKS3_S8_S4_PS3_21rocsparse_index_base_b.has_recursion, 0
	.set _ZN9rocsparseL19gebsrmvn_4xn_kernelILj128ELj7ELj32EdEEvi20rocsparse_direction_NS_24const_host_device_scalarIT2_EEPKiS6_PKS3_S8_S4_PS3_21rocsparse_index_base_b.has_indirect_call, 0
	.section	.AMDGPU.csdata,"",@progbits
; Kernel info:
; codeLenInByte = 2856
; TotalNumSgprs: 16
; NumVgprs: 94
; ScratchSize: 0
; MemoryBound: 1
; FloatMode: 240
; IeeeMode: 1
; LDSByteSize: 0 bytes/workgroup (compile time only)
; SGPRBlocks: 0
; VGPRBlocks: 5
; NumSGPRsForWavesPerEU: 16
; NumVGPRsForWavesPerEU: 94
; NamedBarCnt: 0
; Occupancy: 10
; WaveLimiterHint : 1
; COMPUTE_PGM_RSRC2:SCRATCH_EN: 0
; COMPUTE_PGM_RSRC2:USER_SGPR: 2
; COMPUTE_PGM_RSRC2:TRAP_HANDLER: 0
; COMPUTE_PGM_RSRC2:TGID_X_EN: 1
; COMPUTE_PGM_RSRC2:TGID_Y_EN: 0
; COMPUTE_PGM_RSRC2:TGID_Z_EN: 0
; COMPUTE_PGM_RSRC2:TIDIG_COMP_CNT: 0
	.section	.text._ZN9rocsparseL19gebsrmvn_4xn_kernelILj128ELj7ELj64EdEEvi20rocsparse_direction_NS_24const_host_device_scalarIT2_EEPKiS6_PKS3_S8_S4_PS3_21rocsparse_index_base_b,"axG",@progbits,_ZN9rocsparseL19gebsrmvn_4xn_kernelILj128ELj7ELj64EdEEvi20rocsparse_direction_NS_24const_host_device_scalarIT2_EEPKiS6_PKS3_S8_S4_PS3_21rocsparse_index_base_b,comdat
	.globl	_ZN9rocsparseL19gebsrmvn_4xn_kernelILj128ELj7ELj64EdEEvi20rocsparse_direction_NS_24const_host_device_scalarIT2_EEPKiS6_PKS3_S8_S4_PS3_21rocsparse_index_base_b ; -- Begin function _ZN9rocsparseL19gebsrmvn_4xn_kernelILj128ELj7ELj64EdEEvi20rocsparse_direction_NS_24const_host_device_scalarIT2_EEPKiS6_PKS3_S8_S4_PS3_21rocsparse_index_base_b
	.p2align	8
	.type	_ZN9rocsparseL19gebsrmvn_4xn_kernelILj128ELj7ELj64EdEEvi20rocsparse_direction_NS_24const_host_device_scalarIT2_EEPKiS6_PKS3_S8_S4_PS3_21rocsparse_index_base_b,@function
_ZN9rocsparseL19gebsrmvn_4xn_kernelILj128ELj7ELj64EdEEvi20rocsparse_direction_NS_24const_host_device_scalarIT2_EEPKiS6_PKS3_S8_S4_PS3_21rocsparse_index_base_b: ; @_ZN9rocsparseL19gebsrmvn_4xn_kernelILj128ELj7ELj64EdEEvi20rocsparse_direction_NS_24const_host_device_scalarIT2_EEPKiS6_PKS3_S8_S4_PS3_21rocsparse_index_base_b
; %bb.0:
	s_clause 0x2
	s_load_b64 s[12:13], s[0:1], 0x40
	s_load_b64 s[4:5], s[0:1], 0x8
	;; [unrolled: 1-line block ×3, first 2 shown]
	s_wait_kmcnt 0x0
	s_bitcmp1_b32 s13, 0
	v_mov_b64_e32 v[2:3], s[4:5]
	s_cselect_b32 s6, -1, 0
	s_delay_alu instid0(SALU_CYCLE_1)
	s_and_b32 vcc_lo, exec_lo, s6
	s_xor_b32 s6, s6, -1
	s_cbranch_vccnz .LBB66_2
; %bb.1:
	v_mov_b32_e32 v1, 0
	flat_load_b64 v[2:3], v1, s[4:5]
.LBB66_2:
	v_mov_b64_e32 v[4:5], s[2:3]
	s_and_not1_b32 vcc_lo, exec_lo, s6
	s_cbranch_vccnz .LBB66_4
; %bb.3:
	s_wait_xcnt 0x0
	v_mov_b32_e32 v1, 0
	flat_load_b64 v[4:5], v1, s[2:3]
.LBB66_4:
	s_wait_loadcnt_dscnt 0x0
	v_cmp_neq_f64_e32 vcc_lo, 0, v[2:3]
	s_delay_alu instid0(VALU_DEP_2) | instskip(SKIP_1) | instid1(SALU_CYCLE_1)
	v_cmp_neq_f64_e64 s2, 1.0, v[4:5]
	s_or_b32 s2, vcc_lo, s2
	s_and_saveexec_b32 s3, s2
	s_cbranch_execz .LBB66_23
; %bb.5:
	s_load_b64 s[2:3], s[0:1], 0x0
	s_bfe_u32 s4, ttmp6, 0x4000c
	s_and_b32 s5, ttmp6, 15
	s_add_co_i32 s4, s4, 1
	s_getreg_b32 s6, hwreg(HW_REG_IB_STS2, 6, 4)
	s_mul_i32 s4, ttmp9, s4
	v_lshrrev_b32_e32 v1, 6, v0
	s_add_co_i32 s5, s5, s4
	s_cmp_eq_u32 s6, 0
	s_cselect_b32 s4, ttmp9, s5
	s_delay_alu instid0(VALU_DEP_1) | instid1(SALU_CYCLE_1)
	v_lshl_or_b32 v6, s4, 1, v1
	s_wait_kmcnt 0x0
	s_delay_alu instid0(VALU_DEP_1)
	v_cmp_gt_i32_e32 vcc_lo, s2, v6
	s_and_b32 exec_lo, exec_lo, vcc_lo
	s_cbranch_execz .LBB66_23
; %bb.6:
	s_load_b256 s[4:11], s[0:1], 0x10
	v_ashrrev_i32_e32 v7, 31, v6
	s_cmp_lg_u32 s3, 0
	s_wait_kmcnt 0x0
	s_delay_alu instid0(VALU_DEP_1)
	v_lshl_add_u64 v[8:9], v[6:7], 2, s[4:5]
	v_and_b32_e32 v7, 63, v0
	global_load_b64 v[8:9], v[8:9], off
	s_wait_loadcnt 0x0
	v_subrev_nc_u32_e32 v0, s12, v8
	v_subrev_nc_u32_e32 v18, s12, v9
	s_delay_alu instid0(VALU_DEP_2) | instskip(NEXT) | instid1(VALU_DEP_1)
	v_add_nc_u32_e32 v19, v0, v7
	v_cmp_lt_i32_e64 s2, v19, v18
	s_cbranch_scc0 .LBB66_12
; %bb.7:
	v_mov_b64_e32 v[0:1], 0
	v_mov_b64_e32 v[8:9], 0
	;; [unrolled: 1-line block ×4, first 2 shown]
	s_and_saveexec_b32 s3, s2
	s_cbranch_execz .LBB66_11
; %bb.8:
	v_mad_u32 v14, v19, 28, 24
	v_mov_b64_e32 v[0:1], 0
	v_mov_b64_e32 v[8:9], 0
	;; [unrolled: 1-line block ×4, first 2 shown]
	v_dual_mov_b32 v17, 0 :: v_dual_mov_b32 v20, v19
	s_mov_b32 s4, 0
.LBB66_9:                               ; =>This Inner Loop Header: Depth=1
	global_load_b32 v15, v20, s[6:7] scale_offset
	v_subrev_nc_u32_e32 v16, 24, v14
	s_wait_xcnt 0x0
	v_add_nc_u32_e32 v20, 64, v20
	s_delay_alu instid0(VALU_DEP_2) | instskip(SKIP_1) | instid1(VALU_DEP_3)
	v_lshl_add_u64 v[30:31], v[16:17], 3, s[8:9]
	v_subrev_nc_u32_e32 v16, 20, v14
	v_cmp_ge_i32_e32 vcc_lo, v20, v18
	s_delay_alu instid0(VALU_DEP_2) | instskip(SKIP_2) | instid1(VALU_DEP_1)
	v_lshl_add_u64 v[38:39], v[16:17], 3, s[8:9]
	v_add_nc_u32_e32 v16, -16, v14
	s_or_b32 s4, vcc_lo, s4
	v_lshl_add_u64 v[46:47], v[16:17], 3, s[8:9]
	v_add_nc_u32_e32 v16, -12, v14
	s_delay_alu instid0(VALU_DEP_1) | instskip(SKIP_1) | instid1(VALU_DEP_1)
	v_lshl_add_u64 v[54:55], v[16:17], 3, s[8:9]
	v_add_nc_u32_e32 v16, -8, v14
	v_lshl_add_u64 v[62:63], v[16:17], 3, s[8:9]
	v_add_nc_u32_e32 v16, -4, v14
	s_delay_alu instid0(VALU_DEP_1) | instskip(SKIP_2) | instid1(VALU_DEP_1)
	v_lshl_add_u64 v[70:71], v[16:17], 3, s[8:9]
	s_wait_loadcnt 0x0
	v_subrev_nc_u32_e32 v15, s12, v15
	v_mul_lo_u32 v21, v15, 7
	s_clause 0x1
	global_load_b128 v[22:25], v[30:31], off offset:16
	global_load_b128 v[26:29], v[30:31], off
	global_load_b64 v[78:79], v21, s[10:11] scale_offset
	global_load_b128 v[30:33], v[38:39], off offset:16
	v_add_nc_u32_e32 v15, 1, v21
	global_load_b128 v[34:37], v[38:39], off
	global_load_b64 v[80:81], v15, s[10:11] scale_offset
	s_wait_xcnt 0x0
	v_add_nc_u32_e32 v15, 2, v21
	s_clause 0x1
	global_load_b128 v[38:41], v[46:47], off offset:16
	global_load_b128 v[42:45], v[46:47], off
	global_load_b64 v[82:83], v15, s[10:11] scale_offset
	s_wait_xcnt 0x0
	v_add_nc_u32_e32 v15, 3, v21
	s_clause 0x1
	global_load_b128 v[46:49], v[54:55], off offset:16
	;; [unrolled: 6-line block ×4, first 2 shown]
	global_load_b128 v[66:69], v[70:71], off
	global_load_b64 v[88:89], v15, s[10:11] scale_offset
	s_wait_xcnt 0x0
	v_mov_b32_e32 v15, v17
	s_delay_alu instid0(VALU_DEP_1)
	v_lshl_add_u64 v[90:91], v[14:15], 3, s[8:9]
	v_add_nc_u32_e32 v15, 6, v21
	v_add_nc_u32_e32 v14, 0x700, v14
	s_clause 0x1
	global_load_b128 v[70:73], v[90:91], off offset:16
	global_load_b128 v[74:77], v[90:91], off
	global_load_b64 v[92:93], v15, s[10:11] scale_offset
	s_wait_loadcnt 0x12
	v_fmac_f64_e32 v[0:1], v[26:27], v[78:79]
	v_fmac_f64_e32 v[12:13], v[28:29], v[78:79]
	;; [unrolled: 1-line block ×4, first 2 shown]
	s_wait_loadcnt 0xf
	s_delay_alu instid0(VALU_DEP_4) | instskip(NEXT) | instid1(VALU_DEP_4)
	v_fmac_f64_e32 v[0:1], v[34:35], v[80:81]
	v_fmac_f64_e32 v[12:13], v[36:37], v[80:81]
	s_delay_alu instid0(VALU_DEP_4) | instskip(NEXT) | instid1(VALU_DEP_4)
	v_fmac_f64_e32 v[10:11], v[30:31], v[80:81]
	v_fmac_f64_e32 v[8:9], v[32:33], v[80:81]
	s_wait_loadcnt 0xc
	s_delay_alu instid0(VALU_DEP_4) | instskip(NEXT) | instid1(VALU_DEP_4)
	v_fmac_f64_e32 v[0:1], v[42:43], v[82:83]
	v_fmac_f64_e32 v[12:13], v[44:45], v[82:83]
	s_delay_alu instid0(VALU_DEP_4) | instskip(NEXT) | instid1(VALU_DEP_4)
	v_fmac_f64_e32 v[10:11], v[38:39], v[82:83]
	v_fmac_f64_e32 v[8:9], v[40:41], v[82:83]
	;; [unrolled: 7-line block ×6, first 2 shown]
	s_and_not1_b32 exec_lo, exec_lo, s4
	s_cbranch_execnz .LBB66_9
; %bb.10:
	s_or_b32 exec_lo, exec_lo, s4
.LBB66_11:
	s_delay_alu instid0(SALU_CYCLE_1)
	s_or_b32 exec_lo, exec_lo, s3
	s_cbranch_execz .LBB66_13
	s_branch .LBB66_18
.LBB66_12:
                                        ; implicit-def: $vgpr0_vgpr1
                                        ; implicit-def: $vgpr8_vgpr9
                                        ; implicit-def: $vgpr10_vgpr11
                                        ; implicit-def: $vgpr12_vgpr13
.LBB66_13:
	v_mov_b64_e32 v[0:1], 0
	v_mov_b64_e32 v[8:9], 0
	;; [unrolled: 1-line block ×4, first 2 shown]
	s_and_saveexec_b32 s3, s2
	s_cbranch_execz .LBB66_17
; %bb.14:
	v_mad_u32 v16, v19, 28, 27
	v_mov_b64_e32 v[0:1], 0
	v_mov_b64_e32 v[8:9], 0
	;; [unrolled: 1-line block ×4, first 2 shown]
	v_mov_b32_e32 v15, 0
	s_mov_b32 s2, 0
.LBB66_15:                              ; =>This Inner Loop Header: Depth=1
	global_load_b32 v17, v19, s[6:7] scale_offset
	v_subrev_nc_u32_e32 v14, 27, v16
	v_subrev_nc_u32_e32 v36, 20, v16
	v_dual_add_nc_u32 v37, -13, v16 :: v_dual_add_nc_u32 v38, -6, v16
	v_dual_add_nc_u32 v40, -12, v16 :: v_dual_add_nc_u32 v44, -5, v16
	s_delay_alu instid0(VALU_DEP_4)
	v_lshl_add_u64 v[28:29], v[14:15], 3, s[8:9]
	s_clause 0x4
	global_load_b64 v[30:31], v36, s[8:9] scale_offset
	global_load_b64 v[32:33], v37, s[8:9] scale_offset
	;; [unrolled: 1-line block ×3, first 2 shown]
	global_load_b128 v[20:23], v[28:29], off offset:16
	global_load_b128 v[24:27], v[28:29], off
	v_dual_add_nc_u32 v56, -10, v16 :: v_dual_add_nc_u32 v60, -3, v16
	v_dual_add_nc_u32 v67, -9, v16 :: v_dual_add_nc_u32 v70, -2, v16
	;; [unrolled: 1-line block ×3, first 2 shown]
	s_wait_xcnt 0x5
	v_dual_add_nc_u32 v19, 64, v19 :: v_dual_add_nc_u32 v48, -11, v16
	v_dual_add_nc_u32 v66, -16, v16 :: v_dual_add_nc_u32 v76, -15, v16
	v_add_nc_u32_e32 v82, -14, v16
	s_delay_alu instid0(VALU_DEP_3) | instskip(SKIP_4) | instid1(VALU_DEP_2)
	v_cmp_ge_i32_e32 vcc_lo, v19, v18
	s_or_b32 s2, vcc_lo, s2
	s_wait_loadcnt 0x5
	v_subrev_nc_u32_e32 v14, s12, v17
	v_subrev_nc_u32_e32 v17, 19, v16
	v_mul_lo_u32 v14, v14, 7
	v_dual_add_nc_u32 v52, -4, v16 :: v_dual_add_nc_u32 v83, -7, v16
	global_load_b64 v[28:29], v14, s[10:11] scale_offset
	s_clause 0x1
	global_load_b64 v[36:37], v17, s[8:9] scale_offset
	global_load_b64 v[38:39], v40, s[8:9] scale_offset
	s_wait_xcnt 0x1
	v_add_nc_u32_e32 v17, 1, v14
	global_load_b64 v[40:41], v44, s[8:9] scale_offset
	global_load_b64 v[42:43], v17, s[10:11] scale_offset
	s_wait_xcnt 0x0
	v_subrev_nc_u32_e32 v17, 18, v16
	s_clause 0x1
	global_load_b64 v[44:45], v17, s[8:9] scale_offset
	global_load_b64 v[46:47], v48, s[8:9] scale_offset
	s_wait_xcnt 0x1
	v_add_nc_u32_e32 v17, 2, v14
	global_load_b64 v[48:49], v52, s[8:9] scale_offset
	global_load_b64 v[50:51], v17, s[10:11] scale_offset
	s_wait_xcnt 0x0
	v_subrev_nc_u32_e32 v17, 17, v16
	;; [unrolled: 9-line block ×3, first 2 shown]
	s_clause 0x2
	global_load_b64 v[60:61], v17, s[8:9] scale_offset
	global_load_b64 v[62:63], v66, s[8:9] scale_offset
	global_load_b64 v[64:65], v67, s[8:9] scale_offset
	s_wait_xcnt 0x2
	v_add_nc_u32_e32 v17, 4, v14
	global_load_b64 v[66:67], v70, s[8:9] scale_offset
	global_load_b64 v[68:69], v17, s[10:11] scale_offset
	s_wait_xcnt 0x0
	v_subrev_nc_u32_e32 v17, 22, v16
	s_clause 0x2
	global_load_b64 v[70:71], v17, s[8:9] scale_offset
	global_load_b64 v[72:73], v76, s[8:9] scale_offset
	;; [unrolled: 1-line block ×3, first 2 shown]
	s_wait_xcnt 0x2
	v_add_nc_u32_e32 v17, 5, v14
	global_load_b64 v[76:77], v80, s[8:9] scale_offset
	global_load_b64 v[78:79], v17, s[10:11] scale_offset
	s_wait_xcnt 0x0
	v_subrev_nc_u32_e32 v17, 21, v16
	v_add_nc_u32_e32 v14, 6, v14
	s_wait_loadcnt 0x16
	v_fmac_f64_e32 v[12:13], v[30:31], v[28:29]
	global_load_b64 v[30:31], v17, s[8:9] scale_offset
	v_fmac_f64_e32 v[10:11], v[32:33], v[28:29]
	s_clause 0x1
	global_load_b64 v[32:33], v82, s[8:9] scale_offset
	global_load_b64 v[80:81], v83, s[8:9] scale_offset
	v_fmac_f64_e32 v[8:9], v[34:35], v[28:29]
	global_load_b64 v[34:35], v16, s[8:9] scale_offset
	v_fmac_f64_e32 v[0:1], v[24:25], v[28:29]
	global_load_b64 v[24:25], v14, s[10:11] scale_offset
	s_wait_xcnt 0x1
	v_add_nc_u32_e32 v16, 0x700, v16
	s_wait_loadcnt 0x17
	v_fmac_f64_e32 v[12:13], v[36:37], v[42:43]
	v_fmac_f64_e32 v[10:11], v[38:39], v[42:43]
	;; [unrolled: 1-line block ×4, first 2 shown]
	s_wait_loadcnt 0x13
	s_delay_alu instid0(VALU_DEP_4) | instskip(NEXT) | instid1(VALU_DEP_4)
	v_fmac_f64_e32 v[12:13], v[44:45], v[50:51]
	v_fmac_f64_e32 v[10:11], v[46:47], v[50:51]
	s_delay_alu instid0(VALU_DEP_4) | instskip(NEXT) | instid1(VALU_DEP_4)
	v_fmac_f64_e32 v[8:9], v[48:49], v[50:51]
	v_fmac_f64_e32 v[0:1], v[20:21], v[50:51]
	s_wait_loadcnt 0xf
	s_delay_alu instid0(VALU_DEP_4) | instskip(NEXT) | instid1(VALU_DEP_4)
	v_fmac_f64_e32 v[12:13], v[52:53], v[58:59]
	v_fmac_f64_e32 v[10:11], v[54:55], v[58:59]
	s_delay_alu instid0(VALU_DEP_4) | instskip(NEXT) | instid1(VALU_DEP_4)
	v_fmac_f64_e32 v[8:9], v[56:57], v[58:59]
	v_fmac_f64_e32 v[0:1], v[22:23], v[58:59]
	s_wait_loadcnt 0xa
	s_delay_alu instid0(VALU_DEP_4) | instskip(NEXT) | instid1(VALU_DEP_4)
	v_fmac_f64_e32 v[12:13], v[62:63], v[68:69]
	v_fmac_f64_e32 v[10:11], v[64:65], v[68:69]
	s_delay_alu instid0(VALU_DEP_4) | instskip(NEXT) | instid1(VALU_DEP_4)
	v_fmac_f64_e32 v[8:9], v[66:67], v[68:69]
	v_fmac_f64_e32 v[0:1], v[60:61], v[68:69]
	s_wait_loadcnt 0x5
	s_delay_alu instid0(VALU_DEP_4) | instskip(NEXT) | instid1(VALU_DEP_4)
	v_fmac_f64_e32 v[12:13], v[72:73], v[78:79]
	v_fmac_f64_e32 v[10:11], v[74:75], v[78:79]
	s_delay_alu instid0(VALU_DEP_4) | instskip(NEXT) | instid1(VALU_DEP_4)
	v_fmac_f64_e32 v[8:9], v[76:77], v[78:79]
	v_fmac_f64_e32 v[0:1], v[70:71], v[78:79]
	s_wait_loadcnt 0x0
	s_delay_alu instid0(VALU_DEP_1)
	v_fmac_f64_e32 v[0:1], v[30:31], v[24:25]
	v_fmac_f64_e32 v[12:13], v[32:33], v[24:25]
	;; [unrolled: 1-line block ×4, first 2 shown]
	s_and_not1_b32 exec_lo, exec_lo, s2
	s_cbranch_execnz .LBB66_15
; %bb.16:
	s_or_b32 exec_lo, exec_lo, s2
.LBB66_17:
	s_delay_alu instid0(SALU_CYCLE_1)
	s_or_b32 exec_lo, exec_lo, s3
.LBB66_18:
	v_mbcnt_lo_u32_b32 v24, -1, 0
	s_delay_alu instid0(VALU_DEP_1) | instskip(NEXT) | instid1(VALU_DEP_1)
	v_or_b32_e32 v14, 32, v24
	v_cmp_gt_i32_e32 vcc_lo, 32, v14
	v_cndmask_b32_e32 v14, v24, v14, vcc_lo
	s_delay_alu instid0(VALU_DEP_1)
	v_lshlrev_b32_e32 v21, 2, v14
	ds_bpermute_b32 v16, v21, v12
	ds_bpermute_b32 v17, v21, v13
	s_wait_dscnt 0x0
	v_add_f64_e32 v[12:13], v[12:13], v[16:17]
	ds_bpermute_b32 v14, v21, v0
	ds_bpermute_b32 v15, v21, v1
	;; [unrolled: 1-line block ×6, first 2 shown]
	s_wait_dscnt 0x4
	v_dual_add_f64 v[0:1], v[0:1], v[14:15] :: v_dual_bitop2_b32 v14, 16, v24 bitop3:0x14
	s_wait_dscnt 0x2
	v_add_f64_e32 v[10:11], v[10:11], v[18:19]
	s_delay_alu instid0(VALU_DEP_2) | instskip(SKIP_2) | instid1(VALU_DEP_1)
	v_cmp_gt_i32_e32 vcc_lo, 32, v14
	v_cndmask_b32_e32 v14, v24, v14, vcc_lo
	s_wait_dscnt 0x0
	v_dual_add_f64 v[8:9], v[8:9], v[20:21] :: v_dual_lshlrev_b32 v21, 2, v14
	ds_bpermute_b32 v16, v21, v12
	ds_bpermute_b32 v17, v21, v13
	;; [unrolled: 1-line block ×8, first 2 shown]
	s_wait_dscnt 0x4
	v_dual_add_f64 v[0:1], v[0:1], v[14:15] :: v_dual_bitop2_b32 v14, 8, v24 bitop3:0x14
	s_wait_dscnt 0x2
	v_add_f64_e32 v[10:11], v[10:11], v[18:19]
	s_delay_alu instid0(VALU_DEP_2) | instskip(SKIP_3) | instid1(VALU_DEP_2)
	v_cmp_gt_i32_e32 vcc_lo, 32, v14
	v_cndmask_b32_e32 v14, v24, v14, vcc_lo
	v_add_f64_e32 v[12:13], v[12:13], v[16:17]
	s_wait_dscnt 0x0
	v_dual_add_f64 v[8:9], v[8:9], v[20:21] :: v_dual_lshlrev_b32 v21, 2, v14
	ds_bpermute_b32 v14, v21, v0
	ds_bpermute_b32 v15, v21, v1
	;; [unrolled: 1-line block ×5, first 2 shown]
	s_wait_dscnt 0x3
	v_dual_add_f64 v[0:1], v[0:1], v[14:15] :: v_dual_bitop2_b32 v14, 4, v24 bitop3:0x14
	ds_bpermute_b32 v18, v21, v10
	ds_bpermute_b32 v19, v21, v11
	;; [unrolled: 1-line block ×3, first 2 shown]
	v_cmp_gt_i32_e32 vcc_lo, 32, v14
	v_cndmask_b32_e32 v14, v24, v14, vcc_lo
	s_wait_dscnt 0x4
	v_add_f64_e32 v[12:13], v[12:13], v[16:17]
	s_wait_dscnt 0x1
	v_add_f64_e32 v[10:11], v[10:11], v[18:19]
	s_wait_dscnt 0x0
	v_dual_add_f64 v[8:9], v[8:9], v[20:21] :: v_dual_lshlrev_b32 v21, 2, v14
	ds_bpermute_b32 v14, v21, v0
	ds_bpermute_b32 v15, v21, v1
	ds_bpermute_b32 v16, v21, v12
	ds_bpermute_b32 v17, v21, v13
	s_wait_dscnt 0x2
	v_add_f64_e32 v[0:1], v[0:1], v[14:15]
	ds_bpermute_b32 v18, v21, v10
	ds_bpermute_b32 v19, v21, v11
	s_wait_dscnt 0x2
	v_add_f64_e32 v[14:15], v[12:13], v[16:17]
	s_wait_dscnt 0x0
	v_dual_add_f64 v[16:17], v[10:11], v[18:19] :: v_dual_bitop2_b32 v10, 2, v24 bitop3:0x14
	s_delay_alu instid0(VALU_DEP_1) | instskip(SKIP_1) | instid1(VALU_DEP_1)
	v_cmp_gt_i32_e32 vcc_lo, 32, v10
	v_cndmask_b32_e32 v10, v24, v10, vcc_lo
	v_lshlrev_b32_e32 v12, 2, v10
	ds_bpermute_b32 v20, v21, v8
	ds_bpermute_b32 v21, v21, v9
	;; [unrolled: 1-line block ×6, first 2 shown]
	s_wait_dscnt 0x4
	v_add_f64_e32 v[8:9], v[8:9], v[20:21]
	ds_bpermute_b32 v20, v12, v16
	ds_bpermute_b32 v21, v12, v17
	;; [unrolled: 1-line block ×4, first 2 shown]
	s_wait_dscnt 0x6
	v_add_f64_e32 v[12:13], v[0:1], v[10:11]
	s_wait_dscnt 0x4
	v_add_f64_e32 v[10:11], v[14:15], v[18:19]
	;; [unrolled: 2-line block ×3, first 2 shown]
	v_xor_b32_e32 v14, 1, v24
	s_delay_alu instid0(VALU_DEP_1) | instskip(SKIP_2) | instid1(VALU_DEP_2)
	v_cmp_gt_i32_e32 vcc_lo, 32, v14
	v_cndmask_b32_e32 v14, v24, v14, vcc_lo
	v_cmp_eq_u32_e32 vcc_lo, 63, v7
	v_lshlrev_b32_e32 v15, 2, v14
	s_wait_dscnt 0x0
	v_add_f64_e32 v[8:9], v[8:9], v[22:23]
	ds_bpermute_b32 v20, v15, v12
	ds_bpermute_b32 v21, v15, v13
	;; [unrolled: 1-line block ×8, first 2 shown]
	s_and_b32 exec_lo, exec_lo, vcc_lo
	s_cbranch_execz .LBB66_23
; %bb.19:
	s_wait_dscnt 0x6
	v_add_f64_e32 v[12:13], v[12:13], v[20:21]
	s_wait_dscnt 0x4
	v_add_f64_e32 v[10:11], v[10:11], v[18:19]
	;; [unrolled: 2-line block ×4, first 2 shown]
	s_load_b64 s[0:1], s[0:1], 0x38
	s_mov_b32 s2, exec_lo
	v_cmpx_eq_f64_e32 0, v[4:5]
	s_xor_b32 s2, exec_lo, s2
	s_cbranch_execz .LBB66_21
; %bb.20:
	v_dual_mul_f64 v[12:13], v[2:3], v[12:13] :: v_dual_lshlrev_b32 v4, 2, v6
	v_mul_f64_e32 v[14:15], v[2:3], v[10:11]
	v_mul_f64_e32 v[0:1], v[2:3], v[0:1]
	;; [unrolled: 1-line block ×3, first 2 shown]
                                        ; implicit-def: $vgpr6
                                        ; implicit-def: $vgpr10_vgpr11
                                        ; implicit-def: $vgpr8_vgpr9
	s_delay_alu instid0(VALU_DEP_4) | instskip(SKIP_1) | instid1(VALU_DEP_1)
	v_ashrrev_i32_e32 v5, 31, v4
	s_wait_kmcnt 0x0
	v_lshl_add_u64 v[4:5], v[4:5], 3, s[0:1]
	s_clause 0x1
	global_store_b128 v[4:5], v[12:15], off
	global_store_b128 v[4:5], v[0:3], off offset:16
                                        ; implicit-def: $vgpr2_vgpr3
                                        ; implicit-def: $vgpr12_vgpr13
                                        ; implicit-def: $vgpr4_vgpr5
                                        ; implicit-def: $vgpr0_vgpr1
.LBB66_21:
	s_wait_xcnt 0x0
	s_and_not1_saveexec_b32 s2, s2
	s_cbranch_execz .LBB66_23
; %bb.22:
	v_dual_mul_f64 v[22:23], v[2:3], v[12:13] :: v_dual_lshlrev_b32 v6, 2, v6
	v_mul_f64_e32 v[24:25], v[2:3], v[10:11]
	v_mul_f64_e32 v[0:1], v[2:3], v[0:1]
	s_delay_alu instid0(VALU_DEP_3) | instskip(SKIP_1) | instid1(VALU_DEP_1)
	v_dual_mul_f64 v[2:3], v[2:3], v[8:9] :: v_dual_ashrrev_i32 v7, 31, v6
	s_wait_kmcnt 0x0
	v_lshl_add_u64 v[6:7], v[6:7], 3, s[0:1]
	s_clause 0x1
	global_load_b128 v[14:17], v[6:7], off
	global_load_b128 v[18:21], v[6:7], off offset:16
	s_wait_loadcnt 0x1
	v_fmac_f64_e32 v[22:23], v[4:5], v[14:15]
	v_fmac_f64_e32 v[24:25], v[4:5], v[16:17]
	s_wait_loadcnt 0x0
	v_fmac_f64_e32 v[0:1], v[4:5], v[18:19]
	v_fmac_f64_e32 v[2:3], v[4:5], v[20:21]
	s_clause 0x1
	global_store_b128 v[6:7], v[22:25], off
	global_store_b128 v[6:7], v[0:3], off offset:16
.LBB66_23:
	s_sendmsg sendmsg(MSG_DEALLOC_VGPRS)
	s_endpgm
	.section	.rodata,"a",@progbits
	.p2align	6, 0x0
	.amdhsa_kernel _ZN9rocsparseL19gebsrmvn_4xn_kernelILj128ELj7ELj64EdEEvi20rocsparse_direction_NS_24const_host_device_scalarIT2_EEPKiS6_PKS3_S8_S4_PS3_21rocsparse_index_base_b
		.amdhsa_group_segment_fixed_size 0
		.amdhsa_private_segment_fixed_size 0
		.amdhsa_kernarg_size 72
		.amdhsa_user_sgpr_count 2
		.amdhsa_user_sgpr_dispatch_ptr 0
		.amdhsa_user_sgpr_queue_ptr 0
		.amdhsa_user_sgpr_kernarg_segment_ptr 1
		.amdhsa_user_sgpr_dispatch_id 0
		.amdhsa_user_sgpr_kernarg_preload_length 0
		.amdhsa_user_sgpr_kernarg_preload_offset 0
		.amdhsa_user_sgpr_private_segment_size 0
		.amdhsa_wavefront_size32 1
		.amdhsa_uses_dynamic_stack 0
		.amdhsa_enable_private_segment 0
		.amdhsa_system_sgpr_workgroup_id_x 1
		.amdhsa_system_sgpr_workgroup_id_y 0
		.amdhsa_system_sgpr_workgroup_id_z 0
		.amdhsa_system_sgpr_workgroup_info 0
		.amdhsa_system_vgpr_workitem_id 0
		.amdhsa_next_free_vgpr 94
		.amdhsa_next_free_sgpr 14
		.amdhsa_named_barrier_count 0
		.amdhsa_reserve_vcc 1
		.amdhsa_float_round_mode_32 0
		.amdhsa_float_round_mode_16_64 0
		.amdhsa_float_denorm_mode_32 3
		.amdhsa_float_denorm_mode_16_64 3
		.amdhsa_fp16_overflow 0
		.amdhsa_memory_ordered 1
		.amdhsa_forward_progress 1
		.amdhsa_inst_pref_size 24
		.amdhsa_round_robin_scheduling 0
		.amdhsa_exception_fp_ieee_invalid_op 0
		.amdhsa_exception_fp_denorm_src 0
		.amdhsa_exception_fp_ieee_div_zero 0
		.amdhsa_exception_fp_ieee_overflow 0
		.amdhsa_exception_fp_ieee_underflow 0
		.amdhsa_exception_fp_ieee_inexact 0
		.amdhsa_exception_int_div_zero 0
	.end_amdhsa_kernel
	.section	.text._ZN9rocsparseL19gebsrmvn_4xn_kernelILj128ELj7ELj64EdEEvi20rocsparse_direction_NS_24const_host_device_scalarIT2_EEPKiS6_PKS3_S8_S4_PS3_21rocsparse_index_base_b,"axG",@progbits,_ZN9rocsparseL19gebsrmvn_4xn_kernelILj128ELj7ELj64EdEEvi20rocsparse_direction_NS_24const_host_device_scalarIT2_EEPKiS6_PKS3_S8_S4_PS3_21rocsparse_index_base_b,comdat
.Lfunc_end66:
	.size	_ZN9rocsparseL19gebsrmvn_4xn_kernelILj128ELj7ELj64EdEEvi20rocsparse_direction_NS_24const_host_device_scalarIT2_EEPKiS6_PKS3_S8_S4_PS3_21rocsparse_index_base_b, .Lfunc_end66-_ZN9rocsparseL19gebsrmvn_4xn_kernelILj128ELj7ELj64EdEEvi20rocsparse_direction_NS_24const_host_device_scalarIT2_EEPKiS6_PKS3_S8_S4_PS3_21rocsparse_index_base_b
                                        ; -- End function
	.set _ZN9rocsparseL19gebsrmvn_4xn_kernelILj128ELj7ELj64EdEEvi20rocsparse_direction_NS_24const_host_device_scalarIT2_EEPKiS6_PKS3_S8_S4_PS3_21rocsparse_index_base_b.num_vgpr, 94
	.set _ZN9rocsparseL19gebsrmvn_4xn_kernelILj128ELj7ELj64EdEEvi20rocsparse_direction_NS_24const_host_device_scalarIT2_EEPKiS6_PKS3_S8_S4_PS3_21rocsparse_index_base_b.num_agpr, 0
	.set _ZN9rocsparseL19gebsrmvn_4xn_kernelILj128ELj7ELj64EdEEvi20rocsparse_direction_NS_24const_host_device_scalarIT2_EEPKiS6_PKS3_S8_S4_PS3_21rocsparse_index_base_b.numbered_sgpr, 14
	.set _ZN9rocsparseL19gebsrmvn_4xn_kernelILj128ELj7ELj64EdEEvi20rocsparse_direction_NS_24const_host_device_scalarIT2_EEPKiS6_PKS3_S8_S4_PS3_21rocsparse_index_base_b.num_named_barrier, 0
	.set _ZN9rocsparseL19gebsrmvn_4xn_kernelILj128ELj7ELj64EdEEvi20rocsparse_direction_NS_24const_host_device_scalarIT2_EEPKiS6_PKS3_S8_S4_PS3_21rocsparse_index_base_b.private_seg_size, 0
	.set _ZN9rocsparseL19gebsrmvn_4xn_kernelILj128ELj7ELj64EdEEvi20rocsparse_direction_NS_24const_host_device_scalarIT2_EEPKiS6_PKS3_S8_S4_PS3_21rocsparse_index_base_b.uses_vcc, 1
	.set _ZN9rocsparseL19gebsrmvn_4xn_kernelILj128ELj7ELj64EdEEvi20rocsparse_direction_NS_24const_host_device_scalarIT2_EEPKiS6_PKS3_S8_S4_PS3_21rocsparse_index_base_b.uses_flat_scratch, 0
	.set _ZN9rocsparseL19gebsrmvn_4xn_kernelILj128ELj7ELj64EdEEvi20rocsparse_direction_NS_24const_host_device_scalarIT2_EEPKiS6_PKS3_S8_S4_PS3_21rocsparse_index_base_b.has_dyn_sized_stack, 0
	.set _ZN9rocsparseL19gebsrmvn_4xn_kernelILj128ELj7ELj64EdEEvi20rocsparse_direction_NS_24const_host_device_scalarIT2_EEPKiS6_PKS3_S8_S4_PS3_21rocsparse_index_base_b.has_recursion, 0
	.set _ZN9rocsparseL19gebsrmvn_4xn_kernelILj128ELj7ELj64EdEEvi20rocsparse_direction_NS_24const_host_device_scalarIT2_EEPKiS6_PKS3_S8_S4_PS3_21rocsparse_index_base_b.has_indirect_call, 0
	.section	.AMDGPU.csdata,"",@progbits
; Kernel info:
; codeLenInByte = 2976
; TotalNumSgprs: 16
; NumVgprs: 94
; ScratchSize: 0
; MemoryBound: 1
; FloatMode: 240
; IeeeMode: 1
; LDSByteSize: 0 bytes/workgroup (compile time only)
; SGPRBlocks: 0
; VGPRBlocks: 5
; NumSGPRsForWavesPerEU: 16
; NumVGPRsForWavesPerEU: 94
; NamedBarCnt: 0
; Occupancy: 10
; WaveLimiterHint : 1
; COMPUTE_PGM_RSRC2:SCRATCH_EN: 0
; COMPUTE_PGM_RSRC2:USER_SGPR: 2
; COMPUTE_PGM_RSRC2:TRAP_HANDLER: 0
; COMPUTE_PGM_RSRC2:TGID_X_EN: 1
; COMPUTE_PGM_RSRC2:TGID_Y_EN: 0
; COMPUTE_PGM_RSRC2:TGID_Z_EN: 0
; COMPUTE_PGM_RSRC2:TIDIG_COMP_CNT: 0
	.section	.text._ZN9rocsparseL19gebsrmvn_4xn_kernelILj128ELj8ELj4EdEEvi20rocsparse_direction_NS_24const_host_device_scalarIT2_EEPKiS6_PKS3_S8_S4_PS3_21rocsparse_index_base_b,"axG",@progbits,_ZN9rocsparseL19gebsrmvn_4xn_kernelILj128ELj8ELj4EdEEvi20rocsparse_direction_NS_24const_host_device_scalarIT2_EEPKiS6_PKS3_S8_S4_PS3_21rocsparse_index_base_b,comdat
	.globl	_ZN9rocsparseL19gebsrmvn_4xn_kernelILj128ELj8ELj4EdEEvi20rocsparse_direction_NS_24const_host_device_scalarIT2_EEPKiS6_PKS3_S8_S4_PS3_21rocsparse_index_base_b ; -- Begin function _ZN9rocsparseL19gebsrmvn_4xn_kernelILj128ELj8ELj4EdEEvi20rocsparse_direction_NS_24const_host_device_scalarIT2_EEPKiS6_PKS3_S8_S4_PS3_21rocsparse_index_base_b
	.p2align	8
	.type	_ZN9rocsparseL19gebsrmvn_4xn_kernelILj128ELj8ELj4EdEEvi20rocsparse_direction_NS_24const_host_device_scalarIT2_EEPKiS6_PKS3_S8_S4_PS3_21rocsparse_index_base_b,@function
_ZN9rocsparseL19gebsrmvn_4xn_kernelILj128ELj8ELj4EdEEvi20rocsparse_direction_NS_24const_host_device_scalarIT2_EEPKiS6_PKS3_S8_S4_PS3_21rocsparse_index_base_b: ; @_ZN9rocsparseL19gebsrmvn_4xn_kernelILj128ELj8ELj4EdEEvi20rocsparse_direction_NS_24const_host_device_scalarIT2_EEPKiS6_PKS3_S8_S4_PS3_21rocsparse_index_base_b
; %bb.0:
	s_clause 0x2
	s_load_b64 s[12:13], s[0:1], 0x40
	s_load_b64 s[4:5], s[0:1], 0x8
	;; [unrolled: 1-line block ×3, first 2 shown]
	s_wait_kmcnt 0x0
	s_bitcmp1_b32 s13, 0
	v_mov_b64_e32 v[2:3], s[4:5]
	s_cselect_b32 s6, -1, 0
	s_delay_alu instid0(SALU_CYCLE_1)
	s_and_b32 vcc_lo, exec_lo, s6
	s_xor_b32 s6, s6, -1
	s_cbranch_vccnz .LBB67_2
; %bb.1:
	v_mov_b32_e32 v1, 0
	flat_load_b64 v[2:3], v1, s[4:5]
.LBB67_2:
	v_mov_b64_e32 v[4:5], s[2:3]
	s_and_not1_b32 vcc_lo, exec_lo, s6
	s_cbranch_vccnz .LBB67_4
; %bb.3:
	s_wait_xcnt 0x0
	v_mov_b32_e32 v1, 0
	flat_load_b64 v[4:5], v1, s[2:3]
.LBB67_4:
	s_wait_loadcnt_dscnt 0x0
	v_cmp_neq_f64_e32 vcc_lo, 0, v[2:3]
	s_delay_alu instid0(VALU_DEP_2) | instskip(SKIP_1) | instid1(SALU_CYCLE_1)
	v_cmp_neq_f64_e64 s2, 1.0, v[4:5]
	s_or_b32 s2, vcc_lo, s2
	s_and_saveexec_b32 s3, s2
	s_cbranch_execz .LBB67_23
; %bb.5:
	s_load_b64 s[2:3], s[0:1], 0x0
	s_bfe_u32 s4, ttmp6, 0x4000c
	s_and_b32 s5, ttmp6, 15
	s_add_co_i32 s4, s4, 1
	s_getreg_b32 s6, hwreg(HW_REG_IB_STS2, 6, 4)
	s_mul_i32 s4, ttmp9, s4
	v_lshrrev_b32_e32 v1, 2, v0
	s_add_co_i32 s5, s5, s4
	s_cmp_eq_u32 s6, 0
	s_cselect_b32 s4, ttmp9, s5
	s_delay_alu instid0(VALU_DEP_1) | instid1(SALU_CYCLE_1)
	v_lshl_or_b32 v6, s4, 5, v1
	s_wait_kmcnt 0x0
	s_delay_alu instid0(VALU_DEP_1)
	v_cmp_gt_i32_e32 vcc_lo, s2, v6
	s_and_b32 exec_lo, exec_lo, vcc_lo
	s_cbranch_execz .LBB67_23
; %bb.6:
	s_load_b256 s[4:11], s[0:1], 0x10
	v_ashrrev_i32_e32 v7, 31, v6
	s_cmp_lg_u32 s3, 0
	s_wait_kmcnt 0x0
	s_delay_alu instid0(VALU_DEP_1)
	v_lshl_add_u64 v[8:9], v[6:7], 2, s[4:5]
	v_and_b32_e32 v7, 3, v0
	global_load_b64 v[8:9], v[8:9], off
	s_wait_loadcnt 0x0
	v_subrev_nc_u32_e32 v0, s12, v8
	v_subrev_nc_u32_e32 v16, s12, v9
	s_delay_alu instid0(VALU_DEP_2) | instskip(NEXT) | instid1(VALU_DEP_1)
	v_add_nc_u32_e32 v17, v0, v7
	v_cmp_lt_i32_e64 s2, v17, v16
	s_cbranch_scc0 .LBB67_12
; %bb.7:
	v_mov_b64_e32 v[0:1], 0
	v_mov_b64_e32 v[8:9], 0
	;; [unrolled: 1-line block ×4, first 2 shown]
	s_and_saveexec_b32 s3, s2
	s_cbranch_execz .LBB67_11
; %bb.8:
	v_mov_b64_e32 v[0:1], 0
	v_mov_b64_e32 v[8:9], 0
	;; [unrolled: 1-line block ×4, first 2 shown]
	v_dual_mov_b32 v15, 0 :: v_dual_lshlrev_b32 v14, 5, v17
	v_mov_b32_e32 v18, v17
	s_mov_b32 s4, 0
.LBB67_9:                               ; =>This Inner Loop Header: Depth=1
	global_load_b32 v19, v18, s[6:7] scale_offset
	v_lshl_add_u64 v[100:101], v[14:15], 3, s[8:9]
	s_wait_xcnt 0x0
	v_add_nc_u32_e32 v18, 4, v18
	v_add_nc_u32_e32 v14, 0x80, v14
	global_load_b128 v[20:23], v[100:101], off offset:16
	v_cmp_ge_i32_e32 vcc_lo, v18, v16
	s_or_b32 s4, vcc_lo, s4
	s_wait_loadcnt 0x1
	v_subrev_nc_u32_e32 v19, s12, v19
	s_delay_alu instid0(VALU_DEP_1) | instskip(NEXT) | instid1(VALU_DEP_1)
	v_dual_mov_b32 v25, v15 :: v_dual_lshlrev_b32 v24, 3, v19
	v_lshl_add_u64 v[102:103], v[24:25], 3, s[10:11]
	global_load_b128 v[24:27], v[100:101], off
	global_load_b128 v[28:31], v[102:103], off
	s_clause 0x3
	global_load_b128 v[32:35], v[100:101], off offset:32
	global_load_b128 v[36:39], v[100:101], off offset:48
	global_load_b128 v[40:43], v[100:101], off offset:64
	global_load_b128 v[44:47], v[100:101], off offset:80
	global_load_b128 v[48:51], v[102:103], off offset:16
	s_clause 0x3
	global_load_b128 v[52:55], v[100:101], off offset:96
	global_load_b128 v[56:59], v[100:101], off offset:112
	global_load_b128 v[60:63], v[100:101], off offset:144
	global_load_b128 v[64:67], v[100:101], off offset:128
	global_load_b128 v[68:71], v[102:103], off offset:32
	;; [unrolled: 6-line block ×3, first 2 shown]
	s_clause 0x1
	global_load_b128 v[92:95], v[100:101], off offset:224
	global_load_b128 v[96:99], v[100:101], off offset:240
	s_wait_loadcnt 0x11
	v_fmac_f64_e32 v[0:1], v[24:25], v[28:29]
	v_fmac_f64_e32 v[12:13], v[26:27], v[28:29]
	;; [unrolled: 1-line block ×4, first 2 shown]
	s_wait_loadcnt 0x10
	s_delay_alu instid0(VALU_DEP_4) | instskip(NEXT) | instid1(VALU_DEP_4)
	v_fmac_f64_e32 v[0:1], v[32:33], v[30:31]
	v_fmac_f64_e32 v[12:13], v[34:35], v[30:31]
	s_wait_loadcnt 0xf
	s_delay_alu instid0(VALU_DEP_4) | instskip(NEXT) | instid1(VALU_DEP_4)
	v_fmac_f64_e32 v[10:11], v[36:37], v[30:31]
	v_fmac_f64_e32 v[8:9], v[38:39], v[30:31]
	s_wait_loadcnt 0xc
	s_delay_alu instid0(VALU_DEP_4) | instskip(NEXT) | instid1(VALU_DEP_4)
	v_fmac_f64_e32 v[0:1], v[40:41], v[48:49]
	v_fmac_f64_e32 v[12:13], v[42:43], v[48:49]
	s_delay_alu instid0(VALU_DEP_4) | instskip(NEXT) | instid1(VALU_DEP_4)
	v_fmac_f64_e32 v[10:11], v[44:45], v[48:49]
	v_fmac_f64_e32 v[8:9], v[46:47], v[48:49]
	s_wait_loadcnt 0xb
	s_delay_alu instid0(VALU_DEP_4) | instskip(NEXT) | instid1(VALU_DEP_4)
	v_fmac_f64_e32 v[0:1], v[52:53], v[50:51]
	v_fmac_f64_e32 v[12:13], v[54:55], v[50:51]
	s_wait_loadcnt 0xa
	s_delay_alu instid0(VALU_DEP_4) | instskip(NEXT) | instid1(VALU_DEP_4)
	v_fmac_f64_e32 v[10:11], v[56:57], v[50:51]
	v_fmac_f64_e32 v[8:9], v[58:59], v[50:51]
	s_wait_loadcnt 0x7
	s_delay_alu instid0(VALU_DEP_4) | instskip(NEXT) | instid1(VALU_DEP_4)
	v_fmac_f64_e32 v[0:1], v[64:65], v[68:69]
	v_fmac_f64_e32 v[12:13], v[66:67], v[68:69]
	s_delay_alu instid0(VALU_DEP_4) | instskip(NEXT) | instid1(VALU_DEP_4)
	v_fmac_f64_e32 v[10:11], v[60:61], v[68:69]
	v_fmac_f64_e32 v[8:9], v[62:63], v[68:69]
	s_wait_loadcnt 0x6
	s_delay_alu instid0(VALU_DEP_4) | instskip(NEXT) | instid1(VALU_DEP_4)
	v_fmac_f64_e32 v[0:1], v[72:73], v[70:71]
	v_fmac_f64_e32 v[12:13], v[74:75], v[70:71]
	s_wait_loadcnt 0x5
	s_delay_alu instid0(VALU_DEP_4) | instskip(NEXT) | instid1(VALU_DEP_4)
	v_fmac_f64_e32 v[10:11], v[76:77], v[70:71]
	v_fmac_f64_e32 v[8:9], v[78:79], v[70:71]
	s_wait_loadcnt 0x2
	s_delay_alu instid0(VALU_DEP_4) | instskip(NEXT) | instid1(VALU_DEP_4)
	v_fmac_f64_e32 v[0:1], v[80:81], v[88:89]
	v_fmac_f64_e32 v[12:13], v[82:83], v[88:89]
	s_delay_alu instid0(VALU_DEP_4) | instskip(NEXT) | instid1(VALU_DEP_4)
	v_fmac_f64_e32 v[10:11], v[84:85], v[88:89]
	v_fmac_f64_e32 v[8:9], v[86:87], v[88:89]
	s_wait_loadcnt 0x1
	s_delay_alu instid0(VALU_DEP_4) | instskip(NEXT) | instid1(VALU_DEP_4)
	v_fmac_f64_e32 v[0:1], v[92:93], v[90:91]
	v_fmac_f64_e32 v[12:13], v[94:95], v[90:91]
	s_wait_loadcnt 0x0
	s_delay_alu instid0(VALU_DEP_4) | instskip(NEXT) | instid1(VALU_DEP_4)
	v_fmac_f64_e32 v[10:11], v[96:97], v[90:91]
	v_fmac_f64_e32 v[8:9], v[98:99], v[90:91]
	s_and_not1_b32 exec_lo, exec_lo, s4
	s_cbranch_execnz .LBB67_9
; %bb.10:
	s_or_b32 exec_lo, exec_lo, s4
.LBB67_11:
	s_delay_alu instid0(SALU_CYCLE_1)
	s_or_b32 exec_lo, exec_lo, s3
	s_cbranch_execz .LBB67_13
	s_branch .LBB67_18
.LBB67_12:
                                        ; implicit-def: $vgpr0_vgpr1
                                        ; implicit-def: $vgpr8_vgpr9
                                        ; implicit-def: $vgpr10_vgpr11
                                        ; implicit-def: $vgpr12_vgpr13
.LBB67_13:
	v_mov_b64_e32 v[0:1], 0
	v_mov_b64_e32 v[8:9], 0
	v_mov_b64_e32 v[10:11], 0
	v_mov_b64_e32 v[12:13], 0
	s_and_saveexec_b32 s3, s2
	s_cbranch_execz .LBB67_17
; %bb.14:
	v_mov_b64_e32 v[0:1], 0
	v_mov_b64_e32 v[8:9], 0
	v_mov_b64_e32 v[10:11], 0
	v_mov_b64_e32 v[12:13], 0
	v_dual_mov_b32 v15, 0 :: v_dual_lshlrev_b32 v14, 5, v17
	s_mov_b32 s2, 0
.LBB67_15:                              ; =>This Inner Loop Header: Depth=1
	global_load_b32 v70, v17, s[6:7] scale_offset
	v_lshl_add_u64 v[78:79], v[14:15], 3, s[8:9]
	s_wait_xcnt 0x0
	v_add_nc_u32_e32 v17, 4, v17
	v_add_nc_u32_e32 v14, 0x80, v14
	s_clause 0xc
	global_load_b128 v[18:21], v[78:79], off offset:48
	global_load_b128 v[22:25], v[78:79], off offset:32
	;; [unrolled: 1-line block ×3, first 2 shown]
	global_load_b128 v[30:33], v[78:79], off
	global_load_b128 v[34:37], v[78:79], off offset:80
	global_load_b128 v[38:41], v[78:79], off offset:64
	;; [unrolled: 1-line block ×9, first 2 shown]
	v_cmp_ge_i32_e32 vcc_lo, v17, v16
	s_or_b32 s2, vcc_lo, s2
	s_wait_loadcnt 0xd
	v_subrev_nc_u32_e32 v70, s12, v70
	s_delay_alu instid0(VALU_DEP_1) | instskip(NEXT) | instid1(VALU_DEP_1)
	v_dual_mov_b32 v71, v15 :: v_dual_lshlrev_b32 v70, 3, v70
	v_lshl_add_u64 v[80:81], v[70:71], 3, s[10:11]
	s_clause 0x1
	global_load_b128 v[70:73], v[80:81], off
	global_load_b128 v[74:77], v[80:81], off offset:16
	s_wait_loadcnt 0x1
	v_fmac_f64_e32 v[0:1], v[30:31], v[70:71]
	v_fmac_f64_e32 v[10:11], v[46:47], v[70:71]
	;; [unrolled: 1-line block ×4, first 2 shown]
	s_delay_alu instid0(VALU_DEP_4)
	v_fmac_f64_e32 v[0:1], v[32:33], v[72:73]
	global_load_b128 v[30:33], v[78:79], off offset:160
	v_fmac_f64_e32 v[10:11], v[48:49], v[72:73]
	global_load_b128 v[46:49], v[78:79], off offset:224
	v_fmac_f64_e32 v[12:13], v[40:41], v[72:73]
	global_load_b128 v[38:41], v[78:79], off offset:240
	v_fmac_f64_e32 v[8:9], v[56:57], v[72:73]
	s_clause 0x1
	global_load_b128 v[54:57], v[80:81], off offset:32
	global_load_b128 v[70:73], v[80:81], off offset:48
	s_wait_loadcnt 0x5
	v_fmac_f64_e32 v[0:1], v[26:27], v[74:75]
	v_fmac_f64_e32 v[10:11], v[42:43], v[74:75]
	;; [unrolled: 1-line block ×4, first 2 shown]
	s_delay_alu instid0(VALU_DEP_4) | instskip(NEXT) | instid1(VALU_DEP_4)
	v_fmac_f64_e32 v[0:1], v[28:29], v[76:77]
	v_fmac_f64_e32 v[10:11], v[44:45], v[76:77]
	s_delay_alu instid0(VALU_DEP_4) | instskip(NEXT) | instid1(VALU_DEP_4)
	v_fmac_f64_e32 v[12:13], v[36:37], v[76:77]
	v_fmac_f64_e32 v[8:9], v[52:53], v[76:77]
	s_wait_loadcnt 0x1
	s_delay_alu instid0(VALU_DEP_4) | instskip(NEXT) | instid1(VALU_DEP_3)
	v_fmac_f64_e32 v[0:1], v[22:23], v[54:55]
	v_fmac_f64_e32 v[12:13], v[62:63], v[54:55]
	;; [unrolled: 1-line block ×3, first 2 shown]
	s_delay_alu instid0(VALU_DEP_4) | instskip(NEXT) | instid1(VALU_DEP_4)
	v_fmac_f64_e32 v[8:9], v[46:47], v[54:55]
	v_fmac_f64_e32 v[0:1], v[24:25], v[56:57]
	s_delay_alu instid0(VALU_DEP_4) | instskip(NEXT) | instid1(VALU_DEP_4)
	v_fmac_f64_e32 v[12:13], v[64:65], v[56:57]
	v_fmac_f64_e32 v[10:11], v[32:33], v[56:57]
	s_delay_alu instid0(VALU_DEP_4) | instskip(SKIP_1) | instid1(VALU_DEP_4)
	v_fmac_f64_e32 v[8:9], v[48:49], v[56:57]
	s_wait_loadcnt 0x0
	v_fmac_f64_e32 v[0:1], v[18:19], v[70:71]
	s_delay_alu instid0(VALU_DEP_4) | instskip(NEXT) | instid1(VALU_DEP_4)
	v_fmac_f64_e32 v[12:13], v[58:59], v[70:71]
	v_fmac_f64_e32 v[10:11], v[66:67], v[70:71]
	s_delay_alu instid0(VALU_DEP_4) | instskip(NEXT) | instid1(VALU_DEP_4)
	v_fmac_f64_e32 v[8:9], v[38:39], v[70:71]
	;; [unrolled: 3-line block ×3, first 2 shown]
	v_fmac_f64_e32 v[10:11], v[68:69], v[72:73]
	s_delay_alu instid0(VALU_DEP_4)
	v_fmac_f64_e32 v[8:9], v[40:41], v[72:73]
	s_and_not1_b32 exec_lo, exec_lo, s2
	s_cbranch_execnz .LBB67_15
; %bb.16:
	s_or_b32 exec_lo, exec_lo, s2
.LBB67_17:
	s_delay_alu instid0(SALU_CYCLE_1)
	s_or_b32 exec_lo, exec_lo, s3
.LBB67_18:
	v_mbcnt_lo_u32_b32 v24, -1, 0
	s_delay_alu instid0(VALU_DEP_1) | instskip(NEXT) | instid1(VALU_DEP_1)
	v_xor_b32_e32 v14, 2, v24
	v_cmp_gt_i32_e32 vcc_lo, 32, v14
	v_cndmask_b32_e32 v14, v24, v14, vcc_lo
	s_delay_alu instid0(VALU_DEP_1)
	v_lshlrev_b32_e32 v16, 2, v14
	ds_bpermute_b32 v14, v16, v0
	ds_bpermute_b32 v15, v16, v1
	;; [unrolled: 1-line block ×8, first 2 shown]
	s_wait_dscnt 0x6
	v_add_f64_e32 v[16:17], v[0:1], v[14:15]
	s_wait_dscnt 0x4
	v_add_f64_e32 v[14:15], v[12:13], v[18:19]
	;; [unrolled: 2-line block ×3, first 2 shown]
	s_wait_dscnt 0x0
	v_dual_add_f64 v[8:9], v[8:9], v[22:23] :: v_dual_bitop2_b32 v10, 1, v24 bitop3:0x14
	s_delay_alu instid0(VALU_DEP_1) | instskip(SKIP_2) | instid1(VALU_DEP_2)
	v_cmp_gt_i32_e32 vcc_lo, 32, v10
	v_cndmask_b32_e32 v10, v24, v10, vcc_lo
	v_cmp_eq_u32_e32 vcc_lo, 3, v7
	v_lshlrev_b32_e32 v19, 2, v10
	ds_bpermute_b32 v12, v19, v16
	ds_bpermute_b32 v13, v19, v17
	;; [unrolled: 1-line block ×8, first 2 shown]
	s_and_b32 exec_lo, exec_lo, vcc_lo
	s_cbranch_execz .LBB67_23
; %bb.19:
	s_wait_dscnt 0x6
	v_add_f64_e32 v[12:13], v[16:17], v[12:13]
	s_wait_dscnt 0x4
	v_add_f64_e32 v[10:11], v[14:15], v[10:11]
	;; [unrolled: 2-line block ×4, first 2 shown]
	s_load_b64 s[0:1], s[0:1], 0x38
	s_mov_b32 s2, exec_lo
	v_cmpx_eq_f64_e32 0, v[4:5]
	s_xor_b32 s2, exec_lo, s2
	s_cbranch_execz .LBB67_21
; %bb.20:
	v_dual_mul_f64 v[12:13], v[2:3], v[12:13] :: v_dual_lshlrev_b32 v4, 2, v6
	v_mul_f64_e32 v[14:15], v[2:3], v[10:11]
	v_mul_f64_e32 v[0:1], v[2:3], v[0:1]
	;; [unrolled: 1-line block ×3, first 2 shown]
                                        ; implicit-def: $vgpr6
                                        ; implicit-def: $vgpr10_vgpr11
                                        ; implicit-def: $vgpr8_vgpr9
	s_delay_alu instid0(VALU_DEP_4) | instskip(SKIP_1) | instid1(VALU_DEP_1)
	v_ashrrev_i32_e32 v5, 31, v4
	s_wait_kmcnt 0x0
	v_lshl_add_u64 v[4:5], v[4:5], 3, s[0:1]
	s_clause 0x1
	global_store_b128 v[4:5], v[12:15], off
	global_store_b128 v[4:5], v[0:3], off offset:16
                                        ; implicit-def: $vgpr2_vgpr3
                                        ; implicit-def: $vgpr12_vgpr13
                                        ; implicit-def: $vgpr4_vgpr5
                                        ; implicit-def: $vgpr0_vgpr1
.LBB67_21:
	s_wait_xcnt 0x0
	s_and_not1_saveexec_b32 s2, s2
	s_cbranch_execz .LBB67_23
; %bb.22:
	v_dual_mul_f64 v[22:23], v[2:3], v[12:13] :: v_dual_lshlrev_b32 v6, 2, v6
	v_mul_f64_e32 v[24:25], v[2:3], v[10:11]
	v_mul_f64_e32 v[0:1], v[2:3], v[0:1]
	s_delay_alu instid0(VALU_DEP_3) | instskip(SKIP_1) | instid1(VALU_DEP_1)
	v_dual_mul_f64 v[2:3], v[2:3], v[8:9] :: v_dual_ashrrev_i32 v7, 31, v6
	s_wait_kmcnt 0x0
	v_lshl_add_u64 v[6:7], v[6:7], 3, s[0:1]
	s_clause 0x1
	global_load_b128 v[14:17], v[6:7], off
	global_load_b128 v[18:21], v[6:7], off offset:16
	s_wait_loadcnt 0x1
	v_fmac_f64_e32 v[22:23], v[4:5], v[14:15]
	v_fmac_f64_e32 v[24:25], v[4:5], v[16:17]
	s_wait_loadcnt 0x0
	v_fmac_f64_e32 v[0:1], v[4:5], v[18:19]
	v_fmac_f64_e32 v[2:3], v[4:5], v[20:21]
	s_clause 0x1
	global_store_b128 v[6:7], v[22:25], off
	global_store_b128 v[6:7], v[0:3], off offset:16
.LBB67_23:
	s_sendmsg sendmsg(MSG_DEALLOC_VGPRS)
	s_endpgm
	.section	.rodata,"a",@progbits
	.p2align	6, 0x0
	.amdhsa_kernel _ZN9rocsparseL19gebsrmvn_4xn_kernelILj128ELj8ELj4EdEEvi20rocsparse_direction_NS_24const_host_device_scalarIT2_EEPKiS6_PKS3_S8_S4_PS3_21rocsparse_index_base_b
		.amdhsa_group_segment_fixed_size 0
		.amdhsa_private_segment_fixed_size 0
		.amdhsa_kernarg_size 72
		.amdhsa_user_sgpr_count 2
		.amdhsa_user_sgpr_dispatch_ptr 0
		.amdhsa_user_sgpr_queue_ptr 0
		.amdhsa_user_sgpr_kernarg_segment_ptr 1
		.amdhsa_user_sgpr_dispatch_id 0
		.amdhsa_user_sgpr_kernarg_preload_length 0
		.amdhsa_user_sgpr_kernarg_preload_offset 0
		.amdhsa_user_sgpr_private_segment_size 0
		.amdhsa_wavefront_size32 1
		.amdhsa_uses_dynamic_stack 0
		.amdhsa_enable_private_segment 0
		.amdhsa_system_sgpr_workgroup_id_x 1
		.amdhsa_system_sgpr_workgroup_id_y 0
		.amdhsa_system_sgpr_workgroup_id_z 0
		.amdhsa_system_sgpr_workgroup_info 0
		.amdhsa_system_vgpr_workitem_id 0
		.amdhsa_next_free_vgpr 104
		.amdhsa_next_free_sgpr 14
		.amdhsa_named_barrier_count 0
		.amdhsa_reserve_vcc 1
		.amdhsa_float_round_mode_32 0
		.amdhsa_float_round_mode_16_64 0
		.amdhsa_float_denorm_mode_32 3
		.amdhsa_float_denorm_mode_16_64 3
		.amdhsa_fp16_overflow 0
		.amdhsa_memory_ordered 1
		.amdhsa_forward_progress 1
		.amdhsa_inst_pref_size 16
		.amdhsa_round_robin_scheduling 0
		.amdhsa_exception_fp_ieee_invalid_op 0
		.amdhsa_exception_fp_denorm_src 0
		.amdhsa_exception_fp_ieee_div_zero 0
		.amdhsa_exception_fp_ieee_overflow 0
		.amdhsa_exception_fp_ieee_underflow 0
		.amdhsa_exception_fp_ieee_inexact 0
		.amdhsa_exception_int_div_zero 0
	.end_amdhsa_kernel
	.section	.text._ZN9rocsparseL19gebsrmvn_4xn_kernelILj128ELj8ELj4EdEEvi20rocsparse_direction_NS_24const_host_device_scalarIT2_EEPKiS6_PKS3_S8_S4_PS3_21rocsparse_index_base_b,"axG",@progbits,_ZN9rocsparseL19gebsrmvn_4xn_kernelILj128ELj8ELj4EdEEvi20rocsparse_direction_NS_24const_host_device_scalarIT2_EEPKiS6_PKS3_S8_S4_PS3_21rocsparse_index_base_b,comdat
.Lfunc_end67:
	.size	_ZN9rocsparseL19gebsrmvn_4xn_kernelILj128ELj8ELj4EdEEvi20rocsparse_direction_NS_24const_host_device_scalarIT2_EEPKiS6_PKS3_S8_S4_PS3_21rocsparse_index_base_b, .Lfunc_end67-_ZN9rocsparseL19gebsrmvn_4xn_kernelILj128ELj8ELj4EdEEvi20rocsparse_direction_NS_24const_host_device_scalarIT2_EEPKiS6_PKS3_S8_S4_PS3_21rocsparse_index_base_b
                                        ; -- End function
	.set _ZN9rocsparseL19gebsrmvn_4xn_kernelILj128ELj8ELj4EdEEvi20rocsparse_direction_NS_24const_host_device_scalarIT2_EEPKiS6_PKS3_S8_S4_PS3_21rocsparse_index_base_b.num_vgpr, 104
	.set _ZN9rocsparseL19gebsrmvn_4xn_kernelILj128ELj8ELj4EdEEvi20rocsparse_direction_NS_24const_host_device_scalarIT2_EEPKiS6_PKS3_S8_S4_PS3_21rocsparse_index_base_b.num_agpr, 0
	.set _ZN9rocsparseL19gebsrmvn_4xn_kernelILj128ELj8ELj4EdEEvi20rocsparse_direction_NS_24const_host_device_scalarIT2_EEPKiS6_PKS3_S8_S4_PS3_21rocsparse_index_base_b.numbered_sgpr, 14
	.set _ZN9rocsparseL19gebsrmvn_4xn_kernelILj128ELj8ELj4EdEEvi20rocsparse_direction_NS_24const_host_device_scalarIT2_EEPKiS6_PKS3_S8_S4_PS3_21rocsparse_index_base_b.num_named_barrier, 0
	.set _ZN9rocsparseL19gebsrmvn_4xn_kernelILj128ELj8ELj4EdEEvi20rocsparse_direction_NS_24const_host_device_scalarIT2_EEPKiS6_PKS3_S8_S4_PS3_21rocsparse_index_base_b.private_seg_size, 0
	.set _ZN9rocsparseL19gebsrmvn_4xn_kernelILj128ELj8ELj4EdEEvi20rocsparse_direction_NS_24const_host_device_scalarIT2_EEPKiS6_PKS3_S8_S4_PS3_21rocsparse_index_base_b.uses_vcc, 1
	.set _ZN9rocsparseL19gebsrmvn_4xn_kernelILj128ELj8ELj4EdEEvi20rocsparse_direction_NS_24const_host_device_scalarIT2_EEPKiS6_PKS3_S8_S4_PS3_21rocsparse_index_base_b.uses_flat_scratch, 0
	.set _ZN9rocsparseL19gebsrmvn_4xn_kernelILj128ELj8ELj4EdEEvi20rocsparse_direction_NS_24const_host_device_scalarIT2_EEPKiS6_PKS3_S8_S4_PS3_21rocsparse_index_base_b.has_dyn_sized_stack, 0
	.set _ZN9rocsparseL19gebsrmvn_4xn_kernelILj128ELj8ELj4EdEEvi20rocsparse_direction_NS_24const_host_device_scalarIT2_EEPKiS6_PKS3_S8_S4_PS3_21rocsparse_index_base_b.has_recursion, 0
	.set _ZN9rocsparseL19gebsrmvn_4xn_kernelILj128ELj8ELj4EdEEvi20rocsparse_direction_NS_24const_host_device_scalarIT2_EEPKiS6_PKS3_S8_S4_PS3_21rocsparse_index_base_b.has_indirect_call, 0
	.section	.AMDGPU.csdata,"",@progbits
; Kernel info:
; codeLenInByte = 2032
; TotalNumSgprs: 16
; NumVgprs: 104
; ScratchSize: 0
; MemoryBound: 1
; FloatMode: 240
; IeeeMode: 1
; LDSByteSize: 0 bytes/workgroup (compile time only)
; SGPRBlocks: 0
; VGPRBlocks: 6
; NumSGPRsForWavesPerEU: 16
; NumVGPRsForWavesPerEU: 104
; NamedBarCnt: 0
; Occupancy: 9
; WaveLimiterHint : 1
; COMPUTE_PGM_RSRC2:SCRATCH_EN: 0
; COMPUTE_PGM_RSRC2:USER_SGPR: 2
; COMPUTE_PGM_RSRC2:TRAP_HANDLER: 0
; COMPUTE_PGM_RSRC2:TGID_X_EN: 1
; COMPUTE_PGM_RSRC2:TGID_Y_EN: 0
; COMPUTE_PGM_RSRC2:TGID_Z_EN: 0
; COMPUTE_PGM_RSRC2:TIDIG_COMP_CNT: 0
	.section	.text._ZN9rocsparseL19gebsrmvn_4xn_kernelILj128ELj8ELj8EdEEvi20rocsparse_direction_NS_24const_host_device_scalarIT2_EEPKiS6_PKS3_S8_S4_PS3_21rocsparse_index_base_b,"axG",@progbits,_ZN9rocsparseL19gebsrmvn_4xn_kernelILj128ELj8ELj8EdEEvi20rocsparse_direction_NS_24const_host_device_scalarIT2_EEPKiS6_PKS3_S8_S4_PS3_21rocsparse_index_base_b,comdat
	.globl	_ZN9rocsparseL19gebsrmvn_4xn_kernelILj128ELj8ELj8EdEEvi20rocsparse_direction_NS_24const_host_device_scalarIT2_EEPKiS6_PKS3_S8_S4_PS3_21rocsparse_index_base_b ; -- Begin function _ZN9rocsparseL19gebsrmvn_4xn_kernelILj128ELj8ELj8EdEEvi20rocsparse_direction_NS_24const_host_device_scalarIT2_EEPKiS6_PKS3_S8_S4_PS3_21rocsparse_index_base_b
	.p2align	8
	.type	_ZN9rocsparseL19gebsrmvn_4xn_kernelILj128ELj8ELj8EdEEvi20rocsparse_direction_NS_24const_host_device_scalarIT2_EEPKiS6_PKS3_S8_S4_PS3_21rocsparse_index_base_b,@function
_ZN9rocsparseL19gebsrmvn_4xn_kernelILj128ELj8ELj8EdEEvi20rocsparse_direction_NS_24const_host_device_scalarIT2_EEPKiS6_PKS3_S8_S4_PS3_21rocsparse_index_base_b: ; @_ZN9rocsparseL19gebsrmvn_4xn_kernelILj128ELj8ELj8EdEEvi20rocsparse_direction_NS_24const_host_device_scalarIT2_EEPKiS6_PKS3_S8_S4_PS3_21rocsparse_index_base_b
; %bb.0:
	s_clause 0x2
	s_load_b64 s[12:13], s[0:1], 0x40
	s_load_b64 s[4:5], s[0:1], 0x8
	;; [unrolled: 1-line block ×3, first 2 shown]
	s_wait_kmcnt 0x0
	s_bitcmp1_b32 s13, 0
	v_mov_b64_e32 v[2:3], s[4:5]
	s_cselect_b32 s6, -1, 0
	s_delay_alu instid0(SALU_CYCLE_1)
	s_and_b32 vcc_lo, exec_lo, s6
	s_xor_b32 s6, s6, -1
	s_cbranch_vccnz .LBB68_2
; %bb.1:
	v_mov_b32_e32 v1, 0
	flat_load_b64 v[2:3], v1, s[4:5]
.LBB68_2:
	v_mov_b64_e32 v[4:5], s[2:3]
	s_and_not1_b32 vcc_lo, exec_lo, s6
	s_cbranch_vccnz .LBB68_4
; %bb.3:
	s_wait_xcnt 0x0
	v_mov_b32_e32 v1, 0
	flat_load_b64 v[4:5], v1, s[2:3]
.LBB68_4:
	s_wait_loadcnt_dscnt 0x0
	v_cmp_neq_f64_e32 vcc_lo, 0, v[2:3]
	s_delay_alu instid0(VALU_DEP_2) | instskip(SKIP_1) | instid1(SALU_CYCLE_1)
	v_cmp_neq_f64_e64 s2, 1.0, v[4:5]
	s_or_b32 s2, vcc_lo, s2
	s_and_saveexec_b32 s3, s2
	s_cbranch_execz .LBB68_23
; %bb.5:
	s_load_b64 s[2:3], s[0:1], 0x0
	s_bfe_u32 s4, ttmp6, 0x4000c
	s_and_b32 s5, ttmp6, 15
	s_add_co_i32 s4, s4, 1
	s_getreg_b32 s6, hwreg(HW_REG_IB_STS2, 6, 4)
	s_mul_i32 s4, ttmp9, s4
	v_lshrrev_b32_e32 v1, 3, v0
	s_add_co_i32 s5, s5, s4
	s_cmp_eq_u32 s6, 0
	s_cselect_b32 s4, ttmp9, s5
	s_delay_alu instid0(VALU_DEP_1) | instid1(SALU_CYCLE_1)
	v_lshl_or_b32 v6, s4, 4, v1
	s_wait_kmcnt 0x0
	s_delay_alu instid0(VALU_DEP_1)
	v_cmp_gt_i32_e32 vcc_lo, s2, v6
	s_and_b32 exec_lo, exec_lo, vcc_lo
	s_cbranch_execz .LBB68_23
; %bb.6:
	s_load_b256 s[4:11], s[0:1], 0x10
	v_ashrrev_i32_e32 v7, 31, v6
	s_cmp_lg_u32 s3, 0
	s_wait_kmcnt 0x0
	s_delay_alu instid0(VALU_DEP_1)
	v_lshl_add_u64 v[8:9], v[6:7], 2, s[4:5]
	v_and_b32_e32 v7, 7, v0
	global_load_b64 v[8:9], v[8:9], off
	s_wait_loadcnt 0x0
	v_subrev_nc_u32_e32 v0, s12, v8
	v_subrev_nc_u32_e32 v16, s12, v9
	s_delay_alu instid0(VALU_DEP_2) | instskip(NEXT) | instid1(VALU_DEP_1)
	v_add_nc_u32_e32 v17, v0, v7
	v_cmp_lt_i32_e64 s2, v17, v16
	s_cbranch_scc0 .LBB68_12
; %bb.7:
	v_mov_b64_e32 v[0:1], 0
	v_mov_b64_e32 v[8:9], 0
	;; [unrolled: 1-line block ×4, first 2 shown]
	s_and_saveexec_b32 s3, s2
	s_cbranch_execz .LBB68_11
; %bb.8:
	v_mov_b64_e32 v[0:1], 0
	v_mov_b64_e32 v[8:9], 0
	;; [unrolled: 1-line block ×4, first 2 shown]
	v_dual_mov_b32 v15, 0 :: v_dual_lshlrev_b32 v14, 5, v17
	v_mov_b32_e32 v18, v17
	s_mov_b32 s4, 0
.LBB68_9:                               ; =>This Inner Loop Header: Depth=1
	global_load_b32 v19, v18, s[6:7] scale_offset
	v_lshl_add_u64 v[100:101], v[14:15], 3, s[8:9]
	s_wait_xcnt 0x0
	v_add_nc_u32_e32 v18, 8, v18
	v_add_nc_u32_e32 v14, 0x100, v14
	global_load_b128 v[20:23], v[100:101], off offset:16
	v_cmp_ge_i32_e32 vcc_lo, v18, v16
	s_or_b32 s4, vcc_lo, s4
	s_wait_loadcnt 0x1
	v_subrev_nc_u32_e32 v19, s12, v19
	s_delay_alu instid0(VALU_DEP_1) | instskip(NEXT) | instid1(VALU_DEP_1)
	v_dual_mov_b32 v25, v15 :: v_dual_lshlrev_b32 v24, 3, v19
	v_lshl_add_u64 v[102:103], v[24:25], 3, s[10:11]
	global_load_b128 v[24:27], v[100:101], off
	global_load_b128 v[28:31], v[102:103], off
	s_clause 0x3
	global_load_b128 v[32:35], v[100:101], off offset:32
	global_load_b128 v[36:39], v[100:101], off offset:48
	global_load_b128 v[40:43], v[100:101], off offset:64
	global_load_b128 v[44:47], v[100:101], off offset:80
	global_load_b128 v[48:51], v[102:103], off offset:16
	s_clause 0x3
	global_load_b128 v[52:55], v[100:101], off offset:96
	global_load_b128 v[56:59], v[100:101], off offset:112
	global_load_b128 v[60:63], v[100:101], off offset:144
	global_load_b128 v[64:67], v[100:101], off offset:128
	global_load_b128 v[68:71], v[102:103], off offset:32
	;; [unrolled: 6-line block ×3, first 2 shown]
	s_clause 0x1
	global_load_b128 v[92:95], v[100:101], off offset:224
	global_load_b128 v[96:99], v[100:101], off offset:240
	s_wait_loadcnt 0x11
	v_fmac_f64_e32 v[0:1], v[24:25], v[28:29]
	v_fmac_f64_e32 v[12:13], v[26:27], v[28:29]
	;; [unrolled: 1-line block ×4, first 2 shown]
	s_wait_loadcnt 0x10
	s_delay_alu instid0(VALU_DEP_4) | instskip(NEXT) | instid1(VALU_DEP_4)
	v_fmac_f64_e32 v[0:1], v[32:33], v[30:31]
	v_fmac_f64_e32 v[12:13], v[34:35], v[30:31]
	s_wait_loadcnt 0xf
	s_delay_alu instid0(VALU_DEP_4) | instskip(NEXT) | instid1(VALU_DEP_4)
	v_fmac_f64_e32 v[10:11], v[36:37], v[30:31]
	v_fmac_f64_e32 v[8:9], v[38:39], v[30:31]
	s_wait_loadcnt 0xc
	s_delay_alu instid0(VALU_DEP_4) | instskip(NEXT) | instid1(VALU_DEP_4)
	v_fmac_f64_e32 v[0:1], v[40:41], v[48:49]
	v_fmac_f64_e32 v[12:13], v[42:43], v[48:49]
	s_delay_alu instid0(VALU_DEP_4) | instskip(NEXT) | instid1(VALU_DEP_4)
	v_fmac_f64_e32 v[10:11], v[44:45], v[48:49]
	v_fmac_f64_e32 v[8:9], v[46:47], v[48:49]
	s_wait_loadcnt 0xb
	s_delay_alu instid0(VALU_DEP_4) | instskip(NEXT) | instid1(VALU_DEP_4)
	v_fmac_f64_e32 v[0:1], v[52:53], v[50:51]
	v_fmac_f64_e32 v[12:13], v[54:55], v[50:51]
	s_wait_loadcnt 0xa
	s_delay_alu instid0(VALU_DEP_4) | instskip(NEXT) | instid1(VALU_DEP_4)
	v_fmac_f64_e32 v[10:11], v[56:57], v[50:51]
	v_fmac_f64_e32 v[8:9], v[58:59], v[50:51]
	s_wait_loadcnt 0x7
	s_delay_alu instid0(VALU_DEP_4) | instskip(NEXT) | instid1(VALU_DEP_4)
	v_fmac_f64_e32 v[0:1], v[64:65], v[68:69]
	v_fmac_f64_e32 v[12:13], v[66:67], v[68:69]
	s_delay_alu instid0(VALU_DEP_4) | instskip(NEXT) | instid1(VALU_DEP_4)
	v_fmac_f64_e32 v[10:11], v[60:61], v[68:69]
	v_fmac_f64_e32 v[8:9], v[62:63], v[68:69]
	s_wait_loadcnt 0x6
	s_delay_alu instid0(VALU_DEP_4) | instskip(NEXT) | instid1(VALU_DEP_4)
	v_fmac_f64_e32 v[0:1], v[72:73], v[70:71]
	v_fmac_f64_e32 v[12:13], v[74:75], v[70:71]
	s_wait_loadcnt 0x5
	s_delay_alu instid0(VALU_DEP_4) | instskip(NEXT) | instid1(VALU_DEP_4)
	v_fmac_f64_e32 v[10:11], v[76:77], v[70:71]
	v_fmac_f64_e32 v[8:9], v[78:79], v[70:71]
	s_wait_loadcnt 0x2
	s_delay_alu instid0(VALU_DEP_4) | instskip(NEXT) | instid1(VALU_DEP_4)
	v_fmac_f64_e32 v[0:1], v[80:81], v[88:89]
	v_fmac_f64_e32 v[12:13], v[82:83], v[88:89]
	s_delay_alu instid0(VALU_DEP_4) | instskip(NEXT) | instid1(VALU_DEP_4)
	v_fmac_f64_e32 v[10:11], v[84:85], v[88:89]
	v_fmac_f64_e32 v[8:9], v[86:87], v[88:89]
	s_wait_loadcnt 0x1
	s_delay_alu instid0(VALU_DEP_4) | instskip(NEXT) | instid1(VALU_DEP_4)
	v_fmac_f64_e32 v[0:1], v[92:93], v[90:91]
	v_fmac_f64_e32 v[12:13], v[94:95], v[90:91]
	s_wait_loadcnt 0x0
	s_delay_alu instid0(VALU_DEP_4) | instskip(NEXT) | instid1(VALU_DEP_4)
	v_fmac_f64_e32 v[10:11], v[96:97], v[90:91]
	v_fmac_f64_e32 v[8:9], v[98:99], v[90:91]
	s_and_not1_b32 exec_lo, exec_lo, s4
	s_cbranch_execnz .LBB68_9
; %bb.10:
	s_or_b32 exec_lo, exec_lo, s4
.LBB68_11:
	s_delay_alu instid0(SALU_CYCLE_1)
	s_or_b32 exec_lo, exec_lo, s3
	s_cbranch_execz .LBB68_13
	s_branch .LBB68_18
.LBB68_12:
                                        ; implicit-def: $vgpr0_vgpr1
                                        ; implicit-def: $vgpr8_vgpr9
                                        ; implicit-def: $vgpr10_vgpr11
                                        ; implicit-def: $vgpr12_vgpr13
.LBB68_13:
	v_mov_b64_e32 v[0:1], 0
	v_mov_b64_e32 v[8:9], 0
	;; [unrolled: 1-line block ×4, first 2 shown]
	s_and_saveexec_b32 s3, s2
	s_cbranch_execz .LBB68_17
; %bb.14:
	v_mov_b64_e32 v[0:1], 0
	v_mov_b64_e32 v[8:9], 0
	;; [unrolled: 1-line block ×4, first 2 shown]
	v_dual_mov_b32 v15, 0 :: v_dual_lshlrev_b32 v14, 5, v17
	s_mov_b32 s2, 0
.LBB68_15:                              ; =>This Inner Loop Header: Depth=1
	global_load_b32 v70, v17, s[6:7] scale_offset
	v_lshl_add_u64 v[78:79], v[14:15], 3, s[8:9]
	s_wait_xcnt 0x0
	v_add_nc_u32_e32 v17, 8, v17
	v_add_nc_u32_e32 v14, 0x100, v14
	s_clause 0xc
	global_load_b128 v[18:21], v[78:79], off offset:48
	global_load_b128 v[22:25], v[78:79], off offset:32
	;; [unrolled: 1-line block ×3, first 2 shown]
	global_load_b128 v[30:33], v[78:79], off
	global_load_b128 v[34:37], v[78:79], off offset:80
	global_load_b128 v[38:41], v[78:79], off offset:64
	global_load_b128 v[42:45], v[78:79], off offset:144
	global_load_b128 v[46:49], v[78:79], off offset:128
	global_load_b128 v[50:53], v[78:79], off offset:208
	global_load_b128 v[54:57], v[78:79], off offset:192
	global_load_b128 v[58:61], v[78:79], off offset:112
	global_load_b128 v[62:65], v[78:79], off offset:96
	global_load_b128 v[66:69], v[78:79], off offset:176
	v_cmp_ge_i32_e32 vcc_lo, v17, v16
	s_or_b32 s2, vcc_lo, s2
	s_wait_loadcnt 0xd
	v_subrev_nc_u32_e32 v70, s12, v70
	s_delay_alu instid0(VALU_DEP_1) | instskip(NEXT) | instid1(VALU_DEP_1)
	v_dual_mov_b32 v71, v15 :: v_dual_lshlrev_b32 v70, 3, v70
	v_lshl_add_u64 v[80:81], v[70:71], 3, s[10:11]
	s_clause 0x1
	global_load_b128 v[70:73], v[80:81], off
	global_load_b128 v[74:77], v[80:81], off offset:16
	s_wait_loadcnt 0x1
	v_fmac_f64_e32 v[0:1], v[30:31], v[70:71]
	v_fmac_f64_e32 v[10:11], v[46:47], v[70:71]
	;; [unrolled: 1-line block ×4, first 2 shown]
	s_delay_alu instid0(VALU_DEP_4)
	v_fmac_f64_e32 v[0:1], v[32:33], v[72:73]
	global_load_b128 v[30:33], v[78:79], off offset:160
	v_fmac_f64_e32 v[10:11], v[48:49], v[72:73]
	global_load_b128 v[46:49], v[78:79], off offset:224
	;; [unrolled: 2-line block ×3, first 2 shown]
	v_fmac_f64_e32 v[8:9], v[56:57], v[72:73]
	s_clause 0x1
	global_load_b128 v[54:57], v[80:81], off offset:32
	global_load_b128 v[70:73], v[80:81], off offset:48
	s_wait_loadcnt 0x5
	v_fmac_f64_e32 v[0:1], v[26:27], v[74:75]
	v_fmac_f64_e32 v[10:11], v[42:43], v[74:75]
	;; [unrolled: 1-line block ×4, first 2 shown]
	s_delay_alu instid0(VALU_DEP_4) | instskip(NEXT) | instid1(VALU_DEP_4)
	v_fmac_f64_e32 v[0:1], v[28:29], v[76:77]
	v_fmac_f64_e32 v[10:11], v[44:45], v[76:77]
	s_delay_alu instid0(VALU_DEP_4) | instskip(NEXT) | instid1(VALU_DEP_4)
	v_fmac_f64_e32 v[12:13], v[36:37], v[76:77]
	v_fmac_f64_e32 v[8:9], v[52:53], v[76:77]
	s_wait_loadcnt 0x1
	s_delay_alu instid0(VALU_DEP_4) | instskip(NEXT) | instid1(VALU_DEP_3)
	v_fmac_f64_e32 v[0:1], v[22:23], v[54:55]
	v_fmac_f64_e32 v[12:13], v[62:63], v[54:55]
	;; [unrolled: 1-line block ×3, first 2 shown]
	s_delay_alu instid0(VALU_DEP_4) | instskip(NEXT) | instid1(VALU_DEP_4)
	v_fmac_f64_e32 v[8:9], v[46:47], v[54:55]
	v_fmac_f64_e32 v[0:1], v[24:25], v[56:57]
	s_delay_alu instid0(VALU_DEP_4) | instskip(NEXT) | instid1(VALU_DEP_4)
	v_fmac_f64_e32 v[12:13], v[64:65], v[56:57]
	v_fmac_f64_e32 v[10:11], v[32:33], v[56:57]
	s_delay_alu instid0(VALU_DEP_4) | instskip(SKIP_1) | instid1(VALU_DEP_4)
	v_fmac_f64_e32 v[8:9], v[48:49], v[56:57]
	s_wait_loadcnt 0x0
	v_fmac_f64_e32 v[0:1], v[18:19], v[70:71]
	s_delay_alu instid0(VALU_DEP_4) | instskip(NEXT) | instid1(VALU_DEP_4)
	v_fmac_f64_e32 v[12:13], v[58:59], v[70:71]
	v_fmac_f64_e32 v[10:11], v[66:67], v[70:71]
	s_delay_alu instid0(VALU_DEP_4) | instskip(NEXT) | instid1(VALU_DEP_4)
	v_fmac_f64_e32 v[8:9], v[38:39], v[70:71]
	;; [unrolled: 3-line block ×3, first 2 shown]
	v_fmac_f64_e32 v[10:11], v[68:69], v[72:73]
	s_delay_alu instid0(VALU_DEP_4)
	v_fmac_f64_e32 v[8:9], v[40:41], v[72:73]
	s_and_not1_b32 exec_lo, exec_lo, s2
	s_cbranch_execnz .LBB68_15
; %bb.16:
	s_or_b32 exec_lo, exec_lo, s2
.LBB68_17:
	s_delay_alu instid0(SALU_CYCLE_1)
	s_or_b32 exec_lo, exec_lo, s3
.LBB68_18:
	v_mbcnt_lo_u32_b32 v24, -1, 0
	s_delay_alu instid0(VALU_DEP_1) | instskip(NEXT) | instid1(VALU_DEP_1)
	v_xor_b32_e32 v14, 4, v24
	v_cmp_gt_i32_e32 vcc_lo, 32, v14
	v_cndmask_b32_e32 v14, v24, v14, vcc_lo
	s_delay_alu instid0(VALU_DEP_1)
	v_lshlrev_b32_e32 v21, 2, v14
	ds_bpermute_b32 v14, v21, v0
	ds_bpermute_b32 v15, v21, v1
	;; [unrolled: 1-line block ×4, first 2 shown]
	s_wait_dscnt 0x2
	v_add_f64_e32 v[0:1], v[0:1], v[14:15]
	s_wait_dscnt 0x0
	v_add_f64_e32 v[14:15], v[12:13], v[16:17]
	ds_bpermute_b32 v18, v21, v10
	ds_bpermute_b32 v19, v21, v11
	;; [unrolled: 1-line block ×4, first 2 shown]
	s_wait_dscnt 0x2
	v_dual_add_f64 v[16:17], v[10:11], v[18:19] :: v_dual_bitop2_b32 v10, 2, v24 bitop3:0x14
	s_delay_alu instid0(VALU_DEP_1) | instskip(SKIP_2) | instid1(VALU_DEP_1)
	v_cmp_gt_i32_e32 vcc_lo, 32, v10
	v_cndmask_b32_e32 v10, v24, v10, vcc_lo
	s_wait_dscnt 0x0
	v_dual_add_f64 v[8:9], v[8:9], v[20:21] :: v_dual_lshlrev_b32 v12, 2, v10
	ds_bpermute_b32 v10, v12, v0
	ds_bpermute_b32 v11, v12, v1
	;; [unrolled: 1-line block ×8, first 2 shown]
	s_wait_dscnt 0x6
	v_add_f64_e32 v[12:13], v[0:1], v[10:11]
	s_wait_dscnt 0x4
	v_dual_add_f64 v[10:11], v[14:15], v[18:19] :: v_dual_bitop2_b32 v14, 1, v24 bitop3:0x14
	s_delay_alu instid0(VALU_DEP_1) | instskip(SKIP_4) | instid1(VALU_DEP_3)
	v_cmp_gt_i32_e32 vcc_lo, 32, v14
	v_cndmask_b32_e32 v14, v24, v14, vcc_lo
	s_wait_dscnt 0x2
	v_add_f64_e32 v[0:1], v[16:17], v[20:21]
	v_cmp_eq_u32_e32 vcc_lo, 7, v7
	v_lshlrev_b32_e32 v15, 2, v14
	s_wait_dscnt 0x0
	v_add_f64_e32 v[8:9], v[8:9], v[22:23]
	ds_bpermute_b32 v20, v15, v12
	ds_bpermute_b32 v21, v15, v13
	;; [unrolled: 1-line block ×8, first 2 shown]
	s_and_b32 exec_lo, exec_lo, vcc_lo
	s_cbranch_execz .LBB68_23
; %bb.19:
	s_wait_dscnt 0x6
	v_add_f64_e32 v[12:13], v[12:13], v[20:21]
	s_wait_dscnt 0x4
	v_add_f64_e32 v[10:11], v[10:11], v[18:19]
	s_wait_dscnt 0x2
	v_add_f64_e32 v[0:1], v[0:1], v[16:17]
	s_wait_dscnt 0x0
	v_add_f64_e32 v[8:9], v[8:9], v[14:15]
	s_load_b64 s[0:1], s[0:1], 0x38
	s_mov_b32 s2, exec_lo
	v_cmpx_eq_f64_e32 0, v[4:5]
	s_xor_b32 s2, exec_lo, s2
	s_cbranch_execz .LBB68_21
; %bb.20:
	v_dual_mul_f64 v[12:13], v[2:3], v[12:13] :: v_dual_lshlrev_b32 v4, 2, v6
	v_mul_f64_e32 v[14:15], v[2:3], v[10:11]
	v_mul_f64_e32 v[0:1], v[2:3], v[0:1]
	;; [unrolled: 1-line block ×3, first 2 shown]
                                        ; implicit-def: $vgpr6
                                        ; implicit-def: $vgpr10_vgpr11
                                        ; implicit-def: $vgpr8_vgpr9
	s_delay_alu instid0(VALU_DEP_4) | instskip(SKIP_1) | instid1(VALU_DEP_1)
	v_ashrrev_i32_e32 v5, 31, v4
	s_wait_kmcnt 0x0
	v_lshl_add_u64 v[4:5], v[4:5], 3, s[0:1]
	s_clause 0x1
	global_store_b128 v[4:5], v[12:15], off
	global_store_b128 v[4:5], v[0:3], off offset:16
                                        ; implicit-def: $vgpr2_vgpr3
                                        ; implicit-def: $vgpr12_vgpr13
                                        ; implicit-def: $vgpr4_vgpr5
                                        ; implicit-def: $vgpr0_vgpr1
.LBB68_21:
	s_wait_xcnt 0x0
	s_and_not1_saveexec_b32 s2, s2
	s_cbranch_execz .LBB68_23
; %bb.22:
	v_dual_mul_f64 v[22:23], v[2:3], v[12:13] :: v_dual_lshlrev_b32 v6, 2, v6
	v_mul_f64_e32 v[24:25], v[2:3], v[10:11]
	v_mul_f64_e32 v[0:1], v[2:3], v[0:1]
	s_delay_alu instid0(VALU_DEP_3) | instskip(SKIP_1) | instid1(VALU_DEP_1)
	v_dual_mul_f64 v[2:3], v[2:3], v[8:9] :: v_dual_ashrrev_i32 v7, 31, v6
	s_wait_kmcnt 0x0
	v_lshl_add_u64 v[6:7], v[6:7], 3, s[0:1]
	s_clause 0x1
	global_load_b128 v[14:17], v[6:7], off
	global_load_b128 v[18:21], v[6:7], off offset:16
	s_wait_loadcnt 0x1
	v_fmac_f64_e32 v[22:23], v[4:5], v[14:15]
	v_fmac_f64_e32 v[24:25], v[4:5], v[16:17]
	s_wait_loadcnt 0x0
	v_fmac_f64_e32 v[0:1], v[4:5], v[18:19]
	v_fmac_f64_e32 v[2:3], v[4:5], v[20:21]
	s_clause 0x1
	global_store_b128 v[6:7], v[22:25], off
	global_store_b128 v[6:7], v[0:3], off offset:16
.LBB68_23:
	s_sendmsg sendmsg(MSG_DEALLOC_VGPRS)
	s_endpgm
	.section	.rodata,"a",@progbits
	.p2align	6, 0x0
	.amdhsa_kernel _ZN9rocsparseL19gebsrmvn_4xn_kernelILj128ELj8ELj8EdEEvi20rocsparse_direction_NS_24const_host_device_scalarIT2_EEPKiS6_PKS3_S8_S4_PS3_21rocsparse_index_base_b
		.amdhsa_group_segment_fixed_size 0
		.amdhsa_private_segment_fixed_size 0
		.amdhsa_kernarg_size 72
		.amdhsa_user_sgpr_count 2
		.amdhsa_user_sgpr_dispatch_ptr 0
		.amdhsa_user_sgpr_queue_ptr 0
		.amdhsa_user_sgpr_kernarg_segment_ptr 1
		.amdhsa_user_sgpr_dispatch_id 0
		.amdhsa_user_sgpr_kernarg_preload_length 0
		.amdhsa_user_sgpr_kernarg_preload_offset 0
		.amdhsa_user_sgpr_private_segment_size 0
		.amdhsa_wavefront_size32 1
		.amdhsa_uses_dynamic_stack 0
		.amdhsa_enable_private_segment 0
		.amdhsa_system_sgpr_workgroup_id_x 1
		.amdhsa_system_sgpr_workgroup_id_y 0
		.amdhsa_system_sgpr_workgroup_id_z 0
		.amdhsa_system_sgpr_workgroup_info 0
		.amdhsa_system_vgpr_workitem_id 0
		.amdhsa_next_free_vgpr 104
		.amdhsa_next_free_sgpr 14
		.amdhsa_named_barrier_count 0
		.amdhsa_reserve_vcc 1
		.amdhsa_float_round_mode_32 0
		.amdhsa_float_round_mode_16_64 0
		.amdhsa_float_denorm_mode_32 3
		.amdhsa_float_denorm_mode_16_64 3
		.amdhsa_fp16_overflow 0
		.amdhsa_memory_ordered 1
		.amdhsa_forward_progress 1
		.amdhsa_inst_pref_size 17
		.amdhsa_round_robin_scheduling 0
		.amdhsa_exception_fp_ieee_invalid_op 0
		.amdhsa_exception_fp_denorm_src 0
		.amdhsa_exception_fp_ieee_div_zero 0
		.amdhsa_exception_fp_ieee_overflow 0
		.amdhsa_exception_fp_ieee_underflow 0
		.amdhsa_exception_fp_ieee_inexact 0
		.amdhsa_exception_int_div_zero 0
	.end_amdhsa_kernel
	.section	.text._ZN9rocsparseL19gebsrmvn_4xn_kernelILj128ELj8ELj8EdEEvi20rocsparse_direction_NS_24const_host_device_scalarIT2_EEPKiS6_PKS3_S8_S4_PS3_21rocsparse_index_base_b,"axG",@progbits,_ZN9rocsparseL19gebsrmvn_4xn_kernelILj128ELj8ELj8EdEEvi20rocsparse_direction_NS_24const_host_device_scalarIT2_EEPKiS6_PKS3_S8_S4_PS3_21rocsparse_index_base_b,comdat
.Lfunc_end68:
	.size	_ZN9rocsparseL19gebsrmvn_4xn_kernelILj128ELj8ELj8EdEEvi20rocsparse_direction_NS_24const_host_device_scalarIT2_EEPKiS6_PKS3_S8_S4_PS3_21rocsparse_index_base_b, .Lfunc_end68-_ZN9rocsparseL19gebsrmvn_4xn_kernelILj128ELj8ELj8EdEEvi20rocsparse_direction_NS_24const_host_device_scalarIT2_EEPKiS6_PKS3_S8_S4_PS3_21rocsparse_index_base_b
                                        ; -- End function
	.set _ZN9rocsparseL19gebsrmvn_4xn_kernelILj128ELj8ELj8EdEEvi20rocsparse_direction_NS_24const_host_device_scalarIT2_EEPKiS6_PKS3_S8_S4_PS3_21rocsparse_index_base_b.num_vgpr, 104
	.set _ZN9rocsparseL19gebsrmvn_4xn_kernelILj128ELj8ELj8EdEEvi20rocsparse_direction_NS_24const_host_device_scalarIT2_EEPKiS6_PKS3_S8_S4_PS3_21rocsparse_index_base_b.num_agpr, 0
	.set _ZN9rocsparseL19gebsrmvn_4xn_kernelILj128ELj8ELj8EdEEvi20rocsparse_direction_NS_24const_host_device_scalarIT2_EEPKiS6_PKS3_S8_S4_PS3_21rocsparse_index_base_b.numbered_sgpr, 14
	.set _ZN9rocsparseL19gebsrmvn_4xn_kernelILj128ELj8ELj8EdEEvi20rocsparse_direction_NS_24const_host_device_scalarIT2_EEPKiS6_PKS3_S8_S4_PS3_21rocsparse_index_base_b.num_named_barrier, 0
	.set _ZN9rocsparseL19gebsrmvn_4xn_kernelILj128ELj8ELj8EdEEvi20rocsparse_direction_NS_24const_host_device_scalarIT2_EEPKiS6_PKS3_S8_S4_PS3_21rocsparse_index_base_b.private_seg_size, 0
	.set _ZN9rocsparseL19gebsrmvn_4xn_kernelILj128ELj8ELj8EdEEvi20rocsparse_direction_NS_24const_host_device_scalarIT2_EEPKiS6_PKS3_S8_S4_PS3_21rocsparse_index_base_b.uses_vcc, 1
	.set _ZN9rocsparseL19gebsrmvn_4xn_kernelILj128ELj8ELj8EdEEvi20rocsparse_direction_NS_24const_host_device_scalarIT2_EEPKiS6_PKS3_S8_S4_PS3_21rocsparse_index_base_b.uses_flat_scratch, 0
	.set _ZN9rocsparseL19gebsrmvn_4xn_kernelILj128ELj8ELj8EdEEvi20rocsparse_direction_NS_24const_host_device_scalarIT2_EEPKiS6_PKS3_S8_S4_PS3_21rocsparse_index_base_b.has_dyn_sized_stack, 0
	.set _ZN9rocsparseL19gebsrmvn_4xn_kernelILj128ELj8ELj8EdEEvi20rocsparse_direction_NS_24const_host_device_scalarIT2_EEPKiS6_PKS3_S8_S4_PS3_21rocsparse_index_base_b.has_recursion, 0
	.set _ZN9rocsparseL19gebsrmvn_4xn_kernelILj128ELj8ELj8EdEEvi20rocsparse_direction_NS_24const_host_device_scalarIT2_EEPKiS6_PKS3_S8_S4_PS3_21rocsparse_index_base_b.has_indirect_call, 0
	.section	.AMDGPU.csdata,"",@progbits
; Kernel info:
; codeLenInByte = 2156
; TotalNumSgprs: 16
; NumVgprs: 104
; ScratchSize: 0
; MemoryBound: 1
; FloatMode: 240
; IeeeMode: 1
; LDSByteSize: 0 bytes/workgroup (compile time only)
; SGPRBlocks: 0
; VGPRBlocks: 6
; NumSGPRsForWavesPerEU: 16
; NumVGPRsForWavesPerEU: 104
; NamedBarCnt: 0
; Occupancy: 9
; WaveLimiterHint : 1
; COMPUTE_PGM_RSRC2:SCRATCH_EN: 0
; COMPUTE_PGM_RSRC2:USER_SGPR: 2
; COMPUTE_PGM_RSRC2:TRAP_HANDLER: 0
; COMPUTE_PGM_RSRC2:TGID_X_EN: 1
; COMPUTE_PGM_RSRC2:TGID_Y_EN: 0
; COMPUTE_PGM_RSRC2:TGID_Z_EN: 0
; COMPUTE_PGM_RSRC2:TIDIG_COMP_CNT: 0
	.section	.text._ZN9rocsparseL19gebsrmvn_4xn_kernelILj128ELj8ELj16EdEEvi20rocsparse_direction_NS_24const_host_device_scalarIT2_EEPKiS6_PKS3_S8_S4_PS3_21rocsparse_index_base_b,"axG",@progbits,_ZN9rocsparseL19gebsrmvn_4xn_kernelILj128ELj8ELj16EdEEvi20rocsparse_direction_NS_24const_host_device_scalarIT2_EEPKiS6_PKS3_S8_S4_PS3_21rocsparse_index_base_b,comdat
	.globl	_ZN9rocsparseL19gebsrmvn_4xn_kernelILj128ELj8ELj16EdEEvi20rocsparse_direction_NS_24const_host_device_scalarIT2_EEPKiS6_PKS3_S8_S4_PS3_21rocsparse_index_base_b ; -- Begin function _ZN9rocsparseL19gebsrmvn_4xn_kernelILj128ELj8ELj16EdEEvi20rocsparse_direction_NS_24const_host_device_scalarIT2_EEPKiS6_PKS3_S8_S4_PS3_21rocsparse_index_base_b
	.p2align	8
	.type	_ZN9rocsparseL19gebsrmvn_4xn_kernelILj128ELj8ELj16EdEEvi20rocsparse_direction_NS_24const_host_device_scalarIT2_EEPKiS6_PKS3_S8_S4_PS3_21rocsparse_index_base_b,@function
_ZN9rocsparseL19gebsrmvn_4xn_kernelILj128ELj8ELj16EdEEvi20rocsparse_direction_NS_24const_host_device_scalarIT2_EEPKiS6_PKS3_S8_S4_PS3_21rocsparse_index_base_b: ; @_ZN9rocsparseL19gebsrmvn_4xn_kernelILj128ELj8ELj16EdEEvi20rocsparse_direction_NS_24const_host_device_scalarIT2_EEPKiS6_PKS3_S8_S4_PS3_21rocsparse_index_base_b
; %bb.0:
	s_clause 0x2
	s_load_b64 s[12:13], s[0:1], 0x40
	s_load_b64 s[4:5], s[0:1], 0x8
	;; [unrolled: 1-line block ×3, first 2 shown]
	s_wait_kmcnt 0x0
	s_bitcmp1_b32 s13, 0
	v_mov_b64_e32 v[2:3], s[4:5]
	s_cselect_b32 s6, -1, 0
	s_delay_alu instid0(SALU_CYCLE_1)
	s_and_b32 vcc_lo, exec_lo, s6
	s_xor_b32 s6, s6, -1
	s_cbranch_vccnz .LBB69_2
; %bb.1:
	v_mov_b32_e32 v1, 0
	flat_load_b64 v[2:3], v1, s[4:5]
.LBB69_2:
	v_mov_b64_e32 v[4:5], s[2:3]
	s_and_not1_b32 vcc_lo, exec_lo, s6
	s_cbranch_vccnz .LBB69_4
; %bb.3:
	s_wait_xcnt 0x0
	v_mov_b32_e32 v1, 0
	flat_load_b64 v[4:5], v1, s[2:3]
.LBB69_4:
	s_wait_loadcnt_dscnt 0x0
	v_cmp_neq_f64_e32 vcc_lo, 0, v[2:3]
	s_delay_alu instid0(VALU_DEP_2) | instskip(SKIP_1) | instid1(SALU_CYCLE_1)
	v_cmp_neq_f64_e64 s2, 1.0, v[4:5]
	s_or_b32 s2, vcc_lo, s2
	s_and_saveexec_b32 s3, s2
	s_cbranch_execz .LBB69_23
; %bb.5:
	s_load_b64 s[2:3], s[0:1], 0x0
	s_bfe_u32 s4, ttmp6, 0x4000c
	s_and_b32 s5, ttmp6, 15
	s_add_co_i32 s4, s4, 1
	s_getreg_b32 s6, hwreg(HW_REG_IB_STS2, 6, 4)
	s_mul_i32 s4, ttmp9, s4
	v_lshrrev_b32_e32 v1, 4, v0
	s_add_co_i32 s5, s5, s4
	s_cmp_eq_u32 s6, 0
	s_cselect_b32 s4, ttmp9, s5
	s_delay_alu instid0(VALU_DEP_1) | instid1(SALU_CYCLE_1)
	v_lshl_or_b32 v6, s4, 3, v1
	s_wait_kmcnt 0x0
	s_delay_alu instid0(VALU_DEP_1)
	v_cmp_gt_i32_e32 vcc_lo, s2, v6
	s_and_b32 exec_lo, exec_lo, vcc_lo
	s_cbranch_execz .LBB69_23
; %bb.6:
	s_load_b256 s[4:11], s[0:1], 0x10
	v_ashrrev_i32_e32 v7, 31, v6
	s_cmp_lg_u32 s3, 0
	s_wait_kmcnt 0x0
	s_delay_alu instid0(VALU_DEP_1)
	v_lshl_add_u64 v[8:9], v[6:7], 2, s[4:5]
	v_and_b32_e32 v7, 15, v0
	global_load_b64 v[8:9], v[8:9], off
	s_wait_loadcnt 0x0
	v_subrev_nc_u32_e32 v0, s12, v8
	v_subrev_nc_u32_e32 v16, s12, v9
	s_delay_alu instid0(VALU_DEP_2) | instskip(NEXT) | instid1(VALU_DEP_1)
	v_add_nc_u32_e32 v17, v0, v7
	v_cmp_lt_i32_e64 s2, v17, v16
	s_cbranch_scc0 .LBB69_12
; %bb.7:
	v_mov_b64_e32 v[0:1], 0
	v_mov_b64_e32 v[8:9], 0
	;; [unrolled: 1-line block ×4, first 2 shown]
	s_and_saveexec_b32 s3, s2
	s_cbranch_execz .LBB69_11
; %bb.8:
	v_mov_b64_e32 v[0:1], 0
	v_mov_b64_e32 v[8:9], 0
	;; [unrolled: 1-line block ×4, first 2 shown]
	v_dual_mov_b32 v15, 0 :: v_dual_lshlrev_b32 v14, 5, v17
	v_mov_b32_e32 v18, v17
	s_mov_b32 s4, 0
.LBB69_9:                               ; =>This Inner Loop Header: Depth=1
	global_load_b32 v19, v18, s[6:7] scale_offset
	v_lshl_add_u64 v[100:101], v[14:15], 3, s[8:9]
	s_wait_xcnt 0x0
	v_add_nc_u32_e32 v18, 16, v18
	v_add_nc_u32_e32 v14, 0x200, v14
	global_load_b128 v[20:23], v[100:101], off offset:16
	v_cmp_ge_i32_e32 vcc_lo, v18, v16
	s_or_b32 s4, vcc_lo, s4
	s_wait_loadcnt 0x1
	v_subrev_nc_u32_e32 v19, s12, v19
	s_delay_alu instid0(VALU_DEP_1) | instskip(NEXT) | instid1(VALU_DEP_1)
	v_dual_mov_b32 v25, v15 :: v_dual_lshlrev_b32 v24, 3, v19
	v_lshl_add_u64 v[102:103], v[24:25], 3, s[10:11]
	global_load_b128 v[24:27], v[100:101], off
	global_load_b128 v[28:31], v[102:103], off
	s_clause 0x3
	global_load_b128 v[32:35], v[100:101], off offset:32
	global_load_b128 v[36:39], v[100:101], off offset:48
	global_load_b128 v[40:43], v[100:101], off offset:64
	global_load_b128 v[44:47], v[100:101], off offset:80
	global_load_b128 v[48:51], v[102:103], off offset:16
	s_clause 0x3
	global_load_b128 v[52:55], v[100:101], off offset:96
	global_load_b128 v[56:59], v[100:101], off offset:112
	global_load_b128 v[60:63], v[100:101], off offset:144
	global_load_b128 v[64:67], v[100:101], off offset:128
	global_load_b128 v[68:71], v[102:103], off offset:32
	;; [unrolled: 6-line block ×3, first 2 shown]
	s_clause 0x1
	global_load_b128 v[92:95], v[100:101], off offset:224
	global_load_b128 v[96:99], v[100:101], off offset:240
	s_wait_loadcnt 0x11
	v_fmac_f64_e32 v[0:1], v[24:25], v[28:29]
	v_fmac_f64_e32 v[12:13], v[26:27], v[28:29]
	;; [unrolled: 1-line block ×4, first 2 shown]
	s_wait_loadcnt 0x10
	s_delay_alu instid0(VALU_DEP_4) | instskip(NEXT) | instid1(VALU_DEP_4)
	v_fmac_f64_e32 v[0:1], v[32:33], v[30:31]
	v_fmac_f64_e32 v[12:13], v[34:35], v[30:31]
	s_wait_loadcnt 0xf
	s_delay_alu instid0(VALU_DEP_4) | instskip(NEXT) | instid1(VALU_DEP_4)
	v_fmac_f64_e32 v[10:11], v[36:37], v[30:31]
	v_fmac_f64_e32 v[8:9], v[38:39], v[30:31]
	s_wait_loadcnt 0xc
	s_delay_alu instid0(VALU_DEP_4) | instskip(NEXT) | instid1(VALU_DEP_4)
	v_fmac_f64_e32 v[0:1], v[40:41], v[48:49]
	v_fmac_f64_e32 v[12:13], v[42:43], v[48:49]
	s_delay_alu instid0(VALU_DEP_4) | instskip(NEXT) | instid1(VALU_DEP_4)
	v_fmac_f64_e32 v[10:11], v[44:45], v[48:49]
	v_fmac_f64_e32 v[8:9], v[46:47], v[48:49]
	s_wait_loadcnt 0xb
	s_delay_alu instid0(VALU_DEP_4) | instskip(NEXT) | instid1(VALU_DEP_4)
	v_fmac_f64_e32 v[0:1], v[52:53], v[50:51]
	v_fmac_f64_e32 v[12:13], v[54:55], v[50:51]
	s_wait_loadcnt 0xa
	s_delay_alu instid0(VALU_DEP_4) | instskip(NEXT) | instid1(VALU_DEP_4)
	v_fmac_f64_e32 v[10:11], v[56:57], v[50:51]
	v_fmac_f64_e32 v[8:9], v[58:59], v[50:51]
	s_wait_loadcnt 0x7
	s_delay_alu instid0(VALU_DEP_4) | instskip(NEXT) | instid1(VALU_DEP_4)
	v_fmac_f64_e32 v[0:1], v[64:65], v[68:69]
	v_fmac_f64_e32 v[12:13], v[66:67], v[68:69]
	s_delay_alu instid0(VALU_DEP_4) | instskip(NEXT) | instid1(VALU_DEP_4)
	v_fmac_f64_e32 v[10:11], v[60:61], v[68:69]
	v_fmac_f64_e32 v[8:9], v[62:63], v[68:69]
	;; [unrolled: 15-line block ×3, first 2 shown]
	s_wait_loadcnt 0x1
	s_delay_alu instid0(VALU_DEP_4) | instskip(NEXT) | instid1(VALU_DEP_4)
	v_fmac_f64_e32 v[0:1], v[92:93], v[90:91]
	v_fmac_f64_e32 v[12:13], v[94:95], v[90:91]
	s_wait_loadcnt 0x0
	s_delay_alu instid0(VALU_DEP_4) | instskip(NEXT) | instid1(VALU_DEP_4)
	v_fmac_f64_e32 v[10:11], v[96:97], v[90:91]
	v_fmac_f64_e32 v[8:9], v[98:99], v[90:91]
	s_and_not1_b32 exec_lo, exec_lo, s4
	s_cbranch_execnz .LBB69_9
; %bb.10:
	s_or_b32 exec_lo, exec_lo, s4
.LBB69_11:
	s_delay_alu instid0(SALU_CYCLE_1)
	s_or_b32 exec_lo, exec_lo, s3
	s_cbranch_execz .LBB69_13
	s_branch .LBB69_18
.LBB69_12:
                                        ; implicit-def: $vgpr0_vgpr1
                                        ; implicit-def: $vgpr8_vgpr9
                                        ; implicit-def: $vgpr10_vgpr11
                                        ; implicit-def: $vgpr12_vgpr13
.LBB69_13:
	v_mov_b64_e32 v[0:1], 0
	v_mov_b64_e32 v[8:9], 0
	;; [unrolled: 1-line block ×4, first 2 shown]
	s_and_saveexec_b32 s3, s2
	s_cbranch_execz .LBB69_17
; %bb.14:
	v_mov_b64_e32 v[0:1], 0
	v_mov_b64_e32 v[8:9], 0
	;; [unrolled: 1-line block ×4, first 2 shown]
	v_dual_mov_b32 v15, 0 :: v_dual_lshlrev_b32 v14, 5, v17
	s_mov_b32 s2, 0
.LBB69_15:                              ; =>This Inner Loop Header: Depth=1
	global_load_b32 v70, v17, s[6:7] scale_offset
	v_lshl_add_u64 v[78:79], v[14:15], 3, s[8:9]
	s_wait_xcnt 0x0
	v_add_nc_u32_e32 v17, 16, v17
	v_add_nc_u32_e32 v14, 0x200, v14
	s_clause 0xc
	global_load_b128 v[18:21], v[78:79], off offset:48
	global_load_b128 v[22:25], v[78:79], off offset:32
	;; [unrolled: 1-line block ×3, first 2 shown]
	global_load_b128 v[30:33], v[78:79], off
	global_load_b128 v[34:37], v[78:79], off offset:80
	global_load_b128 v[38:41], v[78:79], off offset:64
	;; [unrolled: 1-line block ×9, first 2 shown]
	v_cmp_ge_i32_e32 vcc_lo, v17, v16
	s_or_b32 s2, vcc_lo, s2
	s_wait_loadcnt 0xd
	v_subrev_nc_u32_e32 v70, s12, v70
	s_delay_alu instid0(VALU_DEP_1) | instskip(NEXT) | instid1(VALU_DEP_1)
	v_dual_mov_b32 v71, v15 :: v_dual_lshlrev_b32 v70, 3, v70
	v_lshl_add_u64 v[80:81], v[70:71], 3, s[10:11]
	s_clause 0x1
	global_load_b128 v[70:73], v[80:81], off
	global_load_b128 v[74:77], v[80:81], off offset:16
	s_wait_loadcnt 0x1
	v_fmac_f64_e32 v[0:1], v[30:31], v[70:71]
	v_fmac_f64_e32 v[10:11], v[46:47], v[70:71]
	;; [unrolled: 1-line block ×4, first 2 shown]
	s_delay_alu instid0(VALU_DEP_4)
	v_fmac_f64_e32 v[0:1], v[32:33], v[72:73]
	global_load_b128 v[30:33], v[78:79], off offset:160
	v_fmac_f64_e32 v[10:11], v[48:49], v[72:73]
	global_load_b128 v[46:49], v[78:79], off offset:224
	;; [unrolled: 2-line block ×3, first 2 shown]
	v_fmac_f64_e32 v[8:9], v[56:57], v[72:73]
	s_clause 0x1
	global_load_b128 v[54:57], v[80:81], off offset:32
	global_load_b128 v[70:73], v[80:81], off offset:48
	s_wait_loadcnt 0x5
	v_fmac_f64_e32 v[0:1], v[26:27], v[74:75]
	v_fmac_f64_e32 v[10:11], v[42:43], v[74:75]
	;; [unrolled: 1-line block ×4, first 2 shown]
	s_delay_alu instid0(VALU_DEP_4) | instskip(NEXT) | instid1(VALU_DEP_4)
	v_fmac_f64_e32 v[0:1], v[28:29], v[76:77]
	v_fmac_f64_e32 v[10:11], v[44:45], v[76:77]
	s_delay_alu instid0(VALU_DEP_4) | instskip(NEXT) | instid1(VALU_DEP_4)
	v_fmac_f64_e32 v[12:13], v[36:37], v[76:77]
	v_fmac_f64_e32 v[8:9], v[52:53], v[76:77]
	s_wait_loadcnt 0x1
	s_delay_alu instid0(VALU_DEP_4) | instskip(NEXT) | instid1(VALU_DEP_3)
	v_fmac_f64_e32 v[0:1], v[22:23], v[54:55]
	v_fmac_f64_e32 v[12:13], v[62:63], v[54:55]
	;; [unrolled: 1-line block ×3, first 2 shown]
	s_delay_alu instid0(VALU_DEP_4) | instskip(NEXT) | instid1(VALU_DEP_4)
	v_fmac_f64_e32 v[8:9], v[46:47], v[54:55]
	v_fmac_f64_e32 v[0:1], v[24:25], v[56:57]
	s_delay_alu instid0(VALU_DEP_4) | instskip(NEXT) | instid1(VALU_DEP_4)
	v_fmac_f64_e32 v[12:13], v[64:65], v[56:57]
	v_fmac_f64_e32 v[10:11], v[32:33], v[56:57]
	s_delay_alu instid0(VALU_DEP_4) | instskip(SKIP_1) | instid1(VALU_DEP_4)
	v_fmac_f64_e32 v[8:9], v[48:49], v[56:57]
	s_wait_loadcnt 0x0
	v_fmac_f64_e32 v[0:1], v[18:19], v[70:71]
	s_delay_alu instid0(VALU_DEP_4) | instskip(NEXT) | instid1(VALU_DEP_4)
	v_fmac_f64_e32 v[12:13], v[58:59], v[70:71]
	v_fmac_f64_e32 v[10:11], v[66:67], v[70:71]
	s_delay_alu instid0(VALU_DEP_4) | instskip(NEXT) | instid1(VALU_DEP_4)
	v_fmac_f64_e32 v[8:9], v[38:39], v[70:71]
	;; [unrolled: 3-line block ×3, first 2 shown]
	v_fmac_f64_e32 v[10:11], v[68:69], v[72:73]
	s_delay_alu instid0(VALU_DEP_4)
	v_fmac_f64_e32 v[8:9], v[40:41], v[72:73]
	s_and_not1_b32 exec_lo, exec_lo, s2
	s_cbranch_execnz .LBB69_15
; %bb.16:
	s_or_b32 exec_lo, exec_lo, s2
.LBB69_17:
	s_delay_alu instid0(SALU_CYCLE_1)
	s_or_b32 exec_lo, exec_lo, s3
.LBB69_18:
	v_mbcnt_lo_u32_b32 v24, -1, 0
	s_delay_alu instid0(VALU_DEP_1) | instskip(NEXT) | instid1(VALU_DEP_1)
	v_xor_b32_e32 v14, 8, v24
	v_cmp_gt_i32_e32 vcc_lo, 32, v14
	v_cndmask_b32_e32 v14, v24, v14, vcc_lo
	s_delay_alu instid0(VALU_DEP_1)
	v_lshlrev_b32_e32 v21, 2, v14
	ds_bpermute_b32 v16, v21, v12
	ds_bpermute_b32 v17, v21, v13
	s_wait_dscnt 0x0
	v_add_f64_e32 v[12:13], v[12:13], v[16:17]
	ds_bpermute_b32 v14, v21, v0
	ds_bpermute_b32 v15, v21, v1
	ds_bpermute_b32 v18, v21, v10
	ds_bpermute_b32 v19, v21, v11
	ds_bpermute_b32 v20, v21, v8
	ds_bpermute_b32 v21, v21, v9
	s_wait_dscnt 0x4
	v_dual_add_f64 v[0:1], v[0:1], v[14:15] :: v_dual_bitop2_b32 v14, 4, v24 bitop3:0x14
	s_wait_dscnt 0x2
	v_add_f64_e32 v[10:11], v[10:11], v[18:19]
	s_delay_alu instid0(VALU_DEP_2) | instskip(SKIP_2) | instid1(VALU_DEP_1)
	v_cmp_gt_i32_e32 vcc_lo, 32, v14
	v_cndmask_b32_e32 v14, v24, v14, vcc_lo
	s_wait_dscnt 0x0
	v_dual_add_f64 v[8:9], v[8:9], v[20:21] :: v_dual_lshlrev_b32 v21, 2, v14
	ds_bpermute_b32 v16, v21, v12
	ds_bpermute_b32 v17, v21, v13
	;; [unrolled: 1-line block ×8, first 2 shown]
	s_wait_dscnt 0x4
	v_add_f64_e32 v[0:1], v[0:1], v[14:15]
	v_add_f64_e32 v[14:15], v[12:13], v[16:17]
	s_wait_dscnt 0x2
	v_dual_add_f64 v[16:17], v[10:11], v[18:19] :: v_dual_bitop2_b32 v10, 2, v24 bitop3:0x14
	s_delay_alu instid0(VALU_DEP_1) | instskip(SKIP_3) | instid1(VALU_DEP_1)
	v_cmp_gt_i32_e32 vcc_lo, 32, v10
	s_wait_dscnt 0x0
	v_add_f64_e32 v[8:9], v[8:9], v[20:21]
	v_cndmask_b32_e32 v10, v24, v10, vcc_lo
	v_lshlrev_b32_e32 v12, 2, v10
	ds_bpermute_b32 v10, v12, v0
	ds_bpermute_b32 v11, v12, v1
	;; [unrolled: 1-line block ×8, first 2 shown]
	s_wait_dscnt 0x6
	v_add_f64_e32 v[12:13], v[0:1], v[10:11]
	s_wait_dscnt 0x4
	v_dual_add_f64 v[10:11], v[14:15], v[18:19] :: v_dual_bitop2_b32 v14, 1, v24 bitop3:0x14
	s_wait_dscnt 0x2
	v_add_f64_e32 v[0:1], v[16:17], v[20:21]
	s_delay_alu instid0(VALU_DEP_2) | instskip(SKIP_2) | instid1(VALU_DEP_2)
	v_cmp_gt_i32_e32 vcc_lo, 32, v14
	v_cndmask_b32_e32 v14, v24, v14, vcc_lo
	v_cmp_eq_u32_e32 vcc_lo, 15, v7
	v_lshlrev_b32_e32 v15, 2, v14
	s_wait_dscnt 0x0
	v_add_f64_e32 v[8:9], v[8:9], v[22:23]
	ds_bpermute_b32 v20, v15, v12
	ds_bpermute_b32 v21, v15, v13
	;; [unrolled: 1-line block ×8, first 2 shown]
	s_and_b32 exec_lo, exec_lo, vcc_lo
	s_cbranch_execz .LBB69_23
; %bb.19:
	s_wait_dscnt 0x6
	v_add_f64_e32 v[12:13], v[12:13], v[20:21]
	s_wait_dscnt 0x4
	v_add_f64_e32 v[10:11], v[10:11], v[18:19]
	;; [unrolled: 2-line block ×4, first 2 shown]
	s_load_b64 s[0:1], s[0:1], 0x38
	s_mov_b32 s2, exec_lo
	v_cmpx_eq_f64_e32 0, v[4:5]
	s_xor_b32 s2, exec_lo, s2
	s_cbranch_execz .LBB69_21
; %bb.20:
	v_dual_mul_f64 v[12:13], v[2:3], v[12:13] :: v_dual_lshlrev_b32 v4, 2, v6
	v_mul_f64_e32 v[14:15], v[2:3], v[10:11]
	v_mul_f64_e32 v[0:1], v[2:3], v[0:1]
	;; [unrolled: 1-line block ×3, first 2 shown]
                                        ; implicit-def: $vgpr6
                                        ; implicit-def: $vgpr10_vgpr11
                                        ; implicit-def: $vgpr8_vgpr9
	s_delay_alu instid0(VALU_DEP_4) | instskip(SKIP_1) | instid1(VALU_DEP_1)
	v_ashrrev_i32_e32 v5, 31, v4
	s_wait_kmcnt 0x0
	v_lshl_add_u64 v[4:5], v[4:5], 3, s[0:1]
	s_clause 0x1
	global_store_b128 v[4:5], v[12:15], off
	global_store_b128 v[4:5], v[0:3], off offset:16
                                        ; implicit-def: $vgpr2_vgpr3
                                        ; implicit-def: $vgpr12_vgpr13
                                        ; implicit-def: $vgpr4_vgpr5
                                        ; implicit-def: $vgpr0_vgpr1
.LBB69_21:
	s_wait_xcnt 0x0
	s_and_not1_saveexec_b32 s2, s2
	s_cbranch_execz .LBB69_23
; %bb.22:
	v_dual_mul_f64 v[22:23], v[2:3], v[12:13] :: v_dual_lshlrev_b32 v6, 2, v6
	v_mul_f64_e32 v[24:25], v[2:3], v[10:11]
	v_mul_f64_e32 v[0:1], v[2:3], v[0:1]
	s_delay_alu instid0(VALU_DEP_3) | instskip(SKIP_1) | instid1(VALU_DEP_1)
	v_dual_mul_f64 v[2:3], v[2:3], v[8:9] :: v_dual_ashrrev_i32 v7, 31, v6
	s_wait_kmcnt 0x0
	v_lshl_add_u64 v[6:7], v[6:7], 3, s[0:1]
	s_clause 0x1
	global_load_b128 v[14:17], v[6:7], off
	global_load_b128 v[18:21], v[6:7], off offset:16
	s_wait_loadcnt 0x1
	v_fmac_f64_e32 v[22:23], v[4:5], v[14:15]
	v_fmac_f64_e32 v[24:25], v[4:5], v[16:17]
	s_wait_loadcnt 0x0
	v_fmac_f64_e32 v[0:1], v[4:5], v[18:19]
	v_fmac_f64_e32 v[2:3], v[4:5], v[20:21]
	s_clause 0x1
	global_store_b128 v[6:7], v[22:25], off
	global_store_b128 v[6:7], v[0:3], off offset:16
.LBB69_23:
	s_sendmsg sendmsg(MSG_DEALLOC_VGPRS)
	s_endpgm
	.section	.rodata,"a",@progbits
	.p2align	6, 0x0
	.amdhsa_kernel _ZN9rocsparseL19gebsrmvn_4xn_kernelILj128ELj8ELj16EdEEvi20rocsparse_direction_NS_24const_host_device_scalarIT2_EEPKiS6_PKS3_S8_S4_PS3_21rocsparse_index_base_b
		.amdhsa_group_segment_fixed_size 0
		.amdhsa_private_segment_fixed_size 0
		.amdhsa_kernarg_size 72
		.amdhsa_user_sgpr_count 2
		.amdhsa_user_sgpr_dispatch_ptr 0
		.amdhsa_user_sgpr_queue_ptr 0
		.amdhsa_user_sgpr_kernarg_segment_ptr 1
		.amdhsa_user_sgpr_dispatch_id 0
		.amdhsa_user_sgpr_kernarg_preload_length 0
		.amdhsa_user_sgpr_kernarg_preload_offset 0
		.amdhsa_user_sgpr_private_segment_size 0
		.amdhsa_wavefront_size32 1
		.amdhsa_uses_dynamic_stack 0
		.amdhsa_enable_private_segment 0
		.amdhsa_system_sgpr_workgroup_id_x 1
		.amdhsa_system_sgpr_workgroup_id_y 0
		.amdhsa_system_sgpr_workgroup_id_z 0
		.amdhsa_system_sgpr_workgroup_info 0
		.amdhsa_system_vgpr_workitem_id 0
		.amdhsa_next_free_vgpr 104
		.amdhsa_next_free_sgpr 14
		.amdhsa_named_barrier_count 0
		.amdhsa_reserve_vcc 1
		.amdhsa_float_round_mode_32 0
		.amdhsa_float_round_mode_16_64 0
		.amdhsa_float_denorm_mode_32 3
		.amdhsa_float_denorm_mode_16_64 3
		.amdhsa_fp16_overflow 0
		.amdhsa_memory_ordered 1
		.amdhsa_forward_progress 1
		.amdhsa_inst_pref_size 18
		.amdhsa_round_robin_scheduling 0
		.amdhsa_exception_fp_ieee_invalid_op 0
		.amdhsa_exception_fp_denorm_src 0
		.amdhsa_exception_fp_ieee_div_zero 0
		.amdhsa_exception_fp_ieee_overflow 0
		.amdhsa_exception_fp_ieee_underflow 0
		.amdhsa_exception_fp_ieee_inexact 0
		.amdhsa_exception_int_div_zero 0
	.end_amdhsa_kernel
	.section	.text._ZN9rocsparseL19gebsrmvn_4xn_kernelILj128ELj8ELj16EdEEvi20rocsparse_direction_NS_24const_host_device_scalarIT2_EEPKiS6_PKS3_S8_S4_PS3_21rocsparse_index_base_b,"axG",@progbits,_ZN9rocsparseL19gebsrmvn_4xn_kernelILj128ELj8ELj16EdEEvi20rocsparse_direction_NS_24const_host_device_scalarIT2_EEPKiS6_PKS3_S8_S4_PS3_21rocsparse_index_base_b,comdat
.Lfunc_end69:
	.size	_ZN9rocsparseL19gebsrmvn_4xn_kernelILj128ELj8ELj16EdEEvi20rocsparse_direction_NS_24const_host_device_scalarIT2_EEPKiS6_PKS3_S8_S4_PS3_21rocsparse_index_base_b, .Lfunc_end69-_ZN9rocsparseL19gebsrmvn_4xn_kernelILj128ELj8ELj16EdEEvi20rocsparse_direction_NS_24const_host_device_scalarIT2_EEPKiS6_PKS3_S8_S4_PS3_21rocsparse_index_base_b
                                        ; -- End function
	.set _ZN9rocsparseL19gebsrmvn_4xn_kernelILj128ELj8ELj16EdEEvi20rocsparse_direction_NS_24const_host_device_scalarIT2_EEPKiS6_PKS3_S8_S4_PS3_21rocsparse_index_base_b.num_vgpr, 104
	.set _ZN9rocsparseL19gebsrmvn_4xn_kernelILj128ELj8ELj16EdEEvi20rocsparse_direction_NS_24const_host_device_scalarIT2_EEPKiS6_PKS3_S8_S4_PS3_21rocsparse_index_base_b.num_agpr, 0
	.set _ZN9rocsparseL19gebsrmvn_4xn_kernelILj128ELj8ELj16EdEEvi20rocsparse_direction_NS_24const_host_device_scalarIT2_EEPKiS6_PKS3_S8_S4_PS3_21rocsparse_index_base_b.numbered_sgpr, 14
	.set _ZN9rocsparseL19gebsrmvn_4xn_kernelILj128ELj8ELj16EdEEvi20rocsparse_direction_NS_24const_host_device_scalarIT2_EEPKiS6_PKS3_S8_S4_PS3_21rocsparse_index_base_b.num_named_barrier, 0
	.set _ZN9rocsparseL19gebsrmvn_4xn_kernelILj128ELj8ELj16EdEEvi20rocsparse_direction_NS_24const_host_device_scalarIT2_EEPKiS6_PKS3_S8_S4_PS3_21rocsparse_index_base_b.private_seg_size, 0
	.set _ZN9rocsparseL19gebsrmvn_4xn_kernelILj128ELj8ELj16EdEEvi20rocsparse_direction_NS_24const_host_device_scalarIT2_EEPKiS6_PKS3_S8_S4_PS3_21rocsparse_index_base_b.uses_vcc, 1
	.set _ZN9rocsparseL19gebsrmvn_4xn_kernelILj128ELj8ELj16EdEEvi20rocsparse_direction_NS_24const_host_device_scalarIT2_EEPKiS6_PKS3_S8_S4_PS3_21rocsparse_index_base_b.uses_flat_scratch, 0
	.set _ZN9rocsparseL19gebsrmvn_4xn_kernelILj128ELj8ELj16EdEEvi20rocsparse_direction_NS_24const_host_device_scalarIT2_EEPKiS6_PKS3_S8_S4_PS3_21rocsparse_index_base_b.has_dyn_sized_stack, 0
	.set _ZN9rocsparseL19gebsrmvn_4xn_kernelILj128ELj8ELj16EdEEvi20rocsparse_direction_NS_24const_host_device_scalarIT2_EEPKiS6_PKS3_S8_S4_PS3_21rocsparse_index_base_b.has_recursion, 0
	.set _ZN9rocsparseL19gebsrmvn_4xn_kernelILj128ELj8ELj16EdEEvi20rocsparse_direction_NS_24const_host_device_scalarIT2_EEPKiS6_PKS3_S8_S4_PS3_21rocsparse_index_base_b.has_indirect_call, 0
	.section	.AMDGPU.csdata,"",@progbits
; Kernel info:
; codeLenInByte = 2272
; TotalNumSgprs: 16
; NumVgprs: 104
; ScratchSize: 0
; MemoryBound: 1
; FloatMode: 240
; IeeeMode: 1
; LDSByteSize: 0 bytes/workgroup (compile time only)
; SGPRBlocks: 0
; VGPRBlocks: 6
; NumSGPRsForWavesPerEU: 16
; NumVGPRsForWavesPerEU: 104
; NamedBarCnt: 0
; Occupancy: 9
; WaveLimiterHint : 1
; COMPUTE_PGM_RSRC2:SCRATCH_EN: 0
; COMPUTE_PGM_RSRC2:USER_SGPR: 2
; COMPUTE_PGM_RSRC2:TRAP_HANDLER: 0
; COMPUTE_PGM_RSRC2:TGID_X_EN: 1
; COMPUTE_PGM_RSRC2:TGID_Y_EN: 0
; COMPUTE_PGM_RSRC2:TGID_Z_EN: 0
; COMPUTE_PGM_RSRC2:TIDIG_COMP_CNT: 0
	.section	.text._ZN9rocsparseL19gebsrmvn_4xn_kernelILj128ELj8ELj32EdEEvi20rocsparse_direction_NS_24const_host_device_scalarIT2_EEPKiS6_PKS3_S8_S4_PS3_21rocsparse_index_base_b,"axG",@progbits,_ZN9rocsparseL19gebsrmvn_4xn_kernelILj128ELj8ELj32EdEEvi20rocsparse_direction_NS_24const_host_device_scalarIT2_EEPKiS6_PKS3_S8_S4_PS3_21rocsparse_index_base_b,comdat
	.globl	_ZN9rocsparseL19gebsrmvn_4xn_kernelILj128ELj8ELj32EdEEvi20rocsparse_direction_NS_24const_host_device_scalarIT2_EEPKiS6_PKS3_S8_S4_PS3_21rocsparse_index_base_b ; -- Begin function _ZN9rocsparseL19gebsrmvn_4xn_kernelILj128ELj8ELj32EdEEvi20rocsparse_direction_NS_24const_host_device_scalarIT2_EEPKiS6_PKS3_S8_S4_PS3_21rocsparse_index_base_b
	.p2align	8
	.type	_ZN9rocsparseL19gebsrmvn_4xn_kernelILj128ELj8ELj32EdEEvi20rocsparse_direction_NS_24const_host_device_scalarIT2_EEPKiS6_PKS3_S8_S4_PS3_21rocsparse_index_base_b,@function
_ZN9rocsparseL19gebsrmvn_4xn_kernelILj128ELj8ELj32EdEEvi20rocsparse_direction_NS_24const_host_device_scalarIT2_EEPKiS6_PKS3_S8_S4_PS3_21rocsparse_index_base_b: ; @_ZN9rocsparseL19gebsrmvn_4xn_kernelILj128ELj8ELj32EdEEvi20rocsparse_direction_NS_24const_host_device_scalarIT2_EEPKiS6_PKS3_S8_S4_PS3_21rocsparse_index_base_b
; %bb.0:
	s_clause 0x2
	s_load_b64 s[12:13], s[0:1], 0x40
	s_load_b64 s[4:5], s[0:1], 0x8
	s_load_b64 s[2:3], s[0:1], 0x30
	s_wait_kmcnt 0x0
	s_bitcmp1_b32 s13, 0
	v_mov_b64_e32 v[2:3], s[4:5]
	s_cselect_b32 s6, -1, 0
	s_delay_alu instid0(SALU_CYCLE_1)
	s_and_b32 vcc_lo, exec_lo, s6
	s_xor_b32 s6, s6, -1
	s_cbranch_vccnz .LBB70_2
; %bb.1:
	v_mov_b32_e32 v1, 0
	flat_load_b64 v[2:3], v1, s[4:5]
.LBB70_2:
	v_mov_b64_e32 v[4:5], s[2:3]
	s_and_not1_b32 vcc_lo, exec_lo, s6
	s_cbranch_vccnz .LBB70_4
; %bb.3:
	s_wait_xcnt 0x0
	v_mov_b32_e32 v1, 0
	flat_load_b64 v[4:5], v1, s[2:3]
.LBB70_4:
	s_wait_loadcnt_dscnt 0x0
	v_cmp_neq_f64_e32 vcc_lo, 0, v[2:3]
	s_delay_alu instid0(VALU_DEP_2) | instskip(SKIP_1) | instid1(SALU_CYCLE_1)
	v_cmp_neq_f64_e64 s2, 1.0, v[4:5]
	s_or_b32 s2, vcc_lo, s2
	s_and_saveexec_b32 s3, s2
	s_cbranch_execz .LBB70_23
; %bb.5:
	s_load_b64 s[2:3], s[0:1], 0x0
	s_bfe_u32 s4, ttmp6, 0x4000c
	s_and_b32 s5, ttmp6, 15
	s_add_co_i32 s4, s4, 1
	s_getreg_b32 s6, hwreg(HW_REG_IB_STS2, 6, 4)
	s_mul_i32 s4, ttmp9, s4
	v_lshrrev_b32_e32 v1, 5, v0
	s_add_co_i32 s5, s5, s4
	s_cmp_eq_u32 s6, 0
	s_cselect_b32 s4, ttmp9, s5
	s_delay_alu instid0(VALU_DEP_1) | instid1(SALU_CYCLE_1)
	v_lshl_or_b32 v6, s4, 2, v1
	s_wait_kmcnt 0x0
	s_delay_alu instid0(VALU_DEP_1)
	v_cmp_gt_i32_e32 vcc_lo, s2, v6
	s_and_b32 exec_lo, exec_lo, vcc_lo
	s_cbranch_execz .LBB70_23
; %bb.6:
	s_load_b256 s[4:11], s[0:1], 0x10
	v_ashrrev_i32_e32 v7, 31, v6
	s_cmp_lg_u32 s3, 0
	s_wait_kmcnt 0x0
	s_delay_alu instid0(VALU_DEP_1)
	v_lshl_add_u64 v[8:9], v[6:7], 2, s[4:5]
	v_and_b32_e32 v7, 31, v0
	global_load_b64 v[8:9], v[8:9], off
	s_wait_loadcnt 0x0
	v_subrev_nc_u32_e32 v0, s12, v8
	v_subrev_nc_u32_e32 v16, s12, v9
	s_delay_alu instid0(VALU_DEP_2) | instskip(NEXT) | instid1(VALU_DEP_1)
	v_add_nc_u32_e32 v17, v0, v7
	v_cmp_lt_i32_e64 s2, v17, v16
	s_cbranch_scc0 .LBB70_12
; %bb.7:
	v_mov_b64_e32 v[0:1], 0
	v_mov_b64_e32 v[8:9], 0
	;; [unrolled: 1-line block ×4, first 2 shown]
	s_and_saveexec_b32 s3, s2
	s_cbranch_execz .LBB70_11
; %bb.8:
	v_mov_b64_e32 v[0:1], 0
	v_mov_b64_e32 v[8:9], 0
	v_mov_b64_e32 v[10:11], 0
	v_mov_b64_e32 v[12:13], 0
	v_dual_mov_b32 v15, 0 :: v_dual_lshlrev_b32 v14, 5, v17
	v_mov_b32_e32 v18, v17
	s_mov_b32 s4, 0
.LBB70_9:                               ; =>This Inner Loop Header: Depth=1
	global_load_b32 v19, v18, s[6:7] scale_offset
	v_lshl_add_u64 v[100:101], v[14:15], 3, s[8:9]
	s_wait_xcnt 0x0
	v_add_nc_u32_e32 v18, 32, v18
	v_add_nc_u32_e32 v14, 0x400, v14
	global_load_b128 v[20:23], v[100:101], off offset:16
	v_cmp_ge_i32_e32 vcc_lo, v18, v16
	s_or_b32 s4, vcc_lo, s4
	s_wait_loadcnt 0x1
	v_subrev_nc_u32_e32 v19, s12, v19
	s_delay_alu instid0(VALU_DEP_1) | instskip(NEXT) | instid1(VALU_DEP_1)
	v_dual_mov_b32 v25, v15 :: v_dual_lshlrev_b32 v24, 3, v19
	v_lshl_add_u64 v[102:103], v[24:25], 3, s[10:11]
	global_load_b128 v[24:27], v[100:101], off
	global_load_b128 v[28:31], v[102:103], off
	s_clause 0x3
	global_load_b128 v[32:35], v[100:101], off offset:32
	global_load_b128 v[36:39], v[100:101], off offset:48
	global_load_b128 v[40:43], v[100:101], off offset:64
	global_load_b128 v[44:47], v[100:101], off offset:80
	global_load_b128 v[48:51], v[102:103], off offset:16
	s_clause 0x3
	global_load_b128 v[52:55], v[100:101], off offset:96
	global_load_b128 v[56:59], v[100:101], off offset:112
	global_load_b128 v[60:63], v[100:101], off offset:144
	global_load_b128 v[64:67], v[100:101], off offset:128
	global_load_b128 v[68:71], v[102:103], off offset:32
	;; [unrolled: 6-line block ×3, first 2 shown]
	s_clause 0x1
	global_load_b128 v[92:95], v[100:101], off offset:224
	global_load_b128 v[96:99], v[100:101], off offset:240
	s_wait_loadcnt 0x11
	v_fmac_f64_e32 v[0:1], v[24:25], v[28:29]
	v_fmac_f64_e32 v[12:13], v[26:27], v[28:29]
	;; [unrolled: 1-line block ×4, first 2 shown]
	s_wait_loadcnt 0x10
	s_delay_alu instid0(VALU_DEP_4) | instskip(NEXT) | instid1(VALU_DEP_4)
	v_fmac_f64_e32 v[0:1], v[32:33], v[30:31]
	v_fmac_f64_e32 v[12:13], v[34:35], v[30:31]
	s_wait_loadcnt 0xf
	s_delay_alu instid0(VALU_DEP_4) | instskip(NEXT) | instid1(VALU_DEP_4)
	v_fmac_f64_e32 v[10:11], v[36:37], v[30:31]
	v_fmac_f64_e32 v[8:9], v[38:39], v[30:31]
	s_wait_loadcnt 0xc
	s_delay_alu instid0(VALU_DEP_4) | instskip(NEXT) | instid1(VALU_DEP_4)
	v_fmac_f64_e32 v[0:1], v[40:41], v[48:49]
	v_fmac_f64_e32 v[12:13], v[42:43], v[48:49]
	s_delay_alu instid0(VALU_DEP_4) | instskip(NEXT) | instid1(VALU_DEP_4)
	v_fmac_f64_e32 v[10:11], v[44:45], v[48:49]
	v_fmac_f64_e32 v[8:9], v[46:47], v[48:49]
	s_wait_loadcnt 0xb
	s_delay_alu instid0(VALU_DEP_4) | instskip(NEXT) | instid1(VALU_DEP_4)
	v_fmac_f64_e32 v[0:1], v[52:53], v[50:51]
	v_fmac_f64_e32 v[12:13], v[54:55], v[50:51]
	s_wait_loadcnt 0xa
	s_delay_alu instid0(VALU_DEP_4) | instskip(NEXT) | instid1(VALU_DEP_4)
	v_fmac_f64_e32 v[10:11], v[56:57], v[50:51]
	v_fmac_f64_e32 v[8:9], v[58:59], v[50:51]
	s_wait_loadcnt 0x7
	s_delay_alu instid0(VALU_DEP_4) | instskip(NEXT) | instid1(VALU_DEP_4)
	v_fmac_f64_e32 v[0:1], v[64:65], v[68:69]
	v_fmac_f64_e32 v[12:13], v[66:67], v[68:69]
	s_delay_alu instid0(VALU_DEP_4) | instskip(NEXT) | instid1(VALU_DEP_4)
	v_fmac_f64_e32 v[10:11], v[60:61], v[68:69]
	v_fmac_f64_e32 v[8:9], v[62:63], v[68:69]
	;; [unrolled: 15-line block ×3, first 2 shown]
	s_wait_loadcnt 0x1
	s_delay_alu instid0(VALU_DEP_4) | instskip(NEXT) | instid1(VALU_DEP_4)
	v_fmac_f64_e32 v[0:1], v[92:93], v[90:91]
	v_fmac_f64_e32 v[12:13], v[94:95], v[90:91]
	s_wait_loadcnt 0x0
	s_delay_alu instid0(VALU_DEP_4) | instskip(NEXT) | instid1(VALU_DEP_4)
	v_fmac_f64_e32 v[10:11], v[96:97], v[90:91]
	v_fmac_f64_e32 v[8:9], v[98:99], v[90:91]
	s_and_not1_b32 exec_lo, exec_lo, s4
	s_cbranch_execnz .LBB70_9
; %bb.10:
	s_or_b32 exec_lo, exec_lo, s4
.LBB70_11:
	s_delay_alu instid0(SALU_CYCLE_1)
	s_or_b32 exec_lo, exec_lo, s3
	s_cbranch_execz .LBB70_13
	s_branch .LBB70_18
.LBB70_12:
                                        ; implicit-def: $vgpr0_vgpr1
                                        ; implicit-def: $vgpr8_vgpr9
                                        ; implicit-def: $vgpr10_vgpr11
                                        ; implicit-def: $vgpr12_vgpr13
.LBB70_13:
	v_mov_b64_e32 v[0:1], 0
	v_mov_b64_e32 v[8:9], 0
	;; [unrolled: 1-line block ×4, first 2 shown]
	s_and_saveexec_b32 s3, s2
	s_cbranch_execz .LBB70_17
; %bb.14:
	v_mov_b64_e32 v[0:1], 0
	v_mov_b64_e32 v[8:9], 0
	;; [unrolled: 1-line block ×4, first 2 shown]
	v_dual_mov_b32 v15, 0 :: v_dual_lshlrev_b32 v14, 5, v17
	s_mov_b32 s2, 0
.LBB70_15:                              ; =>This Inner Loop Header: Depth=1
	global_load_b32 v70, v17, s[6:7] scale_offset
	v_lshl_add_u64 v[78:79], v[14:15], 3, s[8:9]
	s_wait_xcnt 0x0
	v_add_nc_u32_e32 v17, 32, v17
	v_add_nc_u32_e32 v14, 0x400, v14
	s_clause 0xc
	global_load_b128 v[18:21], v[78:79], off offset:48
	global_load_b128 v[22:25], v[78:79], off offset:32
	;; [unrolled: 1-line block ×3, first 2 shown]
	global_load_b128 v[30:33], v[78:79], off
	global_load_b128 v[34:37], v[78:79], off offset:80
	global_load_b128 v[38:41], v[78:79], off offset:64
	;; [unrolled: 1-line block ×9, first 2 shown]
	v_cmp_ge_i32_e32 vcc_lo, v17, v16
	s_or_b32 s2, vcc_lo, s2
	s_wait_loadcnt 0xd
	v_subrev_nc_u32_e32 v70, s12, v70
	s_delay_alu instid0(VALU_DEP_1) | instskip(NEXT) | instid1(VALU_DEP_1)
	v_dual_mov_b32 v71, v15 :: v_dual_lshlrev_b32 v70, 3, v70
	v_lshl_add_u64 v[80:81], v[70:71], 3, s[10:11]
	s_clause 0x1
	global_load_b128 v[70:73], v[80:81], off
	global_load_b128 v[74:77], v[80:81], off offset:16
	s_wait_loadcnt 0x1
	v_fmac_f64_e32 v[0:1], v[30:31], v[70:71]
	v_fmac_f64_e32 v[10:11], v[46:47], v[70:71]
	v_fmac_f64_e32 v[12:13], v[38:39], v[70:71]
	v_fmac_f64_e32 v[8:9], v[54:55], v[70:71]
	s_delay_alu instid0(VALU_DEP_4)
	v_fmac_f64_e32 v[0:1], v[32:33], v[72:73]
	global_load_b128 v[30:33], v[78:79], off offset:160
	v_fmac_f64_e32 v[10:11], v[48:49], v[72:73]
	global_load_b128 v[46:49], v[78:79], off offset:224
	;; [unrolled: 2-line block ×3, first 2 shown]
	v_fmac_f64_e32 v[8:9], v[56:57], v[72:73]
	s_clause 0x1
	global_load_b128 v[54:57], v[80:81], off offset:32
	global_load_b128 v[70:73], v[80:81], off offset:48
	s_wait_loadcnt 0x5
	v_fmac_f64_e32 v[0:1], v[26:27], v[74:75]
	v_fmac_f64_e32 v[10:11], v[42:43], v[74:75]
	;; [unrolled: 1-line block ×4, first 2 shown]
	s_delay_alu instid0(VALU_DEP_4) | instskip(NEXT) | instid1(VALU_DEP_4)
	v_fmac_f64_e32 v[0:1], v[28:29], v[76:77]
	v_fmac_f64_e32 v[10:11], v[44:45], v[76:77]
	s_delay_alu instid0(VALU_DEP_4) | instskip(NEXT) | instid1(VALU_DEP_4)
	v_fmac_f64_e32 v[12:13], v[36:37], v[76:77]
	v_fmac_f64_e32 v[8:9], v[52:53], v[76:77]
	s_wait_loadcnt 0x1
	s_delay_alu instid0(VALU_DEP_4) | instskip(NEXT) | instid1(VALU_DEP_3)
	v_fmac_f64_e32 v[0:1], v[22:23], v[54:55]
	v_fmac_f64_e32 v[12:13], v[62:63], v[54:55]
	;; [unrolled: 1-line block ×3, first 2 shown]
	s_delay_alu instid0(VALU_DEP_4) | instskip(NEXT) | instid1(VALU_DEP_4)
	v_fmac_f64_e32 v[8:9], v[46:47], v[54:55]
	v_fmac_f64_e32 v[0:1], v[24:25], v[56:57]
	s_delay_alu instid0(VALU_DEP_4) | instskip(NEXT) | instid1(VALU_DEP_4)
	v_fmac_f64_e32 v[12:13], v[64:65], v[56:57]
	v_fmac_f64_e32 v[10:11], v[32:33], v[56:57]
	s_delay_alu instid0(VALU_DEP_4) | instskip(SKIP_1) | instid1(VALU_DEP_4)
	v_fmac_f64_e32 v[8:9], v[48:49], v[56:57]
	s_wait_loadcnt 0x0
	v_fmac_f64_e32 v[0:1], v[18:19], v[70:71]
	s_delay_alu instid0(VALU_DEP_4) | instskip(NEXT) | instid1(VALU_DEP_4)
	v_fmac_f64_e32 v[12:13], v[58:59], v[70:71]
	v_fmac_f64_e32 v[10:11], v[66:67], v[70:71]
	s_delay_alu instid0(VALU_DEP_4) | instskip(NEXT) | instid1(VALU_DEP_4)
	v_fmac_f64_e32 v[8:9], v[38:39], v[70:71]
	;; [unrolled: 3-line block ×3, first 2 shown]
	v_fmac_f64_e32 v[10:11], v[68:69], v[72:73]
	s_delay_alu instid0(VALU_DEP_4)
	v_fmac_f64_e32 v[8:9], v[40:41], v[72:73]
	s_and_not1_b32 exec_lo, exec_lo, s2
	s_cbranch_execnz .LBB70_15
; %bb.16:
	s_or_b32 exec_lo, exec_lo, s2
.LBB70_17:
	s_delay_alu instid0(SALU_CYCLE_1)
	s_or_b32 exec_lo, exec_lo, s3
.LBB70_18:
	v_mbcnt_lo_u32_b32 v24, -1, 0
	s_delay_alu instid0(VALU_DEP_1) | instskip(NEXT) | instid1(VALU_DEP_1)
	v_xor_b32_e32 v14, 16, v24
	v_cmp_gt_i32_e32 vcc_lo, 32, v14
	v_cndmask_b32_e32 v14, v24, v14, vcc_lo
	s_delay_alu instid0(VALU_DEP_1)
	v_lshlrev_b32_e32 v21, 2, v14
	ds_bpermute_b32 v16, v21, v12
	ds_bpermute_b32 v17, v21, v13
	s_wait_dscnt 0x0
	v_add_f64_e32 v[12:13], v[12:13], v[16:17]
	ds_bpermute_b32 v14, v21, v0
	ds_bpermute_b32 v15, v21, v1
	;; [unrolled: 1-line block ×6, first 2 shown]
	s_wait_dscnt 0x4
	v_dual_add_f64 v[0:1], v[0:1], v[14:15] :: v_dual_bitop2_b32 v14, 8, v24 bitop3:0x14
	s_wait_dscnt 0x2
	v_add_f64_e32 v[10:11], v[10:11], v[18:19]
	s_delay_alu instid0(VALU_DEP_2) | instskip(SKIP_2) | instid1(VALU_DEP_1)
	v_cmp_gt_i32_e32 vcc_lo, 32, v14
	v_cndmask_b32_e32 v14, v24, v14, vcc_lo
	s_wait_dscnt 0x0
	v_dual_add_f64 v[8:9], v[8:9], v[20:21] :: v_dual_lshlrev_b32 v21, 2, v14
	ds_bpermute_b32 v16, v21, v12
	ds_bpermute_b32 v17, v21, v13
	;; [unrolled: 1-line block ×8, first 2 shown]
	s_wait_dscnt 0x4
	v_dual_add_f64 v[0:1], v[0:1], v[14:15] :: v_dual_bitop2_b32 v14, 4, v24 bitop3:0x14
	s_wait_dscnt 0x2
	v_add_f64_e32 v[10:11], v[10:11], v[18:19]
	s_delay_alu instid0(VALU_DEP_2) | instskip(SKIP_3) | instid1(VALU_DEP_2)
	v_cmp_gt_i32_e32 vcc_lo, 32, v14
	v_cndmask_b32_e32 v14, v24, v14, vcc_lo
	v_add_f64_e32 v[12:13], v[12:13], v[16:17]
	s_wait_dscnt 0x0
	v_dual_add_f64 v[8:9], v[8:9], v[20:21] :: v_dual_lshlrev_b32 v21, 2, v14
	ds_bpermute_b32 v14, v21, v0
	ds_bpermute_b32 v15, v21, v1
	ds_bpermute_b32 v18, v21, v10
	ds_bpermute_b32 v19, v21, v11
	ds_bpermute_b32 v16, v21, v12
	ds_bpermute_b32 v17, v21, v13
	s_wait_dscnt 0x4
	v_add_f64_e32 v[0:1], v[0:1], v[14:15]
	s_wait_dscnt 0x0
	v_add_f64_e32 v[14:15], v[12:13], v[16:17]
	v_dual_add_f64 v[16:17], v[10:11], v[18:19] :: v_dual_bitop2_b32 v10, 2, v24 bitop3:0x14
	s_delay_alu instid0(VALU_DEP_1) | instskip(SKIP_1) | instid1(VALU_DEP_1)
	v_cmp_gt_i32_e32 vcc_lo, 32, v10
	v_cndmask_b32_e32 v10, v24, v10, vcc_lo
	v_lshlrev_b32_e32 v12, 2, v10
	ds_bpermute_b32 v20, v21, v8
	ds_bpermute_b32 v21, v21, v9
	;; [unrolled: 1-line block ×6, first 2 shown]
	s_wait_dscnt 0x4
	v_add_f64_e32 v[8:9], v[8:9], v[20:21]
	ds_bpermute_b32 v20, v12, v16
	ds_bpermute_b32 v21, v12, v17
	ds_bpermute_b32 v22, v12, v8
	ds_bpermute_b32 v23, v12, v9
	s_wait_dscnt 0x6
	v_add_f64_e32 v[12:13], v[0:1], v[10:11]
	s_wait_dscnt 0x4
	v_dual_add_f64 v[10:11], v[14:15], v[18:19] :: v_dual_bitop2_b32 v14, 1, v24 bitop3:0x14
	s_wait_dscnt 0x2
	v_add_f64_e32 v[0:1], v[16:17], v[20:21]
	s_delay_alu instid0(VALU_DEP_2) | instskip(SKIP_2) | instid1(VALU_DEP_2)
	v_cmp_gt_i32_e32 vcc_lo, 32, v14
	v_cndmask_b32_e32 v14, v24, v14, vcc_lo
	v_cmp_eq_u32_e32 vcc_lo, 31, v7
	v_lshlrev_b32_e32 v15, 2, v14
	s_wait_dscnt 0x0
	v_add_f64_e32 v[8:9], v[8:9], v[22:23]
	ds_bpermute_b32 v20, v15, v12
	ds_bpermute_b32 v21, v15, v13
	;; [unrolled: 1-line block ×8, first 2 shown]
	s_and_b32 exec_lo, exec_lo, vcc_lo
	s_cbranch_execz .LBB70_23
; %bb.19:
	s_wait_dscnt 0x6
	v_add_f64_e32 v[12:13], v[12:13], v[20:21]
	s_wait_dscnt 0x4
	v_add_f64_e32 v[10:11], v[10:11], v[18:19]
	s_wait_dscnt 0x2
	v_add_f64_e32 v[0:1], v[0:1], v[16:17]
	s_wait_dscnt 0x0
	v_add_f64_e32 v[8:9], v[8:9], v[14:15]
	s_load_b64 s[0:1], s[0:1], 0x38
	s_mov_b32 s2, exec_lo
	v_cmpx_eq_f64_e32 0, v[4:5]
	s_xor_b32 s2, exec_lo, s2
	s_cbranch_execz .LBB70_21
; %bb.20:
	v_dual_mul_f64 v[12:13], v[2:3], v[12:13] :: v_dual_lshlrev_b32 v4, 2, v6
	v_mul_f64_e32 v[14:15], v[2:3], v[10:11]
	v_mul_f64_e32 v[0:1], v[2:3], v[0:1]
	v_mul_f64_e32 v[2:3], v[2:3], v[8:9]
                                        ; implicit-def: $vgpr6
                                        ; implicit-def: $vgpr10_vgpr11
                                        ; implicit-def: $vgpr8_vgpr9
	s_delay_alu instid0(VALU_DEP_4) | instskip(SKIP_1) | instid1(VALU_DEP_1)
	v_ashrrev_i32_e32 v5, 31, v4
	s_wait_kmcnt 0x0
	v_lshl_add_u64 v[4:5], v[4:5], 3, s[0:1]
	s_clause 0x1
	global_store_b128 v[4:5], v[12:15], off
	global_store_b128 v[4:5], v[0:3], off offset:16
                                        ; implicit-def: $vgpr2_vgpr3
                                        ; implicit-def: $vgpr12_vgpr13
                                        ; implicit-def: $vgpr4_vgpr5
                                        ; implicit-def: $vgpr0_vgpr1
.LBB70_21:
	s_wait_xcnt 0x0
	s_and_not1_saveexec_b32 s2, s2
	s_cbranch_execz .LBB70_23
; %bb.22:
	v_dual_mul_f64 v[22:23], v[2:3], v[12:13] :: v_dual_lshlrev_b32 v6, 2, v6
	v_mul_f64_e32 v[24:25], v[2:3], v[10:11]
	v_mul_f64_e32 v[0:1], v[2:3], v[0:1]
	s_delay_alu instid0(VALU_DEP_3) | instskip(SKIP_1) | instid1(VALU_DEP_1)
	v_dual_mul_f64 v[2:3], v[2:3], v[8:9] :: v_dual_ashrrev_i32 v7, 31, v6
	s_wait_kmcnt 0x0
	v_lshl_add_u64 v[6:7], v[6:7], 3, s[0:1]
	s_clause 0x1
	global_load_b128 v[14:17], v[6:7], off
	global_load_b128 v[18:21], v[6:7], off offset:16
	s_wait_loadcnt 0x1
	v_fmac_f64_e32 v[22:23], v[4:5], v[14:15]
	v_fmac_f64_e32 v[24:25], v[4:5], v[16:17]
	s_wait_loadcnt 0x0
	v_fmac_f64_e32 v[0:1], v[4:5], v[18:19]
	v_fmac_f64_e32 v[2:3], v[4:5], v[20:21]
	s_clause 0x1
	global_store_b128 v[6:7], v[22:25], off
	global_store_b128 v[6:7], v[0:3], off offset:16
.LBB70_23:
	s_sendmsg sendmsg(MSG_DEALLOC_VGPRS)
	s_endpgm
	.section	.rodata,"a",@progbits
	.p2align	6, 0x0
	.amdhsa_kernel _ZN9rocsparseL19gebsrmvn_4xn_kernelILj128ELj8ELj32EdEEvi20rocsparse_direction_NS_24const_host_device_scalarIT2_EEPKiS6_PKS3_S8_S4_PS3_21rocsparse_index_base_b
		.amdhsa_group_segment_fixed_size 0
		.amdhsa_private_segment_fixed_size 0
		.amdhsa_kernarg_size 72
		.amdhsa_user_sgpr_count 2
		.amdhsa_user_sgpr_dispatch_ptr 0
		.amdhsa_user_sgpr_queue_ptr 0
		.amdhsa_user_sgpr_kernarg_segment_ptr 1
		.amdhsa_user_sgpr_dispatch_id 0
		.amdhsa_user_sgpr_kernarg_preload_length 0
		.amdhsa_user_sgpr_kernarg_preload_offset 0
		.amdhsa_user_sgpr_private_segment_size 0
		.amdhsa_wavefront_size32 1
		.amdhsa_uses_dynamic_stack 0
		.amdhsa_enable_private_segment 0
		.amdhsa_system_sgpr_workgroup_id_x 1
		.amdhsa_system_sgpr_workgroup_id_y 0
		.amdhsa_system_sgpr_workgroup_id_z 0
		.amdhsa_system_sgpr_workgroup_info 0
		.amdhsa_system_vgpr_workitem_id 0
		.amdhsa_next_free_vgpr 104
		.amdhsa_next_free_sgpr 14
		.amdhsa_named_barrier_count 0
		.amdhsa_reserve_vcc 1
		.amdhsa_float_round_mode_32 0
		.amdhsa_float_round_mode_16_64 0
		.amdhsa_float_denorm_mode_32 3
		.amdhsa_float_denorm_mode_16_64 3
		.amdhsa_fp16_overflow 0
		.amdhsa_memory_ordered 1
		.amdhsa_forward_progress 1
		.amdhsa_inst_pref_size 19
		.amdhsa_round_robin_scheduling 0
		.amdhsa_exception_fp_ieee_invalid_op 0
		.amdhsa_exception_fp_denorm_src 0
		.amdhsa_exception_fp_ieee_div_zero 0
		.amdhsa_exception_fp_ieee_overflow 0
		.amdhsa_exception_fp_ieee_underflow 0
		.amdhsa_exception_fp_ieee_inexact 0
		.amdhsa_exception_int_div_zero 0
	.end_amdhsa_kernel
	.section	.text._ZN9rocsparseL19gebsrmvn_4xn_kernelILj128ELj8ELj32EdEEvi20rocsparse_direction_NS_24const_host_device_scalarIT2_EEPKiS6_PKS3_S8_S4_PS3_21rocsparse_index_base_b,"axG",@progbits,_ZN9rocsparseL19gebsrmvn_4xn_kernelILj128ELj8ELj32EdEEvi20rocsparse_direction_NS_24const_host_device_scalarIT2_EEPKiS6_PKS3_S8_S4_PS3_21rocsparse_index_base_b,comdat
.Lfunc_end70:
	.size	_ZN9rocsparseL19gebsrmvn_4xn_kernelILj128ELj8ELj32EdEEvi20rocsparse_direction_NS_24const_host_device_scalarIT2_EEPKiS6_PKS3_S8_S4_PS3_21rocsparse_index_base_b, .Lfunc_end70-_ZN9rocsparseL19gebsrmvn_4xn_kernelILj128ELj8ELj32EdEEvi20rocsparse_direction_NS_24const_host_device_scalarIT2_EEPKiS6_PKS3_S8_S4_PS3_21rocsparse_index_base_b
                                        ; -- End function
	.set _ZN9rocsparseL19gebsrmvn_4xn_kernelILj128ELj8ELj32EdEEvi20rocsparse_direction_NS_24const_host_device_scalarIT2_EEPKiS6_PKS3_S8_S4_PS3_21rocsparse_index_base_b.num_vgpr, 104
	.set _ZN9rocsparseL19gebsrmvn_4xn_kernelILj128ELj8ELj32EdEEvi20rocsparse_direction_NS_24const_host_device_scalarIT2_EEPKiS6_PKS3_S8_S4_PS3_21rocsparse_index_base_b.num_agpr, 0
	.set _ZN9rocsparseL19gebsrmvn_4xn_kernelILj128ELj8ELj32EdEEvi20rocsparse_direction_NS_24const_host_device_scalarIT2_EEPKiS6_PKS3_S8_S4_PS3_21rocsparse_index_base_b.numbered_sgpr, 14
	.set _ZN9rocsparseL19gebsrmvn_4xn_kernelILj128ELj8ELj32EdEEvi20rocsparse_direction_NS_24const_host_device_scalarIT2_EEPKiS6_PKS3_S8_S4_PS3_21rocsparse_index_base_b.num_named_barrier, 0
	.set _ZN9rocsparseL19gebsrmvn_4xn_kernelILj128ELj8ELj32EdEEvi20rocsparse_direction_NS_24const_host_device_scalarIT2_EEPKiS6_PKS3_S8_S4_PS3_21rocsparse_index_base_b.private_seg_size, 0
	.set _ZN9rocsparseL19gebsrmvn_4xn_kernelILj128ELj8ELj32EdEEvi20rocsparse_direction_NS_24const_host_device_scalarIT2_EEPKiS6_PKS3_S8_S4_PS3_21rocsparse_index_base_b.uses_vcc, 1
	.set _ZN9rocsparseL19gebsrmvn_4xn_kernelILj128ELj8ELj32EdEEvi20rocsparse_direction_NS_24const_host_device_scalarIT2_EEPKiS6_PKS3_S8_S4_PS3_21rocsparse_index_base_b.uses_flat_scratch, 0
	.set _ZN9rocsparseL19gebsrmvn_4xn_kernelILj128ELj8ELj32EdEEvi20rocsparse_direction_NS_24const_host_device_scalarIT2_EEPKiS6_PKS3_S8_S4_PS3_21rocsparse_index_base_b.has_dyn_sized_stack, 0
	.set _ZN9rocsparseL19gebsrmvn_4xn_kernelILj128ELj8ELj32EdEEvi20rocsparse_direction_NS_24const_host_device_scalarIT2_EEPKiS6_PKS3_S8_S4_PS3_21rocsparse_index_base_b.has_recursion, 0
	.set _ZN9rocsparseL19gebsrmvn_4xn_kernelILj128ELj8ELj32EdEEvi20rocsparse_direction_NS_24const_host_device_scalarIT2_EEPKiS6_PKS3_S8_S4_PS3_21rocsparse_index_base_b.has_indirect_call, 0
	.section	.AMDGPU.csdata,"",@progbits
; Kernel info:
; codeLenInByte = 2392
; TotalNumSgprs: 16
; NumVgprs: 104
; ScratchSize: 0
; MemoryBound: 1
; FloatMode: 240
; IeeeMode: 1
; LDSByteSize: 0 bytes/workgroup (compile time only)
; SGPRBlocks: 0
; VGPRBlocks: 6
; NumSGPRsForWavesPerEU: 16
; NumVGPRsForWavesPerEU: 104
; NamedBarCnt: 0
; Occupancy: 9
; WaveLimiterHint : 1
; COMPUTE_PGM_RSRC2:SCRATCH_EN: 0
; COMPUTE_PGM_RSRC2:USER_SGPR: 2
; COMPUTE_PGM_RSRC2:TRAP_HANDLER: 0
; COMPUTE_PGM_RSRC2:TGID_X_EN: 1
; COMPUTE_PGM_RSRC2:TGID_Y_EN: 0
; COMPUTE_PGM_RSRC2:TGID_Z_EN: 0
; COMPUTE_PGM_RSRC2:TIDIG_COMP_CNT: 0
	.section	.text._ZN9rocsparseL19gebsrmvn_4xn_kernelILj128ELj8ELj64EdEEvi20rocsparse_direction_NS_24const_host_device_scalarIT2_EEPKiS6_PKS3_S8_S4_PS3_21rocsparse_index_base_b,"axG",@progbits,_ZN9rocsparseL19gebsrmvn_4xn_kernelILj128ELj8ELj64EdEEvi20rocsparse_direction_NS_24const_host_device_scalarIT2_EEPKiS6_PKS3_S8_S4_PS3_21rocsparse_index_base_b,comdat
	.globl	_ZN9rocsparseL19gebsrmvn_4xn_kernelILj128ELj8ELj64EdEEvi20rocsparse_direction_NS_24const_host_device_scalarIT2_EEPKiS6_PKS3_S8_S4_PS3_21rocsparse_index_base_b ; -- Begin function _ZN9rocsparseL19gebsrmvn_4xn_kernelILj128ELj8ELj64EdEEvi20rocsparse_direction_NS_24const_host_device_scalarIT2_EEPKiS6_PKS3_S8_S4_PS3_21rocsparse_index_base_b
	.p2align	8
	.type	_ZN9rocsparseL19gebsrmvn_4xn_kernelILj128ELj8ELj64EdEEvi20rocsparse_direction_NS_24const_host_device_scalarIT2_EEPKiS6_PKS3_S8_S4_PS3_21rocsparse_index_base_b,@function
_ZN9rocsparseL19gebsrmvn_4xn_kernelILj128ELj8ELj64EdEEvi20rocsparse_direction_NS_24const_host_device_scalarIT2_EEPKiS6_PKS3_S8_S4_PS3_21rocsparse_index_base_b: ; @_ZN9rocsparseL19gebsrmvn_4xn_kernelILj128ELj8ELj64EdEEvi20rocsparse_direction_NS_24const_host_device_scalarIT2_EEPKiS6_PKS3_S8_S4_PS3_21rocsparse_index_base_b
; %bb.0:
	s_clause 0x2
	s_load_b64 s[12:13], s[0:1], 0x40
	s_load_b64 s[4:5], s[0:1], 0x8
	;; [unrolled: 1-line block ×3, first 2 shown]
	s_wait_kmcnt 0x0
	s_bitcmp1_b32 s13, 0
	v_mov_b64_e32 v[2:3], s[4:5]
	s_cselect_b32 s6, -1, 0
	s_delay_alu instid0(SALU_CYCLE_1)
	s_and_b32 vcc_lo, exec_lo, s6
	s_xor_b32 s6, s6, -1
	s_cbranch_vccnz .LBB71_2
; %bb.1:
	v_mov_b32_e32 v1, 0
	flat_load_b64 v[2:3], v1, s[4:5]
.LBB71_2:
	v_mov_b64_e32 v[4:5], s[2:3]
	s_and_not1_b32 vcc_lo, exec_lo, s6
	s_cbranch_vccnz .LBB71_4
; %bb.3:
	s_wait_xcnt 0x0
	v_mov_b32_e32 v1, 0
	flat_load_b64 v[4:5], v1, s[2:3]
.LBB71_4:
	s_wait_loadcnt_dscnt 0x0
	v_cmp_neq_f64_e32 vcc_lo, 0, v[2:3]
	s_delay_alu instid0(VALU_DEP_2) | instskip(SKIP_1) | instid1(SALU_CYCLE_1)
	v_cmp_neq_f64_e64 s2, 1.0, v[4:5]
	s_or_b32 s2, vcc_lo, s2
	s_and_saveexec_b32 s3, s2
	s_cbranch_execz .LBB71_23
; %bb.5:
	s_load_b64 s[2:3], s[0:1], 0x0
	s_bfe_u32 s4, ttmp6, 0x4000c
	s_and_b32 s5, ttmp6, 15
	s_add_co_i32 s4, s4, 1
	s_getreg_b32 s6, hwreg(HW_REG_IB_STS2, 6, 4)
	s_mul_i32 s4, ttmp9, s4
	v_lshrrev_b32_e32 v1, 6, v0
	s_add_co_i32 s5, s5, s4
	s_cmp_eq_u32 s6, 0
	s_cselect_b32 s4, ttmp9, s5
	s_delay_alu instid0(VALU_DEP_1) | instid1(SALU_CYCLE_1)
	v_lshl_or_b32 v6, s4, 1, v1
	s_wait_kmcnt 0x0
	s_delay_alu instid0(VALU_DEP_1)
	v_cmp_gt_i32_e32 vcc_lo, s2, v6
	s_and_b32 exec_lo, exec_lo, vcc_lo
	s_cbranch_execz .LBB71_23
; %bb.6:
	s_load_b256 s[4:11], s[0:1], 0x10
	v_ashrrev_i32_e32 v7, 31, v6
	s_cmp_lg_u32 s3, 0
	s_wait_kmcnt 0x0
	s_delay_alu instid0(VALU_DEP_1)
	v_lshl_add_u64 v[8:9], v[6:7], 2, s[4:5]
	v_and_b32_e32 v7, 63, v0
	global_load_b64 v[8:9], v[8:9], off
	s_wait_loadcnt 0x0
	v_subrev_nc_u32_e32 v0, s12, v8
	v_subrev_nc_u32_e32 v16, s12, v9
	s_delay_alu instid0(VALU_DEP_2) | instskip(NEXT) | instid1(VALU_DEP_1)
	v_add_nc_u32_e32 v17, v0, v7
	v_cmp_lt_i32_e64 s2, v17, v16
	s_cbranch_scc0 .LBB71_12
; %bb.7:
	v_mov_b64_e32 v[0:1], 0
	v_mov_b64_e32 v[8:9], 0
	;; [unrolled: 1-line block ×4, first 2 shown]
	s_and_saveexec_b32 s3, s2
	s_cbranch_execz .LBB71_11
; %bb.8:
	v_mov_b64_e32 v[0:1], 0
	v_mov_b64_e32 v[8:9], 0
	;; [unrolled: 1-line block ×4, first 2 shown]
	v_dual_mov_b32 v15, 0 :: v_dual_lshlrev_b32 v14, 5, v17
	v_mov_b32_e32 v18, v17
	s_mov_b32 s4, 0
.LBB71_9:                               ; =>This Inner Loop Header: Depth=1
	global_load_b32 v19, v18, s[6:7] scale_offset
	v_lshl_add_u64 v[100:101], v[14:15], 3, s[8:9]
	s_wait_xcnt 0x0
	v_add_nc_u32_e32 v18, 64, v18
	v_add_nc_u32_e32 v14, 0x800, v14
	global_load_b128 v[20:23], v[100:101], off offset:16
	v_cmp_ge_i32_e32 vcc_lo, v18, v16
	s_or_b32 s4, vcc_lo, s4
	s_wait_loadcnt 0x1
	v_subrev_nc_u32_e32 v19, s12, v19
	s_delay_alu instid0(VALU_DEP_1) | instskip(NEXT) | instid1(VALU_DEP_1)
	v_dual_mov_b32 v25, v15 :: v_dual_lshlrev_b32 v24, 3, v19
	v_lshl_add_u64 v[102:103], v[24:25], 3, s[10:11]
	global_load_b128 v[24:27], v[100:101], off
	global_load_b128 v[28:31], v[102:103], off
	s_clause 0x3
	global_load_b128 v[32:35], v[100:101], off offset:32
	global_load_b128 v[36:39], v[100:101], off offset:48
	global_load_b128 v[40:43], v[100:101], off offset:64
	global_load_b128 v[44:47], v[100:101], off offset:80
	global_load_b128 v[48:51], v[102:103], off offset:16
	s_clause 0x3
	global_load_b128 v[52:55], v[100:101], off offset:96
	global_load_b128 v[56:59], v[100:101], off offset:112
	global_load_b128 v[60:63], v[100:101], off offset:144
	global_load_b128 v[64:67], v[100:101], off offset:128
	global_load_b128 v[68:71], v[102:103], off offset:32
	;; [unrolled: 6-line block ×3, first 2 shown]
	s_clause 0x1
	global_load_b128 v[92:95], v[100:101], off offset:224
	global_load_b128 v[96:99], v[100:101], off offset:240
	s_wait_loadcnt 0x11
	v_fmac_f64_e32 v[0:1], v[24:25], v[28:29]
	v_fmac_f64_e32 v[12:13], v[26:27], v[28:29]
	;; [unrolled: 1-line block ×4, first 2 shown]
	s_wait_loadcnt 0x10
	s_delay_alu instid0(VALU_DEP_4) | instskip(NEXT) | instid1(VALU_DEP_4)
	v_fmac_f64_e32 v[0:1], v[32:33], v[30:31]
	v_fmac_f64_e32 v[12:13], v[34:35], v[30:31]
	s_wait_loadcnt 0xf
	s_delay_alu instid0(VALU_DEP_4) | instskip(NEXT) | instid1(VALU_DEP_4)
	v_fmac_f64_e32 v[10:11], v[36:37], v[30:31]
	v_fmac_f64_e32 v[8:9], v[38:39], v[30:31]
	s_wait_loadcnt 0xc
	s_delay_alu instid0(VALU_DEP_4) | instskip(NEXT) | instid1(VALU_DEP_4)
	v_fmac_f64_e32 v[0:1], v[40:41], v[48:49]
	v_fmac_f64_e32 v[12:13], v[42:43], v[48:49]
	s_delay_alu instid0(VALU_DEP_4) | instskip(NEXT) | instid1(VALU_DEP_4)
	v_fmac_f64_e32 v[10:11], v[44:45], v[48:49]
	v_fmac_f64_e32 v[8:9], v[46:47], v[48:49]
	s_wait_loadcnt 0xb
	s_delay_alu instid0(VALU_DEP_4) | instskip(NEXT) | instid1(VALU_DEP_4)
	v_fmac_f64_e32 v[0:1], v[52:53], v[50:51]
	v_fmac_f64_e32 v[12:13], v[54:55], v[50:51]
	s_wait_loadcnt 0xa
	s_delay_alu instid0(VALU_DEP_4) | instskip(NEXT) | instid1(VALU_DEP_4)
	v_fmac_f64_e32 v[10:11], v[56:57], v[50:51]
	v_fmac_f64_e32 v[8:9], v[58:59], v[50:51]
	s_wait_loadcnt 0x7
	s_delay_alu instid0(VALU_DEP_4) | instskip(NEXT) | instid1(VALU_DEP_4)
	v_fmac_f64_e32 v[0:1], v[64:65], v[68:69]
	v_fmac_f64_e32 v[12:13], v[66:67], v[68:69]
	s_delay_alu instid0(VALU_DEP_4) | instskip(NEXT) | instid1(VALU_DEP_4)
	v_fmac_f64_e32 v[10:11], v[60:61], v[68:69]
	v_fmac_f64_e32 v[8:9], v[62:63], v[68:69]
	;; [unrolled: 15-line block ×3, first 2 shown]
	s_wait_loadcnt 0x1
	s_delay_alu instid0(VALU_DEP_4) | instskip(NEXT) | instid1(VALU_DEP_4)
	v_fmac_f64_e32 v[0:1], v[92:93], v[90:91]
	v_fmac_f64_e32 v[12:13], v[94:95], v[90:91]
	s_wait_loadcnt 0x0
	s_delay_alu instid0(VALU_DEP_4) | instskip(NEXT) | instid1(VALU_DEP_4)
	v_fmac_f64_e32 v[10:11], v[96:97], v[90:91]
	v_fmac_f64_e32 v[8:9], v[98:99], v[90:91]
	s_and_not1_b32 exec_lo, exec_lo, s4
	s_cbranch_execnz .LBB71_9
; %bb.10:
	s_or_b32 exec_lo, exec_lo, s4
.LBB71_11:
	s_delay_alu instid0(SALU_CYCLE_1)
	s_or_b32 exec_lo, exec_lo, s3
	s_cbranch_execz .LBB71_13
	s_branch .LBB71_18
.LBB71_12:
                                        ; implicit-def: $vgpr0_vgpr1
                                        ; implicit-def: $vgpr8_vgpr9
                                        ; implicit-def: $vgpr10_vgpr11
                                        ; implicit-def: $vgpr12_vgpr13
.LBB71_13:
	v_mov_b64_e32 v[0:1], 0
	v_mov_b64_e32 v[8:9], 0
	;; [unrolled: 1-line block ×4, first 2 shown]
	s_and_saveexec_b32 s3, s2
	s_cbranch_execz .LBB71_17
; %bb.14:
	v_mov_b64_e32 v[0:1], 0
	v_mov_b64_e32 v[8:9], 0
	;; [unrolled: 1-line block ×4, first 2 shown]
	v_dual_mov_b32 v15, 0 :: v_dual_lshlrev_b32 v14, 5, v17
	s_mov_b32 s2, 0
.LBB71_15:                              ; =>This Inner Loop Header: Depth=1
	global_load_b32 v70, v17, s[6:7] scale_offset
	v_lshl_add_u64 v[78:79], v[14:15], 3, s[8:9]
	s_wait_xcnt 0x0
	v_add_nc_u32_e32 v17, 64, v17
	v_add_nc_u32_e32 v14, 0x800, v14
	s_clause 0xc
	global_load_b128 v[18:21], v[78:79], off offset:48
	global_load_b128 v[22:25], v[78:79], off offset:32
	global_load_b128 v[26:29], v[78:79], off offset:16
	global_load_b128 v[30:33], v[78:79], off
	global_load_b128 v[34:37], v[78:79], off offset:80
	global_load_b128 v[38:41], v[78:79], off offset:64
	;; [unrolled: 1-line block ×9, first 2 shown]
	v_cmp_ge_i32_e32 vcc_lo, v17, v16
	s_or_b32 s2, vcc_lo, s2
	s_wait_loadcnt 0xd
	v_subrev_nc_u32_e32 v70, s12, v70
	s_delay_alu instid0(VALU_DEP_1) | instskip(NEXT) | instid1(VALU_DEP_1)
	v_dual_mov_b32 v71, v15 :: v_dual_lshlrev_b32 v70, 3, v70
	v_lshl_add_u64 v[80:81], v[70:71], 3, s[10:11]
	s_clause 0x1
	global_load_b128 v[70:73], v[80:81], off
	global_load_b128 v[74:77], v[80:81], off offset:16
	s_wait_loadcnt 0x1
	v_fmac_f64_e32 v[0:1], v[30:31], v[70:71]
	v_fmac_f64_e32 v[10:11], v[46:47], v[70:71]
	;; [unrolled: 1-line block ×4, first 2 shown]
	s_delay_alu instid0(VALU_DEP_4)
	v_fmac_f64_e32 v[0:1], v[32:33], v[72:73]
	global_load_b128 v[30:33], v[78:79], off offset:160
	v_fmac_f64_e32 v[10:11], v[48:49], v[72:73]
	global_load_b128 v[46:49], v[78:79], off offset:224
	;; [unrolled: 2-line block ×3, first 2 shown]
	v_fmac_f64_e32 v[8:9], v[56:57], v[72:73]
	s_clause 0x1
	global_load_b128 v[54:57], v[80:81], off offset:32
	global_load_b128 v[70:73], v[80:81], off offset:48
	s_wait_loadcnt 0x5
	v_fmac_f64_e32 v[0:1], v[26:27], v[74:75]
	v_fmac_f64_e32 v[10:11], v[42:43], v[74:75]
	;; [unrolled: 1-line block ×4, first 2 shown]
	s_delay_alu instid0(VALU_DEP_4) | instskip(NEXT) | instid1(VALU_DEP_4)
	v_fmac_f64_e32 v[0:1], v[28:29], v[76:77]
	v_fmac_f64_e32 v[10:11], v[44:45], v[76:77]
	s_delay_alu instid0(VALU_DEP_4) | instskip(NEXT) | instid1(VALU_DEP_4)
	v_fmac_f64_e32 v[12:13], v[36:37], v[76:77]
	v_fmac_f64_e32 v[8:9], v[52:53], v[76:77]
	s_wait_loadcnt 0x1
	s_delay_alu instid0(VALU_DEP_4) | instskip(NEXT) | instid1(VALU_DEP_3)
	v_fmac_f64_e32 v[0:1], v[22:23], v[54:55]
	v_fmac_f64_e32 v[12:13], v[62:63], v[54:55]
	;; [unrolled: 1-line block ×3, first 2 shown]
	s_delay_alu instid0(VALU_DEP_4) | instskip(NEXT) | instid1(VALU_DEP_4)
	v_fmac_f64_e32 v[8:9], v[46:47], v[54:55]
	v_fmac_f64_e32 v[0:1], v[24:25], v[56:57]
	s_delay_alu instid0(VALU_DEP_4) | instskip(NEXT) | instid1(VALU_DEP_4)
	v_fmac_f64_e32 v[12:13], v[64:65], v[56:57]
	v_fmac_f64_e32 v[10:11], v[32:33], v[56:57]
	s_delay_alu instid0(VALU_DEP_4) | instskip(SKIP_1) | instid1(VALU_DEP_4)
	v_fmac_f64_e32 v[8:9], v[48:49], v[56:57]
	s_wait_loadcnt 0x0
	v_fmac_f64_e32 v[0:1], v[18:19], v[70:71]
	s_delay_alu instid0(VALU_DEP_4) | instskip(NEXT) | instid1(VALU_DEP_4)
	v_fmac_f64_e32 v[12:13], v[58:59], v[70:71]
	v_fmac_f64_e32 v[10:11], v[66:67], v[70:71]
	s_delay_alu instid0(VALU_DEP_4) | instskip(NEXT) | instid1(VALU_DEP_4)
	v_fmac_f64_e32 v[8:9], v[38:39], v[70:71]
	;; [unrolled: 3-line block ×3, first 2 shown]
	v_fmac_f64_e32 v[10:11], v[68:69], v[72:73]
	s_delay_alu instid0(VALU_DEP_4)
	v_fmac_f64_e32 v[8:9], v[40:41], v[72:73]
	s_and_not1_b32 exec_lo, exec_lo, s2
	s_cbranch_execnz .LBB71_15
; %bb.16:
	s_or_b32 exec_lo, exec_lo, s2
.LBB71_17:
	s_delay_alu instid0(SALU_CYCLE_1)
	s_or_b32 exec_lo, exec_lo, s3
.LBB71_18:
	v_mbcnt_lo_u32_b32 v24, -1, 0
	s_delay_alu instid0(VALU_DEP_1) | instskip(NEXT) | instid1(VALU_DEP_1)
	v_or_b32_e32 v14, 32, v24
	v_cmp_gt_i32_e32 vcc_lo, 32, v14
	v_cndmask_b32_e32 v14, v24, v14, vcc_lo
	s_delay_alu instid0(VALU_DEP_1)
	v_lshlrev_b32_e32 v21, 2, v14
	ds_bpermute_b32 v16, v21, v12
	ds_bpermute_b32 v17, v21, v13
	s_wait_dscnt 0x0
	v_add_f64_e32 v[12:13], v[12:13], v[16:17]
	ds_bpermute_b32 v14, v21, v0
	ds_bpermute_b32 v15, v21, v1
	;; [unrolled: 1-line block ×6, first 2 shown]
	s_wait_dscnt 0x4
	v_dual_add_f64 v[0:1], v[0:1], v[14:15] :: v_dual_bitop2_b32 v14, 16, v24 bitop3:0x14
	s_wait_dscnt 0x2
	v_add_f64_e32 v[10:11], v[10:11], v[18:19]
	s_delay_alu instid0(VALU_DEP_2) | instskip(SKIP_2) | instid1(VALU_DEP_1)
	v_cmp_gt_i32_e32 vcc_lo, 32, v14
	v_cndmask_b32_e32 v14, v24, v14, vcc_lo
	s_wait_dscnt 0x0
	v_dual_add_f64 v[8:9], v[8:9], v[20:21] :: v_dual_lshlrev_b32 v21, 2, v14
	ds_bpermute_b32 v16, v21, v12
	ds_bpermute_b32 v17, v21, v13
	;; [unrolled: 1-line block ×8, first 2 shown]
	s_wait_dscnt 0x4
	v_dual_add_f64 v[0:1], v[0:1], v[14:15] :: v_dual_bitop2_b32 v14, 8, v24 bitop3:0x14
	s_wait_dscnt 0x2
	v_add_f64_e32 v[10:11], v[10:11], v[18:19]
	s_delay_alu instid0(VALU_DEP_2) | instskip(SKIP_3) | instid1(VALU_DEP_2)
	v_cmp_gt_i32_e32 vcc_lo, 32, v14
	v_cndmask_b32_e32 v14, v24, v14, vcc_lo
	v_add_f64_e32 v[12:13], v[12:13], v[16:17]
	s_wait_dscnt 0x0
	v_dual_add_f64 v[8:9], v[8:9], v[20:21] :: v_dual_lshlrev_b32 v21, 2, v14
	ds_bpermute_b32 v14, v21, v0
	ds_bpermute_b32 v15, v21, v1
	;; [unrolled: 1-line block ×5, first 2 shown]
	s_wait_dscnt 0x3
	v_dual_add_f64 v[0:1], v[0:1], v[14:15] :: v_dual_bitop2_b32 v14, 4, v24 bitop3:0x14
	ds_bpermute_b32 v18, v21, v10
	ds_bpermute_b32 v19, v21, v11
	;; [unrolled: 1-line block ×3, first 2 shown]
	v_cmp_gt_i32_e32 vcc_lo, 32, v14
	v_cndmask_b32_e32 v14, v24, v14, vcc_lo
	s_wait_dscnt 0x4
	v_add_f64_e32 v[12:13], v[12:13], v[16:17]
	s_wait_dscnt 0x1
	v_add_f64_e32 v[10:11], v[10:11], v[18:19]
	s_wait_dscnt 0x0
	v_dual_add_f64 v[8:9], v[8:9], v[20:21] :: v_dual_lshlrev_b32 v21, 2, v14
	ds_bpermute_b32 v14, v21, v0
	ds_bpermute_b32 v15, v21, v1
	;; [unrolled: 1-line block ×4, first 2 shown]
	s_wait_dscnt 0x2
	v_add_f64_e32 v[0:1], v[0:1], v[14:15]
	ds_bpermute_b32 v18, v21, v10
	ds_bpermute_b32 v19, v21, v11
	s_wait_dscnt 0x2
	v_add_f64_e32 v[14:15], v[12:13], v[16:17]
	s_wait_dscnt 0x0
	v_dual_add_f64 v[16:17], v[10:11], v[18:19] :: v_dual_bitop2_b32 v10, 2, v24 bitop3:0x14
	s_delay_alu instid0(VALU_DEP_1) | instskip(SKIP_1) | instid1(VALU_DEP_1)
	v_cmp_gt_i32_e32 vcc_lo, 32, v10
	v_cndmask_b32_e32 v10, v24, v10, vcc_lo
	v_lshlrev_b32_e32 v12, 2, v10
	ds_bpermute_b32 v20, v21, v8
	ds_bpermute_b32 v21, v21, v9
	;; [unrolled: 1-line block ×6, first 2 shown]
	s_wait_dscnt 0x4
	v_add_f64_e32 v[8:9], v[8:9], v[20:21]
	ds_bpermute_b32 v20, v12, v16
	ds_bpermute_b32 v21, v12, v17
	;; [unrolled: 1-line block ×4, first 2 shown]
	s_wait_dscnt 0x6
	v_add_f64_e32 v[12:13], v[0:1], v[10:11]
	s_wait_dscnt 0x4
	v_add_f64_e32 v[10:11], v[14:15], v[18:19]
	;; [unrolled: 2-line block ×3, first 2 shown]
	v_xor_b32_e32 v14, 1, v24
	s_delay_alu instid0(VALU_DEP_1) | instskip(SKIP_2) | instid1(VALU_DEP_2)
	v_cmp_gt_i32_e32 vcc_lo, 32, v14
	v_cndmask_b32_e32 v14, v24, v14, vcc_lo
	v_cmp_eq_u32_e32 vcc_lo, 63, v7
	v_lshlrev_b32_e32 v15, 2, v14
	s_wait_dscnt 0x0
	v_add_f64_e32 v[8:9], v[8:9], v[22:23]
	ds_bpermute_b32 v20, v15, v12
	ds_bpermute_b32 v21, v15, v13
	;; [unrolled: 1-line block ×8, first 2 shown]
	s_and_b32 exec_lo, exec_lo, vcc_lo
	s_cbranch_execz .LBB71_23
; %bb.19:
	s_wait_dscnt 0x6
	v_add_f64_e32 v[12:13], v[12:13], v[20:21]
	s_wait_dscnt 0x4
	v_add_f64_e32 v[10:11], v[10:11], v[18:19]
	;; [unrolled: 2-line block ×4, first 2 shown]
	s_load_b64 s[0:1], s[0:1], 0x38
	s_mov_b32 s2, exec_lo
	v_cmpx_eq_f64_e32 0, v[4:5]
	s_xor_b32 s2, exec_lo, s2
	s_cbranch_execz .LBB71_21
; %bb.20:
	v_dual_mul_f64 v[12:13], v[2:3], v[12:13] :: v_dual_lshlrev_b32 v4, 2, v6
	v_mul_f64_e32 v[14:15], v[2:3], v[10:11]
	v_mul_f64_e32 v[0:1], v[2:3], v[0:1]
	;; [unrolled: 1-line block ×3, first 2 shown]
                                        ; implicit-def: $vgpr6
                                        ; implicit-def: $vgpr10_vgpr11
                                        ; implicit-def: $vgpr8_vgpr9
	s_delay_alu instid0(VALU_DEP_4) | instskip(SKIP_1) | instid1(VALU_DEP_1)
	v_ashrrev_i32_e32 v5, 31, v4
	s_wait_kmcnt 0x0
	v_lshl_add_u64 v[4:5], v[4:5], 3, s[0:1]
	s_clause 0x1
	global_store_b128 v[4:5], v[12:15], off
	global_store_b128 v[4:5], v[0:3], off offset:16
                                        ; implicit-def: $vgpr2_vgpr3
                                        ; implicit-def: $vgpr12_vgpr13
                                        ; implicit-def: $vgpr4_vgpr5
                                        ; implicit-def: $vgpr0_vgpr1
.LBB71_21:
	s_wait_xcnt 0x0
	s_and_not1_saveexec_b32 s2, s2
	s_cbranch_execz .LBB71_23
; %bb.22:
	v_dual_mul_f64 v[22:23], v[2:3], v[12:13] :: v_dual_lshlrev_b32 v6, 2, v6
	v_mul_f64_e32 v[24:25], v[2:3], v[10:11]
	v_mul_f64_e32 v[0:1], v[2:3], v[0:1]
	s_delay_alu instid0(VALU_DEP_3) | instskip(SKIP_1) | instid1(VALU_DEP_1)
	v_dual_mul_f64 v[2:3], v[2:3], v[8:9] :: v_dual_ashrrev_i32 v7, 31, v6
	s_wait_kmcnt 0x0
	v_lshl_add_u64 v[6:7], v[6:7], 3, s[0:1]
	s_clause 0x1
	global_load_b128 v[14:17], v[6:7], off
	global_load_b128 v[18:21], v[6:7], off offset:16
	s_wait_loadcnt 0x1
	v_fmac_f64_e32 v[22:23], v[4:5], v[14:15]
	v_fmac_f64_e32 v[24:25], v[4:5], v[16:17]
	s_wait_loadcnt 0x0
	v_fmac_f64_e32 v[0:1], v[4:5], v[18:19]
	v_fmac_f64_e32 v[2:3], v[4:5], v[20:21]
	s_clause 0x1
	global_store_b128 v[6:7], v[22:25], off
	global_store_b128 v[6:7], v[0:3], off offset:16
.LBB71_23:
	s_sendmsg sendmsg(MSG_DEALLOC_VGPRS)
	s_endpgm
	.section	.rodata,"a",@progbits
	.p2align	6, 0x0
	.amdhsa_kernel _ZN9rocsparseL19gebsrmvn_4xn_kernelILj128ELj8ELj64EdEEvi20rocsparse_direction_NS_24const_host_device_scalarIT2_EEPKiS6_PKS3_S8_S4_PS3_21rocsparse_index_base_b
		.amdhsa_group_segment_fixed_size 0
		.amdhsa_private_segment_fixed_size 0
		.amdhsa_kernarg_size 72
		.amdhsa_user_sgpr_count 2
		.amdhsa_user_sgpr_dispatch_ptr 0
		.amdhsa_user_sgpr_queue_ptr 0
		.amdhsa_user_sgpr_kernarg_segment_ptr 1
		.amdhsa_user_sgpr_dispatch_id 0
		.amdhsa_user_sgpr_kernarg_preload_length 0
		.amdhsa_user_sgpr_kernarg_preload_offset 0
		.amdhsa_user_sgpr_private_segment_size 0
		.amdhsa_wavefront_size32 1
		.amdhsa_uses_dynamic_stack 0
		.amdhsa_enable_private_segment 0
		.amdhsa_system_sgpr_workgroup_id_x 1
		.amdhsa_system_sgpr_workgroup_id_y 0
		.amdhsa_system_sgpr_workgroup_id_z 0
		.amdhsa_system_sgpr_workgroup_info 0
		.amdhsa_system_vgpr_workitem_id 0
		.amdhsa_next_free_vgpr 104
		.amdhsa_next_free_sgpr 14
		.amdhsa_named_barrier_count 0
		.amdhsa_reserve_vcc 1
		.amdhsa_float_round_mode_32 0
		.amdhsa_float_round_mode_16_64 0
		.amdhsa_float_denorm_mode_32 3
		.amdhsa_float_denorm_mode_16_64 3
		.amdhsa_fp16_overflow 0
		.amdhsa_memory_ordered 1
		.amdhsa_forward_progress 1
		.amdhsa_inst_pref_size 20
		.amdhsa_round_robin_scheduling 0
		.amdhsa_exception_fp_ieee_invalid_op 0
		.amdhsa_exception_fp_denorm_src 0
		.amdhsa_exception_fp_ieee_div_zero 0
		.amdhsa_exception_fp_ieee_overflow 0
		.amdhsa_exception_fp_ieee_underflow 0
		.amdhsa_exception_fp_ieee_inexact 0
		.amdhsa_exception_int_div_zero 0
	.end_amdhsa_kernel
	.section	.text._ZN9rocsparseL19gebsrmvn_4xn_kernelILj128ELj8ELj64EdEEvi20rocsparse_direction_NS_24const_host_device_scalarIT2_EEPKiS6_PKS3_S8_S4_PS3_21rocsparse_index_base_b,"axG",@progbits,_ZN9rocsparseL19gebsrmvn_4xn_kernelILj128ELj8ELj64EdEEvi20rocsparse_direction_NS_24const_host_device_scalarIT2_EEPKiS6_PKS3_S8_S4_PS3_21rocsparse_index_base_b,comdat
.Lfunc_end71:
	.size	_ZN9rocsparseL19gebsrmvn_4xn_kernelILj128ELj8ELj64EdEEvi20rocsparse_direction_NS_24const_host_device_scalarIT2_EEPKiS6_PKS3_S8_S4_PS3_21rocsparse_index_base_b, .Lfunc_end71-_ZN9rocsparseL19gebsrmvn_4xn_kernelILj128ELj8ELj64EdEEvi20rocsparse_direction_NS_24const_host_device_scalarIT2_EEPKiS6_PKS3_S8_S4_PS3_21rocsparse_index_base_b
                                        ; -- End function
	.set _ZN9rocsparseL19gebsrmvn_4xn_kernelILj128ELj8ELj64EdEEvi20rocsparse_direction_NS_24const_host_device_scalarIT2_EEPKiS6_PKS3_S8_S4_PS3_21rocsparse_index_base_b.num_vgpr, 104
	.set _ZN9rocsparseL19gebsrmvn_4xn_kernelILj128ELj8ELj64EdEEvi20rocsparse_direction_NS_24const_host_device_scalarIT2_EEPKiS6_PKS3_S8_S4_PS3_21rocsparse_index_base_b.num_agpr, 0
	.set _ZN9rocsparseL19gebsrmvn_4xn_kernelILj128ELj8ELj64EdEEvi20rocsparse_direction_NS_24const_host_device_scalarIT2_EEPKiS6_PKS3_S8_S4_PS3_21rocsparse_index_base_b.numbered_sgpr, 14
	.set _ZN9rocsparseL19gebsrmvn_4xn_kernelILj128ELj8ELj64EdEEvi20rocsparse_direction_NS_24const_host_device_scalarIT2_EEPKiS6_PKS3_S8_S4_PS3_21rocsparse_index_base_b.num_named_barrier, 0
	.set _ZN9rocsparseL19gebsrmvn_4xn_kernelILj128ELj8ELj64EdEEvi20rocsparse_direction_NS_24const_host_device_scalarIT2_EEPKiS6_PKS3_S8_S4_PS3_21rocsparse_index_base_b.private_seg_size, 0
	.set _ZN9rocsparseL19gebsrmvn_4xn_kernelILj128ELj8ELj64EdEEvi20rocsparse_direction_NS_24const_host_device_scalarIT2_EEPKiS6_PKS3_S8_S4_PS3_21rocsparse_index_base_b.uses_vcc, 1
	.set _ZN9rocsparseL19gebsrmvn_4xn_kernelILj128ELj8ELj64EdEEvi20rocsparse_direction_NS_24const_host_device_scalarIT2_EEPKiS6_PKS3_S8_S4_PS3_21rocsparse_index_base_b.uses_flat_scratch, 0
	.set _ZN9rocsparseL19gebsrmvn_4xn_kernelILj128ELj8ELj64EdEEvi20rocsparse_direction_NS_24const_host_device_scalarIT2_EEPKiS6_PKS3_S8_S4_PS3_21rocsparse_index_base_b.has_dyn_sized_stack, 0
	.set _ZN9rocsparseL19gebsrmvn_4xn_kernelILj128ELj8ELj64EdEEvi20rocsparse_direction_NS_24const_host_device_scalarIT2_EEPKiS6_PKS3_S8_S4_PS3_21rocsparse_index_base_b.has_recursion, 0
	.set _ZN9rocsparseL19gebsrmvn_4xn_kernelILj128ELj8ELj64EdEEvi20rocsparse_direction_NS_24const_host_device_scalarIT2_EEPKiS6_PKS3_S8_S4_PS3_21rocsparse_index_base_b.has_indirect_call, 0
	.section	.AMDGPU.csdata,"",@progbits
; Kernel info:
; codeLenInByte = 2512
; TotalNumSgprs: 16
; NumVgprs: 104
; ScratchSize: 0
; MemoryBound: 1
; FloatMode: 240
; IeeeMode: 1
; LDSByteSize: 0 bytes/workgroup (compile time only)
; SGPRBlocks: 0
; VGPRBlocks: 6
; NumSGPRsForWavesPerEU: 16
; NumVGPRsForWavesPerEU: 104
; NamedBarCnt: 0
; Occupancy: 9
; WaveLimiterHint : 1
; COMPUTE_PGM_RSRC2:SCRATCH_EN: 0
; COMPUTE_PGM_RSRC2:USER_SGPR: 2
; COMPUTE_PGM_RSRC2:TRAP_HANDLER: 0
; COMPUTE_PGM_RSRC2:TGID_X_EN: 1
; COMPUTE_PGM_RSRC2:TGID_Y_EN: 0
; COMPUTE_PGM_RSRC2:TGID_Z_EN: 0
; COMPUTE_PGM_RSRC2:TIDIG_COMP_CNT: 0
	.section	.text._ZN9rocsparseL23gebsrmvn_general_kernelILj64ELj16EdEEvi20rocsparse_direction_NS_24const_host_device_scalarIT1_EEPKiS6_PKS3_iiS8_S4_PS3_21rocsparse_index_base_b,"axG",@progbits,_ZN9rocsparseL23gebsrmvn_general_kernelILj64ELj16EdEEvi20rocsparse_direction_NS_24const_host_device_scalarIT1_EEPKiS6_PKS3_iiS8_S4_PS3_21rocsparse_index_base_b,comdat
	.globl	_ZN9rocsparseL23gebsrmvn_general_kernelILj64ELj16EdEEvi20rocsparse_direction_NS_24const_host_device_scalarIT1_EEPKiS6_PKS3_iiS8_S4_PS3_21rocsparse_index_base_b ; -- Begin function _ZN9rocsparseL23gebsrmvn_general_kernelILj64ELj16EdEEvi20rocsparse_direction_NS_24const_host_device_scalarIT1_EEPKiS6_PKS3_iiS8_S4_PS3_21rocsparse_index_base_b
	.p2align	8
	.type	_ZN9rocsparseL23gebsrmvn_general_kernelILj64ELj16EdEEvi20rocsparse_direction_NS_24const_host_device_scalarIT1_EEPKiS6_PKS3_iiS8_S4_PS3_21rocsparse_index_base_b,@function
_ZN9rocsparseL23gebsrmvn_general_kernelILj64ELj16EdEEvi20rocsparse_direction_NS_24const_host_device_scalarIT1_EEPKiS6_PKS3_iiS8_S4_PS3_21rocsparse_index_base_b: ; @_ZN9rocsparseL23gebsrmvn_general_kernelILj64ELj16EdEEvi20rocsparse_direction_NS_24const_host_device_scalarIT1_EEPKiS6_PKS3_iiS8_S4_PS3_21rocsparse_index_base_b
; %bb.0:
	s_clause 0x2
	s_load_b64 s[8:9], s[0:1], 0x48
	s_load_b64 s[4:5], s[0:1], 0x8
	s_load_b64 s[2:3], s[0:1], 0x38
	s_wait_kmcnt 0x0
	s_bitcmp1_b32 s9, 0
	v_mov_b64_e32 v[2:3], s[4:5]
	s_cselect_b32 s6, -1, 0
	s_delay_alu instid0(SALU_CYCLE_1)
	s_and_b32 vcc_lo, exec_lo, s6
	s_xor_b32 s6, s6, -1
	s_cbranch_vccnz .LBB72_2
; %bb.1:
	v_mov_b32_e32 v1, 0
	flat_load_b64 v[2:3], v1, s[4:5]
.LBB72_2:
	v_mov_b64_e32 v[4:5], s[2:3]
	s_and_not1_b32 vcc_lo, exec_lo, s6
	s_cbranch_vccnz .LBB72_4
; %bb.3:
	s_wait_xcnt 0x0
	v_mov_b32_e32 v1, 0
	flat_load_b64 v[4:5], v1, s[2:3]
.LBB72_4:
	s_wait_loadcnt_dscnt 0x0
	v_cmp_neq_f64_e32 vcc_lo, 0, v[2:3]
	s_delay_alu instid0(VALU_DEP_2) | instskip(SKIP_1) | instid1(SALU_CYCLE_1)
	v_cmp_neq_f64_e64 s2, 1.0, v[4:5]
	s_or_b32 s2, vcc_lo, s2
	s_and_saveexec_b32 s3, s2
	s_cbranch_execz .LBB72_24
; %bb.5:
	s_load_b64 s[10:11], s[0:1], 0x28
	v_lshrrev_b32_e32 v8, 4, v0
	s_wait_kmcnt 0x0
	s_delay_alu instid0(VALU_DEP_1)
	v_cmp_gt_i32_e32 vcc_lo, s10, v8
	s_and_b32 exec_lo, exec_lo, vcc_lo
	s_cbranch_execz .LBB72_24
; %bb.6:
	s_load_b128 s[4:7], s[0:1], 0x10
	s_bfe_u32 s2, ttmp6, 0x4000c
	s_and_b32 s3, ttmp6, 15
	s_add_co_i32 s2, s2, 1
	s_getreg_b32 s9, hwreg(HW_REG_IB_STS2, 6, 4)
	s_mul_i32 s2, ttmp9, s2
	v_and_b32_e32 v9, 15, v0
	s_add_co_i32 s3, s3, s2
	s_cmp_eq_u32 s9, 0
	v_mbcnt_lo_u32_b32 v0, -1, 0
	s_cselect_b32 s16, ttmp9, s3
	s_mul_i32 s23, s11, s10
	s_ashr_i32 s17, s16, 31
	s_delay_alu instid0(SALU_CYCLE_1)
	s_lshl_b64 s[2:3], s[16:17], 2
	s_load_b32 s17, s[0:1], 0x4
	v_xor_b32_e32 v11, 1, v0
	v_xor_b32_e32 v7, 2, v0
	;; [unrolled: 1-line block ×4, first 2 shown]
	s_wait_kmcnt 0x0
	s_add_nc_u64 s[2:3], s[4:5], s[2:3]
	s_load_b64 s[20:21], s[2:3], 0x0
	s_clause 0x2
	s_load_b64 s[4:5], s[0:1], 0x20
	s_load_b64 s[12:13], s[0:1], 0x30
	;; [unrolled: 1-line block ×3, first 2 shown]
	s_wait_xcnt 0x0
	v_cmp_eq_f64_e64 s0, 0, v[4:5]
	v_cmp_gt_i32_e32 vcc_lo, 32, v1
	s_mov_b32 s3, 0
	v_cndmask_b32_e32 v1, v0, v1, vcc_lo
	v_cmp_gt_i32_e32 vcc_lo, 32, v6
	v_cmp_gt_i32_e64 s1, s11, v9
	v_cmp_eq_u32_e64 s2, 15, v9
	v_cndmask_b32_e32 v6, v0, v6, vcc_lo
	v_cmp_gt_i32_e32 vcc_lo, 32, v7
	s_delay_alu instid0(VALU_DEP_2)
	v_lshlrev_b32_e32 v12, 2, v6
	s_wait_kmcnt 0x0
	s_sub_co_i32 s9, s20, s8
	v_cndmask_b32_e32 v7, v0, v7, vcc_lo
	v_mad_u32 v10, s10, s9, v8
	v_cmp_gt_i32_e32 vcc_lo, 32, v11
	s_sub_co_i32 s18, s21, s8
	s_cmp_lt_i32 s20, s21
	v_lshlrev_b32_e32 v13, 2, v7
	s_cselect_b32 s19, -1, 0
	v_dual_cndmask_b32 v0, v0, v11 :: v_dual_lshlrev_b32 v11, 2, v1
	s_cmp_lg_u32 s17, 0
	s_mul_i32 s21, s10, s16
	s_cselect_b32 s20, -1, 0
	s_delay_alu instid0(VALU_DEP_4)
	v_mul_lo_u32 v10, s11, v10
	v_lshlrev_b32_e32 v14, 2, v0
	s_lshl_b32 s22, s11, 2
	s_branch .LBB72_8
.LBB72_7:                               ;   in Loop: Header=BB72_8 Depth=1
	s_wait_xcnt 0x0
	s_or_b32 exec_lo, exec_lo, s16
	v_dual_add_nc_u32 v8, 4, v8 :: v_dual_add_nc_u32 v10, s22, v10
	s_delay_alu instid0(VALU_DEP_1) | instskip(SKIP_1) | instid1(SALU_CYCLE_1)
	v_cmp_le_i32_e32 vcc_lo, s10, v8
	s_or_b32 s3, vcc_lo, s3
	s_and_not1_b32 exec_lo, exec_lo, s3
	s_cbranch_execz .LBB72_24
.LBB72_8:                               ; =>This Loop Header: Depth=1
                                        ;     Child Loop BB72_12 Depth 2
                                        ;       Child Loop BB72_15 Depth 3
	v_mov_b64_e32 v[0:1], 0
	s_and_not1_b32 vcc_lo, exec_lo, s19
	s_cbranch_vccnz .LBB72_19
; %bb.9:                                ;   in Loop: Header=BB72_8 Depth=1
	v_mov_b64_e32 v[0:1], 0
	s_wait_dscnt 0x1
	s_delay_alu instid0(VALU_DEP_4)
	v_mov_b32_e32 v6, v10
	s_mov_b32 s16, s9
	s_branch .LBB72_12
.LBB72_10:                              ;   in Loop: Header=BB72_12 Depth=2
	s_or_b32 exec_lo, exec_lo, s25
.LBB72_11:                              ;   in Loop: Header=BB72_12 Depth=2
	s_delay_alu instid0(SALU_CYCLE_1) | instskip(SKIP_2) | instid1(SALU_CYCLE_1)
	s_or_b32 exec_lo, exec_lo, s24
	v_add_nc_u32_e32 v6, s23, v6
	s_add_co_i32 s16, s16, 1
	s_cmp_ge_i32 s16, s18
	s_cbranch_scc1 .LBB72_19
.LBB72_12:                              ;   Parent Loop BB72_8 Depth=1
                                        ; =>  This Loop Header: Depth=2
                                        ;       Child Loop BB72_15 Depth 3
	s_and_saveexec_b32 s24, s1
	s_cbranch_execz .LBB72_11
; %bb.13:                               ;   in Loop: Header=BB72_12 Depth=2
	s_ashr_i32 s17, s16, 31
	s_wait_dscnt 0x0
	v_mov_b32_e32 v7, v9
	s_lshl_b64 s[26:27], s[16:17], 2
	s_mov_b32 s25, 0
	s_add_nc_u64 s[26:27], s[6:7], s[26:27]
	s_load_b32 s17, s[26:27], 0x0
	s_wait_kmcnt 0x0
	s_wait_xcnt 0x0
	s_sub_co_i32 s26, s17, s8
	s_mul_i32 s17, s16, s11
	s_mul_i32 s26, s26, s11
	s_branch .LBB72_15
.LBB72_14:                              ;   in Loop: Header=BB72_15 Depth=3
	v_dual_add_nc_u32 v20, s26, v7 :: v_dual_add_nc_u32 v7, 16, v7
	global_load_b64 v[16:17], v15, s[4:5] scale_offset
	global_load_b64 v[18:19], v20, s[12:13] scale_offset
	v_cmp_le_i32_e32 vcc_lo, s11, v7
	s_or_b32 s25, vcc_lo, s25
	s_wait_loadcnt 0x0
	v_fmac_f64_e32 v[0:1], v[16:17], v[18:19]
	s_wait_xcnt 0x0
	s_and_not1_b32 exec_lo, exec_lo, s25
	s_cbranch_execz .LBB72_10
.LBB72_15:                              ;   Parent Loop BB72_8 Depth=1
                                        ;     Parent Loop BB72_12 Depth=2
                                        ; =>    This Inner Loop Header: Depth=3
	s_and_b32 vcc_lo, exec_lo, s20
	s_cbranch_vccz .LBB72_17
; %bb.16:                               ;   in Loop: Header=BB72_15 Depth=3
	v_add_nc_u32_e32 v15, s17, v7
	s_delay_alu instid0(VALU_DEP_1)
	v_mad_u32 v15, v15, s10, v8
	s_cbranch_execnz .LBB72_14
	s_branch .LBB72_18
.LBB72_17:                              ;   in Loop: Header=BB72_15 Depth=3
                                        ; implicit-def: $vgpr15
.LBB72_18:                              ;   in Loop: Header=BB72_15 Depth=3
	v_add_nc_u32_e32 v15, v6, v7
	s_branch .LBB72_14
.LBB72_19:                              ;   in Loop: Header=BB72_8 Depth=1
	s_wait_dscnt 0x1
	ds_bpermute_b32 v6, v11, v0
	s_wait_dscnt 0x1
	ds_bpermute_b32 v7, v11, v1
	s_wait_dscnt 0x0
	v_add_f64_e32 v[0:1], v[0:1], v[6:7]
	ds_bpermute_b32 v6, v12, v0
	ds_bpermute_b32 v7, v12, v1
	s_wait_dscnt 0x0
	v_add_f64_e32 v[0:1], v[0:1], v[6:7]
	ds_bpermute_b32 v6, v13, v0
	;; [unrolled: 4-line block ×3, first 2 shown]
	ds_bpermute_b32 v7, v14, v1
	s_and_saveexec_b32 s16, s2
	s_cbranch_execz .LBB72_7
; %bb.20:                               ;   in Loop: Header=BB72_8 Depth=1
	s_wait_dscnt 0x0
	v_dual_add_f64 v[0:1], v[0:1], v[6:7] :: v_dual_add_nc_u32 v6, s21, v8
	s_delay_alu instid0(VALU_DEP_1) | instskip(SKIP_1) | instid1(SALU_CYCLE_1)
	v_mul_f64_e32 v[0:1], v[2:3], v[0:1]
	s_and_saveexec_b32 s17, s0
	s_xor_b32 s17, exec_lo, s17
	s_cbranch_execz .LBB72_22
; %bb.21:                               ;   in Loop: Header=BB72_8 Depth=1
	global_store_b64 v6, v[0:1], s[14:15] scale_offset
                                        ; implicit-def: $vgpr6
                                        ; implicit-def: $vgpr0_vgpr1
.LBB72_22:                              ;   in Loop: Header=BB72_8 Depth=1
	s_wait_xcnt 0x0
	s_and_not1_saveexec_b32 s17, s17
	s_cbranch_execz .LBB72_7
; %bb.23:                               ;   in Loop: Header=BB72_8 Depth=1
	global_load_b64 v[16:17], v6, s[14:15] scale_offset
	s_wait_loadcnt 0x0
	v_fmac_f64_e32 v[0:1], v[4:5], v[16:17]
	global_store_b64 v6, v[0:1], s[14:15] scale_offset
	s_branch .LBB72_7
.LBB72_24:
	s_endpgm
	.section	.rodata,"a",@progbits
	.p2align	6, 0x0
	.amdhsa_kernel _ZN9rocsparseL23gebsrmvn_general_kernelILj64ELj16EdEEvi20rocsparse_direction_NS_24const_host_device_scalarIT1_EEPKiS6_PKS3_iiS8_S4_PS3_21rocsparse_index_base_b
		.amdhsa_group_segment_fixed_size 0
		.amdhsa_private_segment_fixed_size 0
		.amdhsa_kernarg_size 80
		.amdhsa_user_sgpr_count 2
		.amdhsa_user_sgpr_dispatch_ptr 0
		.amdhsa_user_sgpr_queue_ptr 0
		.amdhsa_user_sgpr_kernarg_segment_ptr 1
		.amdhsa_user_sgpr_dispatch_id 0
		.amdhsa_user_sgpr_kernarg_preload_length 0
		.amdhsa_user_sgpr_kernarg_preload_offset 0
		.amdhsa_user_sgpr_private_segment_size 0
		.amdhsa_wavefront_size32 1
		.amdhsa_uses_dynamic_stack 0
		.amdhsa_enable_private_segment 0
		.amdhsa_system_sgpr_workgroup_id_x 1
		.amdhsa_system_sgpr_workgroup_id_y 0
		.amdhsa_system_sgpr_workgroup_id_z 0
		.amdhsa_system_sgpr_workgroup_info 0
		.amdhsa_system_vgpr_workitem_id 0
		.amdhsa_next_free_vgpr 21
		.amdhsa_next_free_sgpr 28
		.amdhsa_named_barrier_count 0
		.amdhsa_reserve_vcc 1
		.amdhsa_float_round_mode_32 0
		.amdhsa_float_round_mode_16_64 0
		.amdhsa_float_denorm_mode_32 3
		.amdhsa_float_denorm_mode_16_64 3
		.amdhsa_fp16_overflow 0
		.amdhsa_memory_ordered 1
		.amdhsa_forward_progress 1
		.amdhsa_inst_pref_size 8
		.amdhsa_round_robin_scheduling 0
		.amdhsa_exception_fp_ieee_invalid_op 0
		.amdhsa_exception_fp_denorm_src 0
		.amdhsa_exception_fp_ieee_div_zero 0
		.amdhsa_exception_fp_ieee_overflow 0
		.amdhsa_exception_fp_ieee_underflow 0
		.amdhsa_exception_fp_ieee_inexact 0
		.amdhsa_exception_int_div_zero 0
	.end_amdhsa_kernel
	.section	.text._ZN9rocsparseL23gebsrmvn_general_kernelILj64ELj16EdEEvi20rocsparse_direction_NS_24const_host_device_scalarIT1_EEPKiS6_PKS3_iiS8_S4_PS3_21rocsparse_index_base_b,"axG",@progbits,_ZN9rocsparseL23gebsrmvn_general_kernelILj64ELj16EdEEvi20rocsparse_direction_NS_24const_host_device_scalarIT1_EEPKiS6_PKS3_iiS8_S4_PS3_21rocsparse_index_base_b,comdat
.Lfunc_end72:
	.size	_ZN9rocsparseL23gebsrmvn_general_kernelILj64ELj16EdEEvi20rocsparse_direction_NS_24const_host_device_scalarIT1_EEPKiS6_PKS3_iiS8_S4_PS3_21rocsparse_index_base_b, .Lfunc_end72-_ZN9rocsparseL23gebsrmvn_general_kernelILj64ELj16EdEEvi20rocsparse_direction_NS_24const_host_device_scalarIT1_EEPKiS6_PKS3_iiS8_S4_PS3_21rocsparse_index_base_b
                                        ; -- End function
	.set _ZN9rocsparseL23gebsrmvn_general_kernelILj64ELj16EdEEvi20rocsparse_direction_NS_24const_host_device_scalarIT1_EEPKiS6_PKS3_iiS8_S4_PS3_21rocsparse_index_base_b.num_vgpr, 21
	.set _ZN9rocsparseL23gebsrmvn_general_kernelILj64ELj16EdEEvi20rocsparse_direction_NS_24const_host_device_scalarIT1_EEPKiS6_PKS3_iiS8_S4_PS3_21rocsparse_index_base_b.num_agpr, 0
	.set _ZN9rocsparseL23gebsrmvn_general_kernelILj64ELj16EdEEvi20rocsparse_direction_NS_24const_host_device_scalarIT1_EEPKiS6_PKS3_iiS8_S4_PS3_21rocsparse_index_base_b.numbered_sgpr, 28
	.set _ZN9rocsparseL23gebsrmvn_general_kernelILj64ELj16EdEEvi20rocsparse_direction_NS_24const_host_device_scalarIT1_EEPKiS6_PKS3_iiS8_S4_PS3_21rocsparse_index_base_b.num_named_barrier, 0
	.set _ZN9rocsparseL23gebsrmvn_general_kernelILj64ELj16EdEEvi20rocsparse_direction_NS_24const_host_device_scalarIT1_EEPKiS6_PKS3_iiS8_S4_PS3_21rocsparse_index_base_b.private_seg_size, 0
	.set _ZN9rocsparseL23gebsrmvn_general_kernelILj64ELj16EdEEvi20rocsparse_direction_NS_24const_host_device_scalarIT1_EEPKiS6_PKS3_iiS8_S4_PS3_21rocsparse_index_base_b.uses_vcc, 1
	.set _ZN9rocsparseL23gebsrmvn_general_kernelILj64ELj16EdEEvi20rocsparse_direction_NS_24const_host_device_scalarIT1_EEPKiS6_PKS3_iiS8_S4_PS3_21rocsparse_index_base_b.uses_flat_scratch, 0
	.set _ZN9rocsparseL23gebsrmvn_general_kernelILj64ELj16EdEEvi20rocsparse_direction_NS_24const_host_device_scalarIT1_EEPKiS6_PKS3_iiS8_S4_PS3_21rocsparse_index_base_b.has_dyn_sized_stack, 0
	.set _ZN9rocsparseL23gebsrmvn_general_kernelILj64ELj16EdEEvi20rocsparse_direction_NS_24const_host_device_scalarIT1_EEPKiS6_PKS3_iiS8_S4_PS3_21rocsparse_index_base_b.has_recursion, 0
	.set _ZN9rocsparseL23gebsrmvn_general_kernelILj64ELj16EdEEvi20rocsparse_direction_NS_24const_host_device_scalarIT1_EEPKiS6_PKS3_iiS8_S4_PS3_21rocsparse_index_base_b.has_indirect_call, 0
	.section	.AMDGPU.csdata,"",@progbits
; Kernel info:
; codeLenInByte = 932
; TotalNumSgprs: 30
; NumVgprs: 21
; ScratchSize: 0
; MemoryBound: 0
; FloatMode: 240
; IeeeMode: 1
; LDSByteSize: 0 bytes/workgroup (compile time only)
; SGPRBlocks: 0
; VGPRBlocks: 1
; NumSGPRsForWavesPerEU: 30
; NumVGPRsForWavesPerEU: 21
; NamedBarCnt: 0
; Occupancy: 16
; WaveLimiterHint : 1
; COMPUTE_PGM_RSRC2:SCRATCH_EN: 0
; COMPUTE_PGM_RSRC2:USER_SGPR: 2
; COMPUTE_PGM_RSRC2:TRAP_HANDLER: 0
; COMPUTE_PGM_RSRC2:TGID_X_EN: 1
; COMPUTE_PGM_RSRC2:TGID_Y_EN: 0
; COMPUTE_PGM_RSRC2:TGID_Z_EN: 0
; COMPUTE_PGM_RSRC2:TIDIG_COMP_CNT: 0
	.section	.text._ZN9rocsparseL23gebsrmvn_general_kernelILj128ELj32EdEEvi20rocsparse_direction_NS_24const_host_device_scalarIT1_EEPKiS6_PKS3_iiS8_S4_PS3_21rocsparse_index_base_b,"axG",@progbits,_ZN9rocsparseL23gebsrmvn_general_kernelILj128ELj32EdEEvi20rocsparse_direction_NS_24const_host_device_scalarIT1_EEPKiS6_PKS3_iiS8_S4_PS3_21rocsparse_index_base_b,comdat
	.globl	_ZN9rocsparseL23gebsrmvn_general_kernelILj128ELj32EdEEvi20rocsparse_direction_NS_24const_host_device_scalarIT1_EEPKiS6_PKS3_iiS8_S4_PS3_21rocsparse_index_base_b ; -- Begin function _ZN9rocsparseL23gebsrmvn_general_kernelILj128ELj32EdEEvi20rocsparse_direction_NS_24const_host_device_scalarIT1_EEPKiS6_PKS3_iiS8_S4_PS3_21rocsparse_index_base_b
	.p2align	8
	.type	_ZN9rocsparseL23gebsrmvn_general_kernelILj128ELj32EdEEvi20rocsparse_direction_NS_24const_host_device_scalarIT1_EEPKiS6_PKS3_iiS8_S4_PS3_21rocsparse_index_base_b,@function
_ZN9rocsparseL23gebsrmvn_general_kernelILj128ELj32EdEEvi20rocsparse_direction_NS_24const_host_device_scalarIT1_EEPKiS6_PKS3_iiS8_S4_PS3_21rocsparse_index_base_b: ; @_ZN9rocsparseL23gebsrmvn_general_kernelILj128ELj32EdEEvi20rocsparse_direction_NS_24const_host_device_scalarIT1_EEPKiS6_PKS3_iiS8_S4_PS3_21rocsparse_index_base_b
; %bb.0:
	s_clause 0x2
	s_load_b64 s[8:9], s[0:1], 0x48
	s_load_b64 s[4:5], s[0:1], 0x8
	;; [unrolled: 1-line block ×3, first 2 shown]
	s_wait_kmcnt 0x0
	s_bitcmp1_b32 s9, 0
	v_mov_b64_e32 v[2:3], s[4:5]
	s_cselect_b32 s6, -1, 0
	s_delay_alu instid0(SALU_CYCLE_1)
	s_and_b32 vcc_lo, exec_lo, s6
	s_xor_b32 s6, s6, -1
	s_cbranch_vccnz .LBB73_2
; %bb.1:
	v_mov_b32_e32 v1, 0
	flat_load_b64 v[2:3], v1, s[4:5]
.LBB73_2:
	v_mov_b64_e32 v[4:5], s[2:3]
	s_and_not1_b32 vcc_lo, exec_lo, s6
	s_cbranch_vccnz .LBB73_4
; %bb.3:
	s_wait_xcnt 0x0
	v_mov_b32_e32 v1, 0
	flat_load_b64 v[4:5], v1, s[2:3]
.LBB73_4:
	s_wait_loadcnt_dscnt 0x0
	v_cmp_neq_f64_e32 vcc_lo, 0, v[2:3]
	s_delay_alu instid0(VALU_DEP_2) | instskip(SKIP_1) | instid1(SALU_CYCLE_1)
	v_cmp_neq_f64_e64 s2, 1.0, v[4:5]
	s_or_b32 s2, vcc_lo, s2
	s_and_saveexec_b32 s3, s2
	s_cbranch_execz .LBB73_24
; %bb.5:
	s_load_b64 s[10:11], s[0:1], 0x28
	v_lshrrev_b32_e32 v8, 5, v0
	s_wait_kmcnt 0x0
	s_delay_alu instid0(VALU_DEP_1)
	v_cmp_gt_i32_e32 vcc_lo, s10, v8
	s_and_b32 exec_lo, exec_lo, vcc_lo
	s_cbranch_execz .LBB73_24
; %bb.6:
	s_load_b128 s[4:7], s[0:1], 0x10
	s_bfe_u32 s2, ttmp6, 0x4000c
	s_and_b32 s3, ttmp6, 15
	s_add_co_i32 s2, s2, 1
	s_getreg_b32 s9, hwreg(HW_REG_IB_STS2, 6, 4)
	s_mul_i32 s2, ttmp9, s2
	v_and_b32_e32 v9, 31, v0
	s_add_co_i32 s3, s3, s2
	s_cmp_eq_u32 s9, 0
	v_mbcnt_lo_u32_b32 v0, -1, 0
	s_cselect_b32 s16, ttmp9, s3
	s_mul_i32 s23, s11, s10
	s_ashr_i32 s17, s16, 31
	s_delay_alu instid0(SALU_CYCLE_1)
	s_lshl_b64 s[2:3], s[16:17], 2
	s_load_b32 s17, s[0:1], 0x4
	v_xor_b32_e32 v6, 8, v0
	v_xor_b32_e32 v1, 16, v0
	;; [unrolled: 1-line block ×4, first 2 shown]
	s_wait_kmcnt 0x0
	s_add_nc_u64 s[2:3], s[4:5], s[2:3]
	v_cmp_gt_i32_e32 vcc_lo, 32, v1
	s_load_b64 s[20:21], s[2:3], 0x0
	s_clause 0x2
	s_load_b64 s[4:5], s[0:1], 0x20
	s_load_b64 s[12:13], s[0:1], 0x30
	;; [unrolled: 1-line block ×3, first 2 shown]
	s_wait_xcnt 0x0
	v_cmp_eq_f64_e64 s0, 0, v[4:5]
	s_mov_b32 s3, 0
	v_cndmask_b32_e32 v1, v0, v1, vcc_lo
	v_cmp_gt_i32_e64 s1, s11, v9
	v_cmp_eq_u32_e64 s2, 31, v9
	s_delay_alu instid0(VALU_DEP_3)
	v_lshlrev_b32_e32 v10, 2, v1
	v_cmp_gt_i32_e32 vcc_lo, 32, v6
	v_cndmask_b32_e32 v6, v0, v6, vcc_lo
	v_cmp_gt_i32_e32 vcc_lo, 32, v7
	s_wait_kmcnt 0x0
	s_sub_co_i32 s9, s20, s8
	v_cndmask_b32_e32 v7, v0, v7, vcc_lo
	v_mad_u32 v1, s10, s9, v8
	v_xor_b32_e32 v12, 1, v0
	v_cmp_gt_i32_e32 vcc_lo, 32, v11
	s_sub_co_i32 s18, s21, s8
	v_lshlrev_b32_e32 v13, 2, v7
	s_cmp_lt_i32 s20, s21
	s_mul_i32 s21, s10, s16
	v_cndmask_b32_e32 v14, v0, v11, vcc_lo
	v_cmp_gt_i32_e32 vcc_lo, 32, v12
	s_cselect_b32 s19, -1, 0
	s_cmp_lg_u32 s17, 0
	v_mul_lo_u32 v11, s11, v1
	s_cselect_b32 s20, -1, 0
	v_dual_cndmask_b32 v0, v0, v12, vcc_lo :: v_dual_lshlrev_b32 v12, 2, v6
	v_lshlrev_b32_e32 v14, 2, v14
	s_lshl_b32 s22, s11, 2
	s_delay_alu instid0(VALU_DEP_2)
	v_lshlrev_b32_e32 v15, 2, v0
	s_branch .LBB73_8
.LBB73_7:                               ;   in Loop: Header=BB73_8 Depth=1
	s_wait_xcnt 0x0
	s_or_b32 exec_lo, exec_lo, s16
	v_dual_add_nc_u32 v8, 4, v8 :: v_dual_add_nc_u32 v11, s22, v11
	s_delay_alu instid0(VALU_DEP_1) | instskip(SKIP_1) | instid1(SALU_CYCLE_1)
	v_cmp_le_i32_e32 vcc_lo, s10, v8
	s_or_b32 s3, vcc_lo, s3
	s_and_not1_b32 exec_lo, exec_lo, s3
	s_cbranch_execz .LBB73_24
.LBB73_8:                               ; =>This Loop Header: Depth=1
                                        ;     Child Loop BB73_12 Depth 2
                                        ;       Child Loop BB73_15 Depth 3
	v_mov_b64_e32 v[0:1], 0
	s_and_not1_b32 vcc_lo, exec_lo, s19
	s_cbranch_vccnz .LBB73_19
; %bb.9:                                ;   in Loop: Header=BB73_8 Depth=1
	v_mov_b64_e32 v[0:1], 0
	s_wait_dscnt 0x1
	v_mov_b32_e32 v6, v11
	s_mov_b32 s16, s9
	s_branch .LBB73_12
.LBB73_10:                              ;   in Loop: Header=BB73_12 Depth=2
	s_or_b32 exec_lo, exec_lo, s25
.LBB73_11:                              ;   in Loop: Header=BB73_12 Depth=2
	s_delay_alu instid0(SALU_CYCLE_1) | instskip(SKIP_2) | instid1(SALU_CYCLE_1)
	s_or_b32 exec_lo, exec_lo, s24
	v_add_nc_u32_e32 v6, s23, v6
	s_add_co_i32 s16, s16, 1
	s_cmp_ge_i32 s16, s18
	s_cbranch_scc1 .LBB73_19
.LBB73_12:                              ;   Parent Loop BB73_8 Depth=1
                                        ; =>  This Loop Header: Depth=2
                                        ;       Child Loop BB73_15 Depth 3
	s_and_saveexec_b32 s24, s1
	s_cbranch_execz .LBB73_11
; %bb.13:                               ;   in Loop: Header=BB73_12 Depth=2
	s_ashr_i32 s17, s16, 31
	s_wait_dscnt 0x0
	v_mov_b32_e32 v7, v9
	s_lshl_b64 s[26:27], s[16:17], 2
	s_mov_b32 s25, 0
	s_add_nc_u64 s[26:27], s[6:7], s[26:27]
	s_load_b32 s17, s[26:27], 0x0
	s_wait_kmcnt 0x0
	s_wait_xcnt 0x0
	s_sub_co_i32 s26, s17, s8
	s_mul_i32 s17, s16, s11
	s_mul_i32 s26, s26, s11
	s_branch .LBB73_15
.LBB73_14:                              ;   in Loop: Header=BB73_15 Depth=3
	v_dual_add_nc_u32 v17, s26, v7 :: v_dual_add_nc_u32 v7, 32, v7
	global_load_b64 v[18:19], v16, s[4:5] scale_offset
	global_load_b64 v[20:21], v17, s[12:13] scale_offset
	v_cmp_le_i32_e32 vcc_lo, s11, v7
	s_or_b32 s25, vcc_lo, s25
	s_wait_loadcnt 0x0
	v_fmac_f64_e32 v[0:1], v[18:19], v[20:21]
	s_wait_xcnt 0x0
	s_and_not1_b32 exec_lo, exec_lo, s25
	s_cbranch_execz .LBB73_10
.LBB73_15:                              ;   Parent Loop BB73_8 Depth=1
                                        ;     Parent Loop BB73_12 Depth=2
                                        ; =>    This Inner Loop Header: Depth=3
	s_and_b32 vcc_lo, exec_lo, s20
	s_cbranch_vccz .LBB73_17
; %bb.16:                               ;   in Loop: Header=BB73_15 Depth=3
	v_add_nc_u32_e32 v16, s17, v7
	s_delay_alu instid0(VALU_DEP_1)
	v_mad_u32 v16, v16, s10, v8
	s_cbranch_execnz .LBB73_14
	s_branch .LBB73_18
.LBB73_17:                              ;   in Loop: Header=BB73_15 Depth=3
                                        ; implicit-def: $vgpr16
.LBB73_18:                              ;   in Loop: Header=BB73_15 Depth=3
	v_add_nc_u32_e32 v16, v6, v7
	s_branch .LBB73_14
.LBB73_19:                              ;   in Loop: Header=BB73_8 Depth=1
	s_wait_dscnt 0x1
	ds_bpermute_b32 v6, v10, v0
	s_wait_dscnt 0x1
	ds_bpermute_b32 v7, v10, v1
	s_wait_dscnt 0x0
	v_add_f64_e32 v[0:1], v[0:1], v[6:7]
	ds_bpermute_b32 v6, v12, v0
	ds_bpermute_b32 v7, v12, v1
	s_wait_dscnt 0x0
	v_add_f64_e32 v[0:1], v[0:1], v[6:7]
	ds_bpermute_b32 v6, v13, v0
	;; [unrolled: 4-line block ×4, first 2 shown]
	ds_bpermute_b32 v7, v15, v1
	s_and_saveexec_b32 s16, s2
	s_cbranch_execz .LBB73_7
; %bb.20:                               ;   in Loop: Header=BB73_8 Depth=1
	s_wait_dscnt 0x0
	v_dual_add_f64 v[0:1], v[0:1], v[6:7] :: v_dual_add_nc_u32 v6, s21, v8
	s_delay_alu instid0(VALU_DEP_1) | instskip(SKIP_1) | instid1(SALU_CYCLE_1)
	v_mul_f64_e32 v[0:1], v[2:3], v[0:1]
	s_and_saveexec_b32 s17, s0
	s_xor_b32 s17, exec_lo, s17
	s_cbranch_execz .LBB73_22
; %bb.21:                               ;   in Loop: Header=BB73_8 Depth=1
	global_store_b64 v6, v[0:1], s[14:15] scale_offset
                                        ; implicit-def: $vgpr6
                                        ; implicit-def: $vgpr0_vgpr1
.LBB73_22:                              ;   in Loop: Header=BB73_8 Depth=1
	s_wait_xcnt 0x0
	s_and_not1_saveexec_b32 s17, s17
	s_cbranch_execz .LBB73_7
; %bb.23:                               ;   in Loop: Header=BB73_8 Depth=1
	global_load_b64 v[16:17], v6, s[14:15] scale_offset
	s_wait_loadcnt 0x0
	v_fmac_f64_e32 v[0:1], v[4:5], v[16:17]
	global_store_b64 v6, v[0:1], s[14:15] scale_offset
	s_branch .LBB73_7
.LBB73_24:
	s_endpgm
	.section	.rodata,"a",@progbits
	.p2align	6, 0x0
	.amdhsa_kernel _ZN9rocsparseL23gebsrmvn_general_kernelILj128ELj32EdEEvi20rocsparse_direction_NS_24const_host_device_scalarIT1_EEPKiS6_PKS3_iiS8_S4_PS3_21rocsparse_index_base_b
		.amdhsa_group_segment_fixed_size 0
		.amdhsa_private_segment_fixed_size 0
		.amdhsa_kernarg_size 80
		.amdhsa_user_sgpr_count 2
		.amdhsa_user_sgpr_dispatch_ptr 0
		.amdhsa_user_sgpr_queue_ptr 0
		.amdhsa_user_sgpr_kernarg_segment_ptr 1
		.amdhsa_user_sgpr_dispatch_id 0
		.amdhsa_user_sgpr_kernarg_preload_length 0
		.amdhsa_user_sgpr_kernarg_preload_offset 0
		.amdhsa_user_sgpr_private_segment_size 0
		.amdhsa_wavefront_size32 1
		.amdhsa_uses_dynamic_stack 0
		.amdhsa_enable_private_segment 0
		.amdhsa_system_sgpr_workgroup_id_x 1
		.amdhsa_system_sgpr_workgroup_id_y 0
		.amdhsa_system_sgpr_workgroup_id_z 0
		.amdhsa_system_sgpr_workgroup_info 0
		.amdhsa_system_vgpr_workitem_id 0
		.amdhsa_next_free_vgpr 22
		.amdhsa_next_free_sgpr 28
		.amdhsa_named_barrier_count 0
		.amdhsa_reserve_vcc 1
		.amdhsa_float_round_mode_32 0
		.amdhsa_float_round_mode_16_64 0
		.amdhsa_float_denorm_mode_32 3
		.amdhsa_float_denorm_mode_16_64 3
		.amdhsa_fp16_overflow 0
		.amdhsa_memory_ordered 1
		.amdhsa_forward_progress 1
		.amdhsa_inst_pref_size 8
		.amdhsa_round_robin_scheduling 0
		.amdhsa_exception_fp_ieee_invalid_op 0
		.amdhsa_exception_fp_denorm_src 0
		.amdhsa_exception_fp_ieee_div_zero 0
		.amdhsa_exception_fp_ieee_overflow 0
		.amdhsa_exception_fp_ieee_underflow 0
		.amdhsa_exception_fp_ieee_inexact 0
		.amdhsa_exception_int_div_zero 0
	.end_amdhsa_kernel
	.section	.text._ZN9rocsparseL23gebsrmvn_general_kernelILj128ELj32EdEEvi20rocsparse_direction_NS_24const_host_device_scalarIT1_EEPKiS6_PKS3_iiS8_S4_PS3_21rocsparse_index_base_b,"axG",@progbits,_ZN9rocsparseL23gebsrmvn_general_kernelILj128ELj32EdEEvi20rocsparse_direction_NS_24const_host_device_scalarIT1_EEPKiS6_PKS3_iiS8_S4_PS3_21rocsparse_index_base_b,comdat
.Lfunc_end73:
	.size	_ZN9rocsparseL23gebsrmvn_general_kernelILj128ELj32EdEEvi20rocsparse_direction_NS_24const_host_device_scalarIT1_EEPKiS6_PKS3_iiS8_S4_PS3_21rocsparse_index_base_b, .Lfunc_end73-_ZN9rocsparseL23gebsrmvn_general_kernelILj128ELj32EdEEvi20rocsparse_direction_NS_24const_host_device_scalarIT1_EEPKiS6_PKS3_iiS8_S4_PS3_21rocsparse_index_base_b
                                        ; -- End function
	.set _ZN9rocsparseL23gebsrmvn_general_kernelILj128ELj32EdEEvi20rocsparse_direction_NS_24const_host_device_scalarIT1_EEPKiS6_PKS3_iiS8_S4_PS3_21rocsparse_index_base_b.num_vgpr, 22
	.set _ZN9rocsparseL23gebsrmvn_general_kernelILj128ELj32EdEEvi20rocsparse_direction_NS_24const_host_device_scalarIT1_EEPKiS6_PKS3_iiS8_S4_PS3_21rocsparse_index_base_b.num_agpr, 0
	.set _ZN9rocsparseL23gebsrmvn_general_kernelILj128ELj32EdEEvi20rocsparse_direction_NS_24const_host_device_scalarIT1_EEPKiS6_PKS3_iiS8_S4_PS3_21rocsparse_index_base_b.numbered_sgpr, 28
	.set _ZN9rocsparseL23gebsrmvn_general_kernelILj128ELj32EdEEvi20rocsparse_direction_NS_24const_host_device_scalarIT1_EEPKiS6_PKS3_iiS8_S4_PS3_21rocsparse_index_base_b.num_named_barrier, 0
	.set _ZN9rocsparseL23gebsrmvn_general_kernelILj128ELj32EdEEvi20rocsparse_direction_NS_24const_host_device_scalarIT1_EEPKiS6_PKS3_iiS8_S4_PS3_21rocsparse_index_base_b.private_seg_size, 0
	.set _ZN9rocsparseL23gebsrmvn_general_kernelILj128ELj32EdEEvi20rocsparse_direction_NS_24const_host_device_scalarIT1_EEPKiS6_PKS3_iiS8_S4_PS3_21rocsparse_index_base_b.uses_vcc, 1
	.set _ZN9rocsparseL23gebsrmvn_general_kernelILj128ELj32EdEEvi20rocsparse_direction_NS_24const_host_device_scalarIT1_EEPKiS6_PKS3_iiS8_S4_PS3_21rocsparse_index_base_b.uses_flat_scratch, 0
	.set _ZN9rocsparseL23gebsrmvn_general_kernelILj128ELj32EdEEvi20rocsparse_direction_NS_24const_host_device_scalarIT1_EEPKiS6_PKS3_iiS8_S4_PS3_21rocsparse_index_base_b.has_dyn_sized_stack, 0
	.set _ZN9rocsparseL23gebsrmvn_general_kernelILj128ELj32EdEEvi20rocsparse_direction_NS_24const_host_device_scalarIT1_EEPKiS6_PKS3_iiS8_S4_PS3_21rocsparse_index_base_b.has_recursion, 0
	.set _ZN9rocsparseL23gebsrmvn_general_kernelILj128ELj32EdEEvi20rocsparse_direction_NS_24const_host_device_scalarIT1_EEPKiS6_PKS3_iiS8_S4_PS3_21rocsparse_index_base_b.has_indirect_call, 0
	.section	.AMDGPU.csdata,"",@progbits
; Kernel info:
; codeLenInByte = 972
; TotalNumSgprs: 30
; NumVgprs: 22
; ScratchSize: 0
; MemoryBound: 0
; FloatMode: 240
; IeeeMode: 1
; LDSByteSize: 0 bytes/workgroup (compile time only)
; SGPRBlocks: 0
; VGPRBlocks: 1
; NumSGPRsForWavesPerEU: 30
; NumVGPRsForWavesPerEU: 22
; NamedBarCnt: 0
; Occupancy: 16
; WaveLimiterHint : 1
; COMPUTE_PGM_RSRC2:SCRATCH_EN: 0
; COMPUTE_PGM_RSRC2:USER_SGPR: 2
; COMPUTE_PGM_RSRC2:TRAP_HANDLER: 0
; COMPUTE_PGM_RSRC2:TGID_X_EN: 1
; COMPUTE_PGM_RSRC2:TGID_Y_EN: 0
; COMPUTE_PGM_RSRC2:TGID_Z_EN: 0
; COMPUTE_PGM_RSRC2:TIDIG_COMP_CNT: 0
	.section	.text._ZN9rocsparseL19gebsrmvn_4xn_kernelILj128ELj1ELj4E21rocsparse_complex_numIfEEEvi20rocsparse_direction_NS_24const_host_device_scalarIT2_EEPKiS8_PKS5_SA_S6_PS5_21rocsparse_index_base_b,"axG",@progbits,_ZN9rocsparseL19gebsrmvn_4xn_kernelILj128ELj1ELj4E21rocsparse_complex_numIfEEEvi20rocsparse_direction_NS_24const_host_device_scalarIT2_EEPKiS8_PKS5_SA_S6_PS5_21rocsparse_index_base_b,comdat
	.globl	_ZN9rocsparseL19gebsrmvn_4xn_kernelILj128ELj1ELj4E21rocsparse_complex_numIfEEEvi20rocsparse_direction_NS_24const_host_device_scalarIT2_EEPKiS8_PKS5_SA_S6_PS5_21rocsparse_index_base_b ; -- Begin function _ZN9rocsparseL19gebsrmvn_4xn_kernelILj128ELj1ELj4E21rocsparse_complex_numIfEEEvi20rocsparse_direction_NS_24const_host_device_scalarIT2_EEPKiS8_PKS5_SA_S6_PS5_21rocsparse_index_base_b
	.p2align	8
	.type	_ZN9rocsparseL19gebsrmvn_4xn_kernelILj128ELj1ELj4E21rocsparse_complex_numIfEEEvi20rocsparse_direction_NS_24const_host_device_scalarIT2_EEPKiS8_PKS5_SA_S6_PS5_21rocsparse_index_base_b,@function
_ZN9rocsparseL19gebsrmvn_4xn_kernelILj128ELj1ELj4E21rocsparse_complex_numIfEEEvi20rocsparse_direction_NS_24const_host_device_scalarIT2_EEPKiS8_PKS5_SA_S6_PS5_21rocsparse_index_base_b: ; @_ZN9rocsparseL19gebsrmvn_4xn_kernelILj128ELj1ELj4E21rocsparse_complex_numIfEEEvi20rocsparse_direction_NS_24const_host_device_scalarIT2_EEPKiS8_PKS5_SA_S6_PS5_21rocsparse_index_base_b
; %bb.0:
	s_clause 0x2
	s_load_b64 s[12:13], s[0:1], 0x40
	s_load_b64 s[2:3], s[0:1], 0x8
	;; [unrolled: 1-line block ×3, first 2 shown]
	v_mov_b32_e32 v1, 0
	s_add_nc_u64 s[6:7], s[0:1], 8
	s_add_nc_u64 s[8:9], s[0:1], 48
	s_wait_kmcnt 0x0
	s_bitcmp1_b32 s13, 0
	s_cselect_b32 s3, s7, s3
	s_cselect_b32 s2, s6, s2
	;; [unrolled: 1-line block ×4, first 2 shown]
	s_clause 0x1
	flat_load_b64 v[2:3], v1, s[2:3]
	flat_load_b64 v[4:5], v1, s[4:5]
	s_wait_loadcnt_dscnt 0x101
	v_cmp_eq_f32_e32 vcc_lo, 0, v2
	v_cmp_eq_f32_e64 s2, 0, v3
	s_wait_loadcnt_dscnt 0x0
	v_cmp_eq_f32_e64 s3, 1.0, v4
	v_cmp_eq_f32_e64 s4, 0, v5
	s_and_b32 s2, vcc_lo, s2
	s_and_b32 s3, s3, s4
	s_delay_alu instid0(SALU_CYCLE_1) | instskip(NEXT) | instid1(SALU_CYCLE_1)
	s_and_b32 s2, s2, s3
	s_xor_b32 s2, s2, -1
	s_delay_alu instid0(SALU_CYCLE_1)
	s_and_saveexec_b32 s3, s2
	s_cbranch_execz .LBB74_19
; %bb.1:
	s_load_b64 s[2:3], s[0:1], 0x0
	s_bfe_u32 s4, ttmp6, 0x4000c
	s_and_b32 s5, ttmp6, 15
	s_add_co_i32 s4, s4, 1
	s_getreg_b32 s6, hwreg(HW_REG_IB_STS2, 6, 4)
	s_mul_i32 s4, ttmp9, s4
	v_lshrrev_b32_e32 v1, 2, v0
	s_add_co_i32 s5, s5, s4
	s_cmp_eq_u32 s6, 0
	s_cselect_b32 s4, ttmp9, s5
	s_delay_alu instid0(VALU_DEP_1) | instid1(SALU_CYCLE_1)
	v_lshl_or_b32 v6, s4, 5, v1
	s_wait_kmcnt 0x0
	s_delay_alu instid0(VALU_DEP_1)
	v_cmp_gt_i32_e32 vcc_lo, s2, v6
	s_and_b32 exec_lo, exec_lo, vcc_lo
	s_cbranch_execz .LBB74_19
; %bb.2:
	s_load_b256 s[4:11], s[0:1], 0x10
	v_ashrrev_i32_e32 v7, 31, v6
	s_cmp_lg_u32 s3, 0
	s_wait_kmcnt 0x0
	s_delay_alu instid0(VALU_DEP_1)
	v_lshl_add_u64 v[8:9], v[6:7], 2, s[4:5]
	v_and_b32_e32 v7, 3, v0
	global_load_b64 v[8:9], v[8:9], off
	s_wait_loadcnt 0x0
	v_subrev_nc_u32_e32 v0, s12, v8
	v_subrev_nc_u32_e32 v16, s12, v9
	s_delay_alu instid0(VALU_DEP_2) | instskip(NEXT) | instid1(VALU_DEP_1)
	v_add_nc_u32_e32 v17, v0, v7
	v_cmp_lt_i32_e64 s2, v17, v16
	s_cbranch_scc0 .LBB74_8
; %bb.3:
	v_mov_b32_e32 v9, 0
	s_delay_alu instid0(VALU_DEP_1)
	v_dual_mov_b32 v8, v9 :: v_dual_mov_b32 v1, v9
	v_dual_mov_b32 v0, v9 :: v_dual_mov_b32 v11, v9
	;; [unrolled: 1-line block ×3, first 2 shown]
	v_mov_b32_e32 v12, v9
	s_and_saveexec_b32 s3, s2
	s_cbranch_execz .LBB74_7
; %bb.4:
	v_dual_mov_b32 v15, 0 :: v_dual_lshlrev_b32 v14, 2, v17
	v_mov_b32_e32 v18, v17
	s_mov_b32 s4, 0
	s_delay_alu instid0(VALU_DEP_2)
	v_dual_mov_b32 v12, v15 :: v_dual_mov_b32 v13, v15
	v_dual_mov_b32 v10, v15 :: v_dual_mov_b32 v11, v15
	;; [unrolled: 1-line block ×4, first 2 shown]
.LBB74_5:                               ; =>This Inner Loop Header: Depth=1
	global_load_b32 v19, v18, s[6:7] scale_offset
	v_lshl_add_u64 v[28:29], v[14:15], 3, s[8:9]
	global_load_b128 v[20:23], v[28:29], off
	s_wait_xcnt 0x1
	v_add_nc_u32_e32 v18, 4, v18
	s_wait_loadcnt 0x1
	v_subrev_nc_u32_e32 v19, s12, v19
	global_load_b128 v[24:27], v[28:29], off offset:16
	global_load_b64 v[30:31], v19, s[10:11] scale_offset
	v_add_nc_u32_e32 v14, 16, v14
	s_wait_loadcnt 0x2
	s_wait_xcnt 0x1
	v_xor_b32_e32 v28, 0x80000000, v23
	v_mov_b32_e32 v29, v22
	v_cmp_ge_i32_e32 vcc_lo, v18, v16
	s_or_b32 s4, vcc_lo, s4
	s_wait_loadcnt 0x1
	v_xor_b32_e32 v32, 0x80000000, v27
	v_mov_b32_e32 v33, v26
	s_wait_loadcnt 0x0
	v_pk_fma_f32 v[8:9], v[20:21], v[30:31], v[8:9] op_sel_hi:[1,0,1]
	v_pk_fma_f32 v[12:13], v[22:23], v[30:31], v[12:13] op_sel_hi:[1,0,1]
	;; [unrolled: 1-line block ×4, first 2 shown]
	s_delay_alu instid0(VALU_DEP_4) | instskip(NEXT) | instid1(VALU_DEP_4)
	v_pk_fma_f32 v[8:9], v[20:21], v[30:31], v[8:9] op_sel:[1,1,0] op_sel_hi:[0,1,1] neg_lo:[1,0,0]
	v_pk_fma_f32 v[12:13], v[28:29], v[30:31], v[12:13] op_sel:[0,1,0]
	s_delay_alu instid0(VALU_DEP_4) | instskip(NEXT) | instid1(VALU_DEP_4)
	v_pk_fma_f32 v[10:11], v[24:25], v[30:31], v[10:11] op_sel:[1,1,0] op_sel_hi:[0,1,1] neg_lo:[1,0,0]
	v_pk_fma_f32 v[0:1], v[32:33], v[30:31], v[0:1] op_sel:[0,1,0]
	s_and_not1_b32 exec_lo, exec_lo, s4
	s_cbranch_execnz .LBB74_5
; %bb.6:
	s_or_b32 exec_lo, exec_lo, s4
.LBB74_7:
	s_delay_alu instid0(SALU_CYCLE_1)
	s_or_b32 exec_lo, exec_lo, s3
	s_cbranch_execz .LBB74_9
	s_branch .LBB74_14
.LBB74_8:
                                        ; implicit-def: $vgpr9
                                        ; implicit-def: $vgpr1
                                        ; implicit-def: $vgpr11
                                        ; implicit-def: $vgpr13
.LBB74_9:
	v_mov_b32_e32 v9, 0
	s_delay_alu instid0(VALU_DEP_1)
	v_dual_mov_b32 v8, v9 :: v_dual_mov_b32 v1, v9
	v_dual_mov_b32 v0, v9 :: v_dual_mov_b32 v11, v9
	;; [unrolled: 1-line block ×3, first 2 shown]
	v_mov_b32_e32 v12, v9
	s_and_saveexec_b32 s3, s2
	s_cbranch_execz .LBB74_13
; %bb.10:
	v_dual_mov_b32 v15, 0 :: v_dual_lshlrev_b32 v14, 2, v17
	s_mov_b32 s2, 0
	s_delay_alu instid0(VALU_DEP_1)
	v_dual_mov_b32 v12, v15 :: v_dual_mov_b32 v13, v15
	v_dual_mov_b32 v10, v15 :: v_dual_mov_b32 v11, v15
	;; [unrolled: 1-line block ×4, first 2 shown]
.LBB74_11:                              ; =>This Inner Loop Header: Depth=1
	global_load_b32 v22, v17, s[6:7] scale_offset
	v_lshl_add_u64 v[26:27], v[14:15], 3, s[8:9]
	s_wait_xcnt 0x0
	v_dual_add_nc_u32 v17, 4, v17 :: v_dual_add_nc_u32 v14, 16, v14
	global_load_b128 v[18:21], v[26:27], off
	v_cmp_ge_i32_e32 vcc_lo, v17, v16
	s_or_b32 s2, vcc_lo, s2
	s_wait_loadcnt 0x1
	v_subrev_nc_u32_e32 v30, s12, v22
	global_load_b128 v[22:25], v[26:27], off offset:16
	global_load_b64 v[28:29], v30, s[10:11] scale_offset
	s_wait_loadcnt 0x2
	s_wait_xcnt 0x1
	v_xor_b32_e32 v26, 0x80000000, v21
	s_wait_loadcnt 0x1
	v_dual_mov_b32 v27, v20 :: v_dual_mov_b32 v31, v24
	s_wait_xcnt 0x0
	v_xor_b32_e32 v30, 0x80000000, v25
	s_wait_loadcnt 0x0
	v_pk_fma_f32 v[8:9], v[18:19], v[28:29], v[8:9] op_sel_hi:[1,0,1]
	v_pk_fma_f32 v[12:13], v[20:21], v[28:29], v[12:13] op_sel_hi:[1,0,1]
	;; [unrolled: 1-line block ×4, first 2 shown]
	s_delay_alu instid0(VALU_DEP_4) | instskip(NEXT) | instid1(VALU_DEP_4)
	v_pk_fma_f32 v[8:9], v[18:19], v[28:29], v[8:9] op_sel:[1,1,0] op_sel_hi:[0,1,1] neg_lo:[1,0,0]
	v_pk_fma_f32 v[12:13], v[26:27], v[28:29], v[12:13] op_sel:[0,1,0]
	s_delay_alu instid0(VALU_DEP_4) | instskip(NEXT) | instid1(VALU_DEP_4)
	v_pk_fma_f32 v[10:11], v[22:23], v[28:29], v[10:11] op_sel:[1,1,0] op_sel_hi:[0,1,1] neg_lo:[1,0,0]
	v_pk_fma_f32 v[0:1], v[30:31], v[28:29], v[0:1] op_sel:[0,1,0]
	s_and_not1_b32 exec_lo, exec_lo, s2
	s_cbranch_execnz .LBB74_11
; %bb.12:
	s_or_b32 exec_lo, exec_lo, s2
.LBB74_13:
	s_delay_alu instid0(SALU_CYCLE_1)
	s_or_b32 exec_lo, exec_lo, s3
.LBB74_14:
	v_mbcnt_lo_u32_b32 v14, -1, 0
	s_delay_alu instid0(VALU_DEP_1) | instskip(SKIP_1) | instid1(VALU_DEP_1)
	v_xor_b32_e32 v23, 1, v14
	v_xor_b32_e32 v15, 2, v14
	v_cmp_gt_i32_e32 vcc_lo, 32, v15
	v_cndmask_b32_e32 v15, v14, v15, vcc_lo
	s_delay_alu instid0(VALU_DEP_4) | instskip(SKIP_2) | instid1(VALU_DEP_2)
	v_cmp_gt_i32_e32 vcc_lo, 32, v23
	v_cndmask_b32_e32 v14, v14, v23, vcc_lo
	v_cmp_eq_u32_e32 vcc_lo, 3, v7
	v_dual_lshlrev_b32 v23, 2, v14 :: v_dual_lshlrev_b32 v15, 2, v15
	ds_bpermute_b32 v16, v15, v8
	s_wait_dscnt 0x0
	v_add_f32_e32 v8, v8, v16
	ds_bpermute_b32 v17, v15, v9
	ds_bpermute_b32 v18, v15, v12
	;; [unrolled: 1-line block ×7, first 2 shown]
	s_wait_dscnt 0x5
	v_dual_add_f32 v14, v9, v17 :: v_dual_add_f32 v12, v12, v18
	s_wait_dscnt 0x3
	v_dual_add_f32 v13, v13, v19 :: v_dual_add_f32 v10, v10, v20
	;; [unrolled: 2-line block ×3, first 2 shown]
	s_wait_dscnt 0x0
	v_add_f32_e32 v1, v1, v15
	ds_bpermute_b32 v0, v23, v8
	ds_bpermute_b32 v16, v23, v14
	;; [unrolled: 1-line block ×8, first 2 shown]
	s_and_b32 exec_lo, exec_lo, vcc_lo
	s_cbranch_execz .LBB74_19
; %bb.15:
	s_load_b64 s[2:3], s[0:1], 0x38
	v_cmp_eq_f32_e32 vcc_lo, 0, v4
	s_wait_xcnt 0x0
	v_cmp_eq_f32_e64 s0, 0, v5
	s_wait_dscnt 0x7
	v_add_f32_e32 v0, v8, v0
	s_wait_dscnt 0x5
	v_dual_add_f32 v20, v14, v16 :: v_dual_add_f32 v8, v12, v18
	s_wait_dscnt 0x3
	v_dual_add_f32 v18, v13, v19 :: v_dual_add_f32 v10, v10, v21
	;; [unrolled: 2-line block ×3, first 2 shown]
	s_wait_dscnt 0x0
	v_add_f32_e32 v14, v1, v17
	s_and_b32 s0, vcc_lo, s0
	s_delay_alu instid0(SALU_CYCLE_1) | instskip(NEXT) | instid1(SALU_CYCLE_1)
	s_and_saveexec_b32 s1, s0
	s_xor_b32 s0, exec_lo, s1
	s_cbranch_execz .LBB74_17
; %bb.16:
	v_xor_b32_e32 v4, 0x80000000, v3
	v_dual_mov_b32 v5, v2 :: v_dual_lshlrev_b32 v6, 2, v6
	s_delay_alu instid0(VALU_DEP_1) | instskip(NEXT) | instid1(VALU_DEP_2)
	v_ashrrev_i32_e32 v7, 31, v6
	v_pk_mul_f32 v[20:21], v[20:21], v[4:5] op_sel_hi:[0,1]
	v_pk_mul_f32 v[18:19], v[18:19], v[4:5] op_sel_hi:[0,1]
	;; [unrolled: 1-line block ×4, first 2 shown]
	s_wait_kmcnt 0x0
	v_lshl_add_u64 v[22:23], v[6:7], 3, s[2:3]
	v_pk_fma_f32 v[4:5], v[2:3], v[0:1], v[20:21] op_sel_hi:[1,0,1]
	v_pk_fma_f32 v[6:7], v[2:3], v[8:9], v[18:19] op_sel_hi:[1,0,1]
	;; [unrolled: 1-line block ×4, first 2 shown]
	s_clause 0x1
	global_store_b128 v[22:23], v[4:7], off
	global_store_b128 v[22:23], v[0:3], off offset:16
                                        ; implicit-def: $vgpr6
                                        ; implicit-def: $vgpr0
                                        ; implicit-def: $vgpr20
                                        ; implicit-def: $vgpr8
                                        ; implicit-def: $vgpr18
                                        ; implicit-def: $vgpr10
                                        ; implicit-def: $vgpr16
                                        ; implicit-def: $vgpr12
                                        ; implicit-def: $vgpr14
                                        ; implicit-def: $vgpr2_vgpr3
                                        ; implicit-def: $vgpr4_vgpr5
.LBB74_17:
	s_wait_xcnt 0x0
	s_and_not1_saveexec_b32 s0, s0
	s_cbranch_execz .LBB74_19
; %bb.18:
	v_lshlrev_b32_e32 v6, 2, v6
	v_xor_b32_e32 v32, 0x80000000, v5
	s_delay_alu instid0(VALU_DEP_2) | instskip(SKIP_1) | instid1(VALU_DEP_1)
	v_dual_mov_b32 v33, v4 :: v_dual_ashrrev_i32 v7, 31, v6
	s_wait_kmcnt 0x0
	v_lshl_add_u64 v[30:31], v[6:7], 3, s[2:3]
	v_xor_b32_e32 v6, 0x80000000, v3
	v_mov_b32_e32 v7, v2
	s_clause 0x1
	global_load_b128 v[22:25], v[30:31], off
	global_load_b128 v[26:29], v[30:31], off offset:16
	v_pk_mul_f32 v[20:21], v[20:21], v[6:7] op_sel_hi:[0,1]
	v_pk_mul_f32 v[18:19], v[18:19], v[6:7] op_sel_hi:[0,1]
	;; [unrolled: 1-line block ×4, first 2 shown]
	s_delay_alu instid0(VALU_DEP_4) | instskip(NEXT) | instid1(VALU_DEP_4)
	v_pk_fma_f32 v[0:1], v[2:3], v[0:1], v[20:21] op_sel_hi:[1,0,1]
	v_pk_fma_f32 v[8:9], v[2:3], v[8:9], v[18:19] op_sel_hi:[1,0,1]
	s_delay_alu instid0(VALU_DEP_4) | instskip(NEXT) | instid1(VALU_DEP_4)
	v_pk_fma_f32 v[10:11], v[2:3], v[10:11], v[16:17] op_sel_hi:[1,0,1]
	v_pk_fma_f32 v[2:3], v[2:3], v[12:13], v[6:7] op_sel_hi:[1,0,1]
	s_wait_loadcnt 0x1
	v_pk_fma_f32 v[0:1], v[4:5], v[22:23], v[0:1] op_sel_hi:[1,0,1]
	v_pk_fma_f32 v[6:7], v[4:5], v[24:25], v[8:9] op_sel_hi:[1,0,1]
	s_wait_loadcnt 0x0
	v_dual_mov_b32 v8, v25 :: v_dual_mov_b32 v14, v29
	v_pk_fma_f32 v[10:11], v[4:5], v[26:27], v[10:11] op_sel_hi:[1,0,1]
	v_pk_fma_f32 v[12:13], v[4:5], v[28:29], v[2:3] op_sel_hi:[1,0,1]
	v_pk_fma_f32 v[0:1], v[32:33], v[22:23], v[0:1] op_sel:[0,1,0]
	s_delay_alu instid0(VALU_DEP_4) | instskip(NEXT) | instid1(VALU_DEP_4)
	v_pk_fma_f32 v[2:3], v[32:33], v[8:9], v[6:7] op_sel_hi:[1,0,1]
	v_pk_fma_f32 v[4:5], v[32:33], v[26:27], v[10:11] op_sel:[0,1,0]
	s_delay_alu instid0(VALU_DEP_4)
	v_pk_fma_f32 v[6:7], v[32:33], v[14:15], v[12:13] op_sel_hi:[1,0,1]
	s_clause 0x1
	global_store_b128 v[30:31], v[0:3], off
	global_store_b128 v[30:31], v[4:7], off offset:16
.LBB74_19:
	s_endpgm
	.section	.rodata,"a",@progbits
	.p2align	6, 0x0
	.amdhsa_kernel _ZN9rocsparseL19gebsrmvn_4xn_kernelILj128ELj1ELj4E21rocsparse_complex_numIfEEEvi20rocsparse_direction_NS_24const_host_device_scalarIT2_EEPKiS8_PKS5_SA_S6_PS5_21rocsparse_index_base_b
		.amdhsa_group_segment_fixed_size 0
		.amdhsa_private_segment_fixed_size 0
		.amdhsa_kernarg_size 72
		.amdhsa_user_sgpr_count 2
		.amdhsa_user_sgpr_dispatch_ptr 0
		.amdhsa_user_sgpr_queue_ptr 0
		.amdhsa_user_sgpr_kernarg_segment_ptr 1
		.amdhsa_user_sgpr_dispatch_id 0
		.amdhsa_user_sgpr_kernarg_preload_length 0
		.amdhsa_user_sgpr_kernarg_preload_offset 0
		.amdhsa_user_sgpr_private_segment_size 0
		.amdhsa_wavefront_size32 1
		.amdhsa_uses_dynamic_stack 0
		.amdhsa_enable_private_segment 0
		.amdhsa_system_sgpr_workgroup_id_x 1
		.amdhsa_system_sgpr_workgroup_id_y 0
		.amdhsa_system_sgpr_workgroup_id_z 0
		.amdhsa_system_sgpr_workgroup_info 0
		.amdhsa_system_vgpr_workitem_id 0
		.amdhsa_next_free_vgpr 34
		.amdhsa_next_free_sgpr 14
		.amdhsa_named_barrier_count 0
		.amdhsa_reserve_vcc 1
		.amdhsa_float_round_mode_32 0
		.amdhsa_float_round_mode_16_64 0
		.amdhsa_float_denorm_mode_32 3
		.amdhsa_float_denorm_mode_16_64 3
		.amdhsa_fp16_overflow 0
		.amdhsa_memory_ordered 1
		.amdhsa_forward_progress 1
		.amdhsa_inst_pref_size 14
		.amdhsa_round_robin_scheduling 0
		.amdhsa_exception_fp_ieee_invalid_op 0
		.amdhsa_exception_fp_denorm_src 0
		.amdhsa_exception_fp_ieee_div_zero 0
		.amdhsa_exception_fp_ieee_overflow 0
		.amdhsa_exception_fp_ieee_underflow 0
		.amdhsa_exception_fp_ieee_inexact 0
		.amdhsa_exception_int_div_zero 0
	.end_amdhsa_kernel
	.section	.text._ZN9rocsparseL19gebsrmvn_4xn_kernelILj128ELj1ELj4E21rocsparse_complex_numIfEEEvi20rocsparse_direction_NS_24const_host_device_scalarIT2_EEPKiS8_PKS5_SA_S6_PS5_21rocsparse_index_base_b,"axG",@progbits,_ZN9rocsparseL19gebsrmvn_4xn_kernelILj128ELj1ELj4E21rocsparse_complex_numIfEEEvi20rocsparse_direction_NS_24const_host_device_scalarIT2_EEPKiS8_PKS5_SA_S6_PS5_21rocsparse_index_base_b,comdat
.Lfunc_end74:
	.size	_ZN9rocsparseL19gebsrmvn_4xn_kernelILj128ELj1ELj4E21rocsparse_complex_numIfEEEvi20rocsparse_direction_NS_24const_host_device_scalarIT2_EEPKiS8_PKS5_SA_S6_PS5_21rocsparse_index_base_b, .Lfunc_end74-_ZN9rocsparseL19gebsrmvn_4xn_kernelILj128ELj1ELj4E21rocsparse_complex_numIfEEEvi20rocsparse_direction_NS_24const_host_device_scalarIT2_EEPKiS8_PKS5_SA_S6_PS5_21rocsparse_index_base_b
                                        ; -- End function
	.set _ZN9rocsparseL19gebsrmvn_4xn_kernelILj128ELj1ELj4E21rocsparse_complex_numIfEEEvi20rocsparse_direction_NS_24const_host_device_scalarIT2_EEPKiS8_PKS5_SA_S6_PS5_21rocsparse_index_base_b.num_vgpr, 34
	.set _ZN9rocsparseL19gebsrmvn_4xn_kernelILj128ELj1ELj4E21rocsparse_complex_numIfEEEvi20rocsparse_direction_NS_24const_host_device_scalarIT2_EEPKiS8_PKS5_SA_S6_PS5_21rocsparse_index_base_b.num_agpr, 0
	.set _ZN9rocsparseL19gebsrmvn_4xn_kernelILj128ELj1ELj4E21rocsparse_complex_numIfEEEvi20rocsparse_direction_NS_24const_host_device_scalarIT2_EEPKiS8_PKS5_SA_S6_PS5_21rocsparse_index_base_b.numbered_sgpr, 14
	.set _ZN9rocsparseL19gebsrmvn_4xn_kernelILj128ELj1ELj4E21rocsparse_complex_numIfEEEvi20rocsparse_direction_NS_24const_host_device_scalarIT2_EEPKiS8_PKS5_SA_S6_PS5_21rocsparse_index_base_b.num_named_barrier, 0
	.set _ZN9rocsparseL19gebsrmvn_4xn_kernelILj128ELj1ELj4E21rocsparse_complex_numIfEEEvi20rocsparse_direction_NS_24const_host_device_scalarIT2_EEPKiS8_PKS5_SA_S6_PS5_21rocsparse_index_base_b.private_seg_size, 0
	.set _ZN9rocsparseL19gebsrmvn_4xn_kernelILj128ELj1ELj4E21rocsparse_complex_numIfEEEvi20rocsparse_direction_NS_24const_host_device_scalarIT2_EEPKiS8_PKS5_SA_S6_PS5_21rocsparse_index_base_b.uses_vcc, 1
	.set _ZN9rocsparseL19gebsrmvn_4xn_kernelILj128ELj1ELj4E21rocsparse_complex_numIfEEEvi20rocsparse_direction_NS_24const_host_device_scalarIT2_EEPKiS8_PKS5_SA_S6_PS5_21rocsparse_index_base_b.uses_flat_scratch, 1
	.set _ZN9rocsparseL19gebsrmvn_4xn_kernelILj128ELj1ELj4E21rocsparse_complex_numIfEEEvi20rocsparse_direction_NS_24const_host_device_scalarIT2_EEPKiS8_PKS5_SA_S6_PS5_21rocsparse_index_base_b.has_dyn_sized_stack, 0
	.set _ZN9rocsparseL19gebsrmvn_4xn_kernelILj128ELj1ELj4E21rocsparse_complex_numIfEEEvi20rocsparse_direction_NS_24const_host_device_scalarIT2_EEPKiS8_PKS5_SA_S6_PS5_21rocsparse_index_base_b.has_recursion, 0
	.set _ZN9rocsparseL19gebsrmvn_4xn_kernelILj128ELj1ELj4E21rocsparse_complex_numIfEEEvi20rocsparse_direction_NS_24const_host_device_scalarIT2_EEPKiS8_PKS5_SA_S6_PS5_21rocsparse_index_base_b.has_indirect_call, 0
	.section	.AMDGPU.csdata,"",@progbits
; Kernel info:
; codeLenInByte = 1736
; TotalNumSgprs: 16
; NumVgprs: 34
; ScratchSize: 0
; MemoryBound: 0
; FloatMode: 240
; IeeeMode: 1
; LDSByteSize: 0 bytes/workgroup (compile time only)
; SGPRBlocks: 0
; VGPRBlocks: 2
; NumSGPRsForWavesPerEU: 16
; NumVGPRsForWavesPerEU: 34
; NamedBarCnt: 0
; Occupancy: 16
; WaveLimiterHint : 1
; COMPUTE_PGM_RSRC2:SCRATCH_EN: 0
; COMPUTE_PGM_RSRC2:USER_SGPR: 2
; COMPUTE_PGM_RSRC2:TRAP_HANDLER: 0
; COMPUTE_PGM_RSRC2:TGID_X_EN: 1
; COMPUTE_PGM_RSRC2:TGID_Y_EN: 0
; COMPUTE_PGM_RSRC2:TGID_Z_EN: 0
; COMPUTE_PGM_RSRC2:TIDIG_COMP_CNT: 0
	.section	.text._ZN9rocsparseL19gebsrmvn_4xn_kernelILj128ELj1ELj8E21rocsparse_complex_numIfEEEvi20rocsparse_direction_NS_24const_host_device_scalarIT2_EEPKiS8_PKS5_SA_S6_PS5_21rocsparse_index_base_b,"axG",@progbits,_ZN9rocsparseL19gebsrmvn_4xn_kernelILj128ELj1ELj8E21rocsparse_complex_numIfEEEvi20rocsparse_direction_NS_24const_host_device_scalarIT2_EEPKiS8_PKS5_SA_S6_PS5_21rocsparse_index_base_b,comdat
	.globl	_ZN9rocsparseL19gebsrmvn_4xn_kernelILj128ELj1ELj8E21rocsparse_complex_numIfEEEvi20rocsparse_direction_NS_24const_host_device_scalarIT2_EEPKiS8_PKS5_SA_S6_PS5_21rocsparse_index_base_b ; -- Begin function _ZN9rocsparseL19gebsrmvn_4xn_kernelILj128ELj1ELj8E21rocsparse_complex_numIfEEEvi20rocsparse_direction_NS_24const_host_device_scalarIT2_EEPKiS8_PKS5_SA_S6_PS5_21rocsparse_index_base_b
	.p2align	8
	.type	_ZN9rocsparseL19gebsrmvn_4xn_kernelILj128ELj1ELj8E21rocsparse_complex_numIfEEEvi20rocsparse_direction_NS_24const_host_device_scalarIT2_EEPKiS8_PKS5_SA_S6_PS5_21rocsparse_index_base_b,@function
_ZN9rocsparseL19gebsrmvn_4xn_kernelILj128ELj1ELj8E21rocsparse_complex_numIfEEEvi20rocsparse_direction_NS_24const_host_device_scalarIT2_EEPKiS8_PKS5_SA_S6_PS5_21rocsparse_index_base_b: ; @_ZN9rocsparseL19gebsrmvn_4xn_kernelILj128ELj1ELj8E21rocsparse_complex_numIfEEEvi20rocsparse_direction_NS_24const_host_device_scalarIT2_EEPKiS8_PKS5_SA_S6_PS5_21rocsparse_index_base_b
; %bb.0:
	s_clause 0x2
	s_load_b64 s[12:13], s[0:1], 0x40
	s_load_b64 s[2:3], s[0:1], 0x8
	;; [unrolled: 1-line block ×3, first 2 shown]
	v_mov_b32_e32 v1, 0
	s_add_nc_u64 s[6:7], s[0:1], 8
	s_add_nc_u64 s[8:9], s[0:1], 48
	s_wait_kmcnt 0x0
	s_bitcmp1_b32 s13, 0
	s_cselect_b32 s3, s7, s3
	s_cselect_b32 s2, s6, s2
	;; [unrolled: 1-line block ×4, first 2 shown]
	s_clause 0x1
	flat_load_b64 v[2:3], v1, s[2:3]
	flat_load_b64 v[4:5], v1, s[4:5]
	s_wait_loadcnt_dscnt 0x101
	v_cmp_eq_f32_e32 vcc_lo, 0, v2
	v_cmp_eq_f32_e64 s2, 0, v3
	s_wait_loadcnt_dscnt 0x0
	v_cmp_eq_f32_e64 s3, 1.0, v4
	v_cmp_eq_f32_e64 s4, 0, v5
	s_and_b32 s2, vcc_lo, s2
	s_and_b32 s3, s3, s4
	s_delay_alu instid0(SALU_CYCLE_1) | instskip(NEXT) | instid1(SALU_CYCLE_1)
	s_and_b32 s2, s2, s3
	s_xor_b32 s2, s2, -1
	s_delay_alu instid0(SALU_CYCLE_1)
	s_and_saveexec_b32 s3, s2
	s_cbranch_execz .LBB75_19
; %bb.1:
	s_load_b64 s[2:3], s[0:1], 0x0
	s_bfe_u32 s4, ttmp6, 0x4000c
	s_and_b32 s5, ttmp6, 15
	s_add_co_i32 s4, s4, 1
	s_getreg_b32 s6, hwreg(HW_REG_IB_STS2, 6, 4)
	s_mul_i32 s4, ttmp9, s4
	v_lshrrev_b32_e32 v1, 3, v0
	s_add_co_i32 s5, s5, s4
	s_cmp_eq_u32 s6, 0
	s_cselect_b32 s4, ttmp9, s5
	s_delay_alu instid0(VALU_DEP_1) | instid1(SALU_CYCLE_1)
	v_lshl_or_b32 v6, s4, 4, v1
	s_wait_kmcnt 0x0
	s_delay_alu instid0(VALU_DEP_1)
	v_cmp_gt_i32_e32 vcc_lo, s2, v6
	s_and_b32 exec_lo, exec_lo, vcc_lo
	s_cbranch_execz .LBB75_19
; %bb.2:
	s_load_b256 s[4:11], s[0:1], 0x10
	v_ashrrev_i32_e32 v7, 31, v6
	s_cmp_lg_u32 s3, 0
	s_wait_kmcnt 0x0
	s_delay_alu instid0(VALU_DEP_1)
	v_lshl_add_u64 v[8:9], v[6:7], 2, s[4:5]
	v_and_b32_e32 v7, 7, v0
	global_load_b64 v[8:9], v[8:9], off
	s_wait_loadcnt 0x0
	v_subrev_nc_u32_e32 v0, s12, v8
	v_subrev_nc_u32_e32 v16, s12, v9
	s_delay_alu instid0(VALU_DEP_2) | instskip(NEXT) | instid1(VALU_DEP_1)
	v_add_nc_u32_e32 v17, v0, v7
	v_cmp_lt_i32_e64 s2, v17, v16
	s_cbranch_scc0 .LBB75_8
; %bb.3:
	v_mov_b32_e32 v9, 0
	s_delay_alu instid0(VALU_DEP_1)
	v_dual_mov_b32 v8, v9 :: v_dual_mov_b32 v1, v9
	v_dual_mov_b32 v0, v9 :: v_dual_mov_b32 v11, v9
	;; [unrolled: 1-line block ×3, first 2 shown]
	v_mov_b32_e32 v12, v9
	s_and_saveexec_b32 s3, s2
	s_cbranch_execz .LBB75_7
; %bb.4:
	v_dual_mov_b32 v15, 0 :: v_dual_lshlrev_b32 v14, 2, v17
	v_mov_b32_e32 v18, v17
	s_mov_b32 s4, 0
	s_delay_alu instid0(VALU_DEP_2)
	v_dual_mov_b32 v12, v15 :: v_dual_mov_b32 v13, v15
	v_dual_mov_b32 v10, v15 :: v_dual_mov_b32 v11, v15
	;; [unrolled: 1-line block ×4, first 2 shown]
.LBB75_5:                               ; =>This Inner Loop Header: Depth=1
	global_load_b32 v19, v18, s[6:7] scale_offset
	v_lshl_add_u64 v[28:29], v[14:15], 3, s[8:9]
	global_load_b128 v[20:23], v[28:29], off
	s_wait_xcnt 0x1
	v_add_nc_u32_e32 v18, 8, v18
	s_wait_loadcnt 0x1
	v_subrev_nc_u32_e32 v19, s12, v19
	global_load_b128 v[24:27], v[28:29], off offset:16
	global_load_b64 v[30:31], v19, s[10:11] scale_offset
	v_add_nc_u32_e32 v14, 32, v14
	s_wait_loadcnt 0x2
	s_wait_xcnt 0x1
	v_xor_b32_e32 v28, 0x80000000, v23
	v_mov_b32_e32 v29, v22
	v_cmp_ge_i32_e32 vcc_lo, v18, v16
	s_or_b32 s4, vcc_lo, s4
	s_wait_loadcnt 0x1
	v_xor_b32_e32 v32, 0x80000000, v27
	v_mov_b32_e32 v33, v26
	s_wait_loadcnt 0x0
	v_pk_fma_f32 v[8:9], v[20:21], v[30:31], v[8:9] op_sel_hi:[1,0,1]
	v_pk_fma_f32 v[12:13], v[22:23], v[30:31], v[12:13] op_sel_hi:[1,0,1]
	;; [unrolled: 1-line block ×4, first 2 shown]
	s_delay_alu instid0(VALU_DEP_4) | instskip(NEXT) | instid1(VALU_DEP_4)
	v_pk_fma_f32 v[8:9], v[20:21], v[30:31], v[8:9] op_sel:[1,1,0] op_sel_hi:[0,1,1] neg_lo:[1,0,0]
	v_pk_fma_f32 v[12:13], v[28:29], v[30:31], v[12:13] op_sel:[0,1,0]
	s_delay_alu instid0(VALU_DEP_4) | instskip(NEXT) | instid1(VALU_DEP_4)
	v_pk_fma_f32 v[10:11], v[24:25], v[30:31], v[10:11] op_sel:[1,1,0] op_sel_hi:[0,1,1] neg_lo:[1,0,0]
	v_pk_fma_f32 v[0:1], v[32:33], v[30:31], v[0:1] op_sel:[0,1,0]
	s_and_not1_b32 exec_lo, exec_lo, s4
	s_cbranch_execnz .LBB75_5
; %bb.6:
	s_or_b32 exec_lo, exec_lo, s4
.LBB75_7:
	s_delay_alu instid0(SALU_CYCLE_1)
	s_or_b32 exec_lo, exec_lo, s3
	s_cbranch_execz .LBB75_9
	s_branch .LBB75_14
.LBB75_8:
                                        ; implicit-def: $vgpr9
                                        ; implicit-def: $vgpr1
                                        ; implicit-def: $vgpr11
                                        ; implicit-def: $vgpr13
.LBB75_9:
	v_mov_b32_e32 v9, 0
	s_delay_alu instid0(VALU_DEP_1)
	v_dual_mov_b32 v8, v9 :: v_dual_mov_b32 v1, v9
	v_dual_mov_b32 v0, v9 :: v_dual_mov_b32 v11, v9
	;; [unrolled: 1-line block ×3, first 2 shown]
	v_mov_b32_e32 v12, v9
	s_and_saveexec_b32 s3, s2
	s_cbranch_execz .LBB75_13
; %bb.10:
	v_dual_mov_b32 v15, 0 :: v_dual_lshlrev_b32 v14, 2, v17
	s_mov_b32 s2, 0
	s_delay_alu instid0(VALU_DEP_1)
	v_dual_mov_b32 v12, v15 :: v_dual_mov_b32 v13, v15
	v_dual_mov_b32 v10, v15 :: v_dual_mov_b32 v11, v15
	;; [unrolled: 1-line block ×4, first 2 shown]
.LBB75_11:                              ; =>This Inner Loop Header: Depth=1
	global_load_b32 v22, v17, s[6:7] scale_offset
	v_lshl_add_u64 v[26:27], v[14:15], 3, s[8:9]
	s_wait_xcnt 0x0
	v_dual_add_nc_u32 v17, 8, v17 :: v_dual_add_nc_u32 v14, 32, v14
	global_load_b128 v[18:21], v[26:27], off
	v_cmp_ge_i32_e32 vcc_lo, v17, v16
	s_or_b32 s2, vcc_lo, s2
	s_wait_loadcnt 0x1
	v_subrev_nc_u32_e32 v30, s12, v22
	global_load_b128 v[22:25], v[26:27], off offset:16
	global_load_b64 v[28:29], v30, s[10:11] scale_offset
	s_wait_loadcnt 0x2
	s_wait_xcnt 0x1
	v_xor_b32_e32 v26, 0x80000000, v21
	s_wait_loadcnt 0x1
	v_dual_mov_b32 v27, v20 :: v_dual_mov_b32 v31, v24
	s_wait_xcnt 0x0
	v_xor_b32_e32 v30, 0x80000000, v25
	s_wait_loadcnt 0x0
	v_pk_fma_f32 v[8:9], v[18:19], v[28:29], v[8:9] op_sel_hi:[1,0,1]
	v_pk_fma_f32 v[12:13], v[20:21], v[28:29], v[12:13] op_sel_hi:[1,0,1]
	;; [unrolled: 1-line block ×4, first 2 shown]
	s_delay_alu instid0(VALU_DEP_4) | instskip(NEXT) | instid1(VALU_DEP_4)
	v_pk_fma_f32 v[8:9], v[18:19], v[28:29], v[8:9] op_sel:[1,1,0] op_sel_hi:[0,1,1] neg_lo:[1,0,0]
	v_pk_fma_f32 v[12:13], v[26:27], v[28:29], v[12:13] op_sel:[0,1,0]
	s_delay_alu instid0(VALU_DEP_4) | instskip(NEXT) | instid1(VALU_DEP_4)
	v_pk_fma_f32 v[10:11], v[22:23], v[28:29], v[10:11] op_sel:[1,1,0] op_sel_hi:[0,1,1] neg_lo:[1,0,0]
	v_pk_fma_f32 v[0:1], v[30:31], v[28:29], v[0:1] op_sel:[0,1,0]
	s_and_not1_b32 exec_lo, exec_lo, s2
	s_cbranch_execnz .LBB75_11
; %bb.12:
	s_or_b32 exec_lo, exec_lo, s2
.LBB75_13:
	s_delay_alu instid0(SALU_CYCLE_1)
	s_or_b32 exec_lo, exec_lo, s3
.LBB75_14:
	v_mbcnt_lo_u32_b32 v14, -1, 0
	s_delay_alu instid0(VALU_DEP_1) | instskip(SKIP_1) | instid1(VALU_DEP_1)
	v_xor_b32_e32 v23, 2, v14
	v_xor_b32_e32 v15, 4, v14
	v_cmp_gt_i32_e32 vcc_lo, 32, v15
	v_cndmask_b32_e32 v15, v14, v15, vcc_lo
	s_delay_alu instid0(VALU_DEP_1)
	v_lshlrev_b32_e32 v15, 2, v15
	ds_bpermute_b32 v17, v15, v9
	s_wait_dscnt 0x0
	v_add_f32_e32 v9, v9, v17
	ds_bpermute_b32 v19, v15, v13
	ds_bpermute_b32 v16, v15, v8
	;; [unrolled: 1-line block ×7, first 2 shown]
	s_wait_dscnt 0x6
	v_add_f32_e32 v13, v13, v19
	v_cmp_gt_i32_e32 vcc_lo, 32, v23
	s_wait_dscnt 0x5
	v_add_f32_e32 v8, v8, v16
	s_wait_dscnt 0x4
	v_add_f32_e32 v12, v12, v18
	s_wait_dscnt 0x2
	v_dual_add_f32 v18, v0, v22 :: v_dual_add_f32 v16, v10, v20
	s_wait_dscnt 0x1
	v_dual_add_f32 v17, v11, v21 :: v_dual_cndmask_b32 v23, v14, v23, vcc_lo
	s_wait_dscnt 0x0
	v_add_f32_e32 v15, v1, v15
	s_delay_alu instid0(VALU_DEP_2)
	v_lshlrev_b32_e32 v23, 2, v23
	ds_bpermute_b32 v0, v23, v8
	ds_bpermute_b32 v1, v23, v9
	;; [unrolled: 1-line block ×8, first 2 shown]
	s_wait_dscnt 0x7
	v_dual_add_f32 v0, v8, v0 :: v_dual_bitop2_b32 v23, 1, v14 bitop3:0x14
	s_delay_alu instid0(VALU_DEP_1)
	v_cmp_gt_i32_e32 vcc_lo, 32, v23
	s_wait_dscnt 0x5
	v_dual_add_f32 v8, v9, v1 :: v_dual_add_f32 v10, v12, v10
	s_wait_dscnt 0x3
	v_add_f32_e32 v12, v16, v19
	v_add_f32_e32 v11, v13, v11
	s_wait_dscnt 0x2
	v_dual_cndmask_b32 v14, v14, v23 :: v_dual_add_f32 v13, v17, v20
	s_wait_dscnt 0x0
	v_dual_add_f32 v1, v18, v21 :: v_dual_add_f32 v9, v15, v22
	v_cmp_eq_u32_e32 vcc_lo, 7, v7
	s_delay_alu instid0(VALU_DEP_3)
	v_lshlrev_b32_e32 v23, 2, v14
	ds_bpermute_b32 v16, v23, v0
	ds_bpermute_b32 v17, v23, v8
	;; [unrolled: 1-line block ×8, first 2 shown]
	s_and_b32 exec_lo, exec_lo, vcc_lo
	s_cbranch_execz .LBB75_19
; %bb.15:
	s_load_b64 s[2:3], s[0:1], 0x38
	v_cmp_eq_f32_e32 vcc_lo, 0, v4
	s_wait_xcnt 0x0
	v_cmp_eq_f32_e64 s0, 0, v5
	s_wait_dscnt 0x7
	v_add_f32_e32 v0, v0, v16
	s_wait_dscnt 0x5
	v_dual_add_f32 v20, v8, v17 :: v_dual_add_f32 v8, v10, v18
	s_wait_dscnt 0x3
	v_dual_add_f32 v18, v11, v19 :: v_dual_add_f32 v10, v12, v21
	s_wait_dscnt 0x2
	v_add_f32_e32 v16, v13, v22
	s_wait_dscnt 0x1
	v_add_f32_e32 v12, v1, v14
	;; [unrolled: 2-line block ×3, first 2 shown]
	s_and_b32 s0, vcc_lo, s0
	s_delay_alu instid0(SALU_CYCLE_1) | instskip(NEXT) | instid1(SALU_CYCLE_1)
	s_and_saveexec_b32 s1, s0
	s_xor_b32 s0, exec_lo, s1
	s_cbranch_execz .LBB75_17
; %bb.16:
	v_xor_b32_e32 v4, 0x80000000, v3
	v_dual_mov_b32 v5, v2 :: v_dual_lshlrev_b32 v6, 2, v6
	s_delay_alu instid0(VALU_DEP_1) | instskip(NEXT) | instid1(VALU_DEP_2)
	v_ashrrev_i32_e32 v7, 31, v6
	v_pk_mul_f32 v[20:21], v[20:21], v[4:5] op_sel_hi:[0,1]
	v_pk_mul_f32 v[18:19], v[18:19], v[4:5] op_sel_hi:[0,1]
	;; [unrolled: 1-line block ×4, first 2 shown]
	s_wait_kmcnt 0x0
	v_lshl_add_u64 v[22:23], v[6:7], 3, s[2:3]
	v_pk_fma_f32 v[4:5], v[2:3], v[0:1], v[20:21] op_sel_hi:[1,0,1]
	v_pk_fma_f32 v[6:7], v[2:3], v[8:9], v[18:19] op_sel_hi:[1,0,1]
	v_pk_fma_f32 v[0:1], v[2:3], v[10:11], v[16:17] op_sel_hi:[1,0,1]
	v_pk_fma_f32 v[2:3], v[2:3], v[12:13], v[14:15] op_sel_hi:[1,0,1]
	s_clause 0x1
	global_store_b128 v[22:23], v[4:7], off
	global_store_b128 v[22:23], v[0:3], off offset:16
                                        ; implicit-def: $vgpr6
                                        ; implicit-def: $vgpr0
                                        ; implicit-def: $vgpr20
                                        ; implicit-def: $vgpr8
                                        ; implicit-def: $vgpr18
                                        ; implicit-def: $vgpr10
                                        ; implicit-def: $vgpr16
                                        ; implicit-def: $vgpr12
                                        ; implicit-def: $vgpr14
                                        ; implicit-def: $vgpr2_vgpr3
                                        ; implicit-def: $vgpr4_vgpr5
.LBB75_17:
	s_wait_xcnt 0x0
	s_and_not1_saveexec_b32 s0, s0
	s_cbranch_execz .LBB75_19
; %bb.18:
	v_lshlrev_b32_e32 v6, 2, v6
	v_xor_b32_e32 v32, 0x80000000, v5
	s_delay_alu instid0(VALU_DEP_2) | instskip(SKIP_1) | instid1(VALU_DEP_1)
	v_dual_mov_b32 v33, v4 :: v_dual_ashrrev_i32 v7, 31, v6
	s_wait_kmcnt 0x0
	v_lshl_add_u64 v[30:31], v[6:7], 3, s[2:3]
	v_xor_b32_e32 v6, 0x80000000, v3
	v_mov_b32_e32 v7, v2
	s_clause 0x1
	global_load_b128 v[22:25], v[30:31], off
	global_load_b128 v[26:29], v[30:31], off offset:16
	v_pk_mul_f32 v[20:21], v[20:21], v[6:7] op_sel_hi:[0,1]
	v_pk_mul_f32 v[18:19], v[18:19], v[6:7] op_sel_hi:[0,1]
	;; [unrolled: 1-line block ×4, first 2 shown]
	s_delay_alu instid0(VALU_DEP_4) | instskip(NEXT) | instid1(VALU_DEP_4)
	v_pk_fma_f32 v[0:1], v[2:3], v[0:1], v[20:21] op_sel_hi:[1,0,1]
	v_pk_fma_f32 v[8:9], v[2:3], v[8:9], v[18:19] op_sel_hi:[1,0,1]
	s_delay_alu instid0(VALU_DEP_4) | instskip(NEXT) | instid1(VALU_DEP_4)
	v_pk_fma_f32 v[10:11], v[2:3], v[10:11], v[16:17] op_sel_hi:[1,0,1]
	v_pk_fma_f32 v[2:3], v[2:3], v[12:13], v[6:7] op_sel_hi:[1,0,1]
	s_wait_loadcnt 0x1
	v_pk_fma_f32 v[0:1], v[4:5], v[22:23], v[0:1] op_sel_hi:[1,0,1]
	v_pk_fma_f32 v[6:7], v[4:5], v[24:25], v[8:9] op_sel_hi:[1,0,1]
	s_wait_loadcnt 0x0
	v_dual_mov_b32 v8, v25 :: v_dual_mov_b32 v14, v29
	v_pk_fma_f32 v[10:11], v[4:5], v[26:27], v[10:11] op_sel_hi:[1,0,1]
	v_pk_fma_f32 v[12:13], v[4:5], v[28:29], v[2:3] op_sel_hi:[1,0,1]
	v_pk_fma_f32 v[0:1], v[32:33], v[22:23], v[0:1] op_sel:[0,1,0]
	s_delay_alu instid0(VALU_DEP_4) | instskip(NEXT) | instid1(VALU_DEP_4)
	v_pk_fma_f32 v[2:3], v[32:33], v[8:9], v[6:7] op_sel_hi:[1,0,1]
	v_pk_fma_f32 v[4:5], v[32:33], v[26:27], v[10:11] op_sel:[0,1,0]
	s_delay_alu instid0(VALU_DEP_4)
	v_pk_fma_f32 v[6:7], v[32:33], v[14:15], v[12:13] op_sel_hi:[1,0,1]
	s_clause 0x1
	global_store_b128 v[30:31], v[0:3], off
	global_store_b128 v[30:31], v[4:7], off offset:16
.LBB75_19:
	s_endpgm
	.section	.rodata,"a",@progbits
	.p2align	6, 0x0
	.amdhsa_kernel _ZN9rocsparseL19gebsrmvn_4xn_kernelILj128ELj1ELj8E21rocsparse_complex_numIfEEEvi20rocsparse_direction_NS_24const_host_device_scalarIT2_EEPKiS8_PKS5_SA_S6_PS5_21rocsparse_index_base_b
		.amdhsa_group_segment_fixed_size 0
		.amdhsa_private_segment_fixed_size 0
		.amdhsa_kernarg_size 72
		.amdhsa_user_sgpr_count 2
		.amdhsa_user_sgpr_dispatch_ptr 0
		.amdhsa_user_sgpr_queue_ptr 0
		.amdhsa_user_sgpr_kernarg_segment_ptr 1
		.amdhsa_user_sgpr_dispatch_id 0
		.amdhsa_user_sgpr_kernarg_preload_length 0
		.amdhsa_user_sgpr_kernarg_preload_offset 0
		.amdhsa_user_sgpr_private_segment_size 0
		.amdhsa_wavefront_size32 1
		.amdhsa_uses_dynamic_stack 0
		.amdhsa_enable_private_segment 0
		.amdhsa_system_sgpr_workgroup_id_x 1
		.amdhsa_system_sgpr_workgroup_id_y 0
		.amdhsa_system_sgpr_workgroup_id_z 0
		.amdhsa_system_sgpr_workgroup_info 0
		.amdhsa_system_vgpr_workitem_id 0
		.amdhsa_next_free_vgpr 34
		.amdhsa_next_free_sgpr 14
		.amdhsa_named_barrier_count 0
		.amdhsa_reserve_vcc 1
		.amdhsa_float_round_mode_32 0
		.amdhsa_float_round_mode_16_64 0
		.amdhsa_float_denorm_mode_32 3
		.amdhsa_float_denorm_mode_16_64 3
		.amdhsa_fp16_overflow 0
		.amdhsa_memory_ordered 1
		.amdhsa_forward_progress 1
		.amdhsa_inst_pref_size 15
		.amdhsa_round_robin_scheduling 0
		.amdhsa_exception_fp_ieee_invalid_op 0
		.amdhsa_exception_fp_denorm_src 0
		.amdhsa_exception_fp_ieee_div_zero 0
		.amdhsa_exception_fp_ieee_overflow 0
		.amdhsa_exception_fp_ieee_underflow 0
		.amdhsa_exception_fp_ieee_inexact 0
		.amdhsa_exception_int_div_zero 0
	.end_amdhsa_kernel
	.section	.text._ZN9rocsparseL19gebsrmvn_4xn_kernelILj128ELj1ELj8E21rocsparse_complex_numIfEEEvi20rocsparse_direction_NS_24const_host_device_scalarIT2_EEPKiS8_PKS5_SA_S6_PS5_21rocsparse_index_base_b,"axG",@progbits,_ZN9rocsparseL19gebsrmvn_4xn_kernelILj128ELj1ELj8E21rocsparse_complex_numIfEEEvi20rocsparse_direction_NS_24const_host_device_scalarIT2_EEPKiS8_PKS5_SA_S6_PS5_21rocsparse_index_base_b,comdat
.Lfunc_end75:
	.size	_ZN9rocsparseL19gebsrmvn_4xn_kernelILj128ELj1ELj8E21rocsparse_complex_numIfEEEvi20rocsparse_direction_NS_24const_host_device_scalarIT2_EEPKiS8_PKS5_SA_S6_PS5_21rocsparse_index_base_b, .Lfunc_end75-_ZN9rocsparseL19gebsrmvn_4xn_kernelILj128ELj1ELj8E21rocsparse_complex_numIfEEEvi20rocsparse_direction_NS_24const_host_device_scalarIT2_EEPKiS8_PKS5_SA_S6_PS5_21rocsparse_index_base_b
                                        ; -- End function
	.set _ZN9rocsparseL19gebsrmvn_4xn_kernelILj128ELj1ELj8E21rocsparse_complex_numIfEEEvi20rocsparse_direction_NS_24const_host_device_scalarIT2_EEPKiS8_PKS5_SA_S6_PS5_21rocsparse_index_base_b.num_vgpr, 34
	.set _ZN9rocsparseL19gebsrmvn_4xn_kernelILj128ELj1ELj8E21rocsparse_complex_numIfEEEvi20rocsparse_direction_NS_24const_host_device_scalarIT2_EEPKiS8_PKS5_SA_S6_PS5_21rocsparse_index_base_b.num_agpr, 0
	.set _ZN9rocsparseL19gebsrmvn_4xn_kernelILj128ELj1ELj8E21rocsparse_complex_numIfEEEvi20rocsparse_direction_NS_24const_host_device_scalarIT2_EEPKiS8_PKS5_SA_S6_PS5_21rocsparse_index_base_b.numbered_sgpr, 14
	.set _ZN9rocsparseL19gebsrmvn_4xn_kernelILj128ELj1ELj8E21rocsparse_complex_numIfEEEvi20rocsparse_direction_NS_24const_host_device_scalarIT2_EEPKiS8_PKS5_SA_S6_PS5_21rocsparse_index_base_b.num_named_barrier, 0
	.set _ZN9rocsparseL19gebsrmvn_4xn_kernelILj128ELj1ELj8E21rocsparse_complex_numIfEEEvi20rocsparse_direction_NS_24const_host_device_scalarIT2_EEPKiS8_PKS5_SA_S6_PS5_21rocsparse_index_base_b.private_seg_size, 0
	.set _ZN9rocsparseL19gebsrmvn_4xn_kernelILj128ELj1ELj8E21rocsparse_complex_numIfEEEvi20rocsparse_direction_NS_24const_host_device_scalarIT2_EEPKiS8_PKS5_SA_S6_PS5_21rocsparse_index_base_b.uses_vcc, 1
	.set _ZN9rocsparseL19gebsrmvn_4xn_kernelILj128ELj1ELj8E21rocsparse_complex_numIfEEEvi20rocsparse_direction_NS_24const_host_device_scalarIT2_EEPKiS8_PKS5_SA_S6_PS5_21rocsparse_index_base_b.uses_flat_scratch, 1
	.set _ZN9rocsparseL19gebsrmvn_4xn_kernelILj128ELj1ELj8E21rocsparse_complex_numIfEEEvi20rocsparse_direction_NS_24const_host_device_scalarIT2_EEPKiS8_PKS5_SA_S6_PS5_21rocsparse_index_base_b.has_dyn_sized_stack, 0
	.set _ZN9rocsparseL19gebsrmvn_4xn_kernelILj128ELj1ELj8E21rocsparse_complex_numIfEEEvi20rocsparse_direction_NS_24const_host_device_scalarIT2_EEPKiS8_PKS5_SA_S6_PS5_21rocsparse_index_base_b.has_recursion, 0
	.set _ZN9rocsparseL19gebsrmvn_4xn_kernelILj128ELj1ELj8E21rocsparse_complex_numIfEEEvi20rocsparse_direction_NS_24const_host_device_scalarIT2_EEPKiS8_PKS5_SA_S6_PS5_21rocsparse_index_base_b.has_indirect_call, 0
	.section	.AMDGPU.csdata,"",@progbits
; Kernel info:
; codeLenInByte = 1896
; TotalNumSgprs: 16
; NumVgprs: 34
; ScratchSize: 0
; MemoryBound: 0
; FloatMode: 240
; IeeeMode: 1
; LDSByteSize: 0 bytes/workgroup (compile time only)
; SGPRBlocks: 0
; VGPRBlocks: 2
; NumSGPRsForWavesPerEU: 16
; NumVGPRsForWavesPerEU: 34
; NamedBarCnt: 0
; Occupancy: 16
; WaveLimiterHint : 1
; COMPUTE_PGM_RSRC2:SCRATCH_EN: 0
; COMPUTE_PGM_RSRC2:USER_SGPR: 2
; COMPUTE_PGM_RSRC2:TRAP_HANDLER: 0
; COMPUTE_PGM_RSRC2:TGID_X_EN: 1
; COMPUTE_PGM_RSRC2:TGID_Y_EN: 0
; COMPUTE_PGM_RSRC2:TGID_Z_EN: 0
; COMPUTE_PGM_RSRC2:TIDIG_COMP_CNT: 0
	.section	.text._ZN9rocsparseL19gebsrmvn_4xn_kernelILj128ELj1ELj16E21rocsparse_complex_numIfEEEvi20rocsparse_direction_NS_24const_host_device_scalarIT2_EEPKiS8_PKS5_SA_S6_PS5_21rocsparse_index_base_b,"axG",@progbits,_ZN9rocsparseL19gebsrmvn_4xn_kernelILj128ELj1ELj16E21rocsparse_complex_numIfEEEvi20rocsparse_direction_NS_24const_host_device_scalarIT2_EEPKiS8_PKS5_SA_S6_PS5_21rocsparse_index_base_b,comdat
	.globl	_ZN9rocsparseL19gebsrmvn_4xn_kernelILj128ELj1ELj16E21rocsparse_complex_numIfEEEvi20rocsparse_direction_NS_24const_host_device_scalarIT2_EEPKiS8_PKS5_SA_S6_PS5_21rocsparse_index_base_b ; -- Begin function _ZN9rocsparseL19gebsrmvn_4xn_kernelILj128ELj1ELj16E21rocsparse_complex_numIfEEEvi20rocsparse_direction_NS_24const_host_device_scalarIT2_EEPKiS8_PKS5_SA_S6_PS5_21rocsparse_index_base_b
	.p2align	8
	.type	_ZN9rocsparseL19gebsrmvn_4xn_kernelILj128ELj1ELj16E21rocsparse_complex_numIfEEEvi20rocsparse_direction_NS_24const_host_device_scalarIT2_EEPKiS8_PKS5_SA_S6_PS5_21rocsparse_index_base_b,@function
_ZN9rocsparseL19gebsrmvn_4xn_kernelILj128ELj1ELj16E21rocsparse_complex_numIfEEEvi20rocsparse_direction_NS_24const_host_device_scalarIT2_EEPKiS8_PKS5_SA_S6_PS5_21rocsparse_index_base_b: ; @_ZN9rocsparseL19gebsrmvn_4xn_kernelILj128ELj1ELj16E21rocsparse_complex_numIfEEEvi20rocsparse_direction_NS_24const_host_device_scalarIT2_EEPKiS8_PKS5_SA_S6_PS5_21rocsparse_index_base_b
; %bb.0:
	s_clause 0x2
	s_load_b64 s[12:13], s[0:1], 0x40
	s_load_b64 s[2:3], s[0:1], 0x8
	;; [unrolled: 1-line block ×3, first 2 shown]
	v_mov_b32_e32 v1, 0
	s_add_nc_u64 s[6:7], s[0:1], 8
	s_add_nc_u64 s[8:9], s[0:1], 48
	s_wait_kmcnt 0x0
	s_bitcmp1_b32 s13, 0
	s_cselect_b32 s3, s7, s3
	s_cselect_b32 s2, s6, s2
	s_cselect_b32 s5, s9, s5
	s_cselect_b32 s4, s8, s4
	s_clause 0x1
	flat_load_b64 v[2:3], v1, s[2:3]
	flat_load_b64 v[4:5], v1, s[4:5]
	s_wait_loadcnt_dscnt 0x101
	v_cmp_eq_f32_e32 vcc_lo, 0, v2
	v_cmp_eq_f32_e64 s2, 0, v3
	s_wait_loadcnt_dscnt 0x0
	v_cmp_eq_f32_e64 s3, 1.0, v4
	v_cmp_eq_f32_e64 s4, 0, v5
	s_and_b32 s2, vcc_lo, s2
	s_and_b32 s3, s3, s4
	s_delay_alu instid0(SALU_CYCLE_1) | instskip(NEXT) | instid1(SALU_CYCLE_1)
	s_and_b32 s2, s2, s3
	s_xor_b32 s2, s2, -1
	s_delay_alu instid0(SALU_CYCLE_1)
	s_and_saveexec_b32 s3, s2
	s_cbranch_execz .LBB76_19
; %bb.1:
	s_load_b64 s[2:3], s[0:1], 0x0
	s_bfe_u32 s4, ttmp6, 0x4000c
	s_and_b32 s5, ttmp6, 15
	s_add_co_i32 s4, s4, 1
	s_getreg_b32 s6, hwreg(HW_REG_IB_STS2, 6, 4)
	s_mul_i32 s4, ttmp9, s4
	v_lshrrev_b32_e32 v1, 4, v0
	s_add_co_i32 s5, s5, s4
	s_cmp_eq_u32 s6, 0
	s_cselect_b32 s4, ttmp9, s5
	s_delay_alu instid0(VALU_DEP_1) | instid1(SALU_CYCLE_1)
	v_lshl_or_b32 v6, s4, 3, v1
	s_wait_kmcnt 0x0
	s_delay_alu instid0(VALU_DEP_1)
	v_cmp_gt_i32_e32 vcc_lo, s2, v6
	s_and_b32 exec_lo, exec_lo, vcc_lo
	s_cbranch_execz .LBB76_19
; %bb.2:
	s_load_b256 s[4:11], s[0:1], 0x10
	v_ashrrev_i32_e32 v7, 31, v6
	s_cmp_lg_u32 s3, 0
	s_wait_kmcnt 0x0
	s_delay_alu instid0(VALU_DEP_1)
	v_lshl_add_u64 v[8:9], v[6:7], 2, s[4:5]
	v_and_b32_e32 v7, 15, v0
	global_load_b64 v[8:9], v[8:9], off
	s_wait_loadcnt 0x0
	v_subrev_nc_u32_e32 v0, s12, v8
	v_subrev_nc_u32_e32 v16, s12, v9
	s_delay_alu instid0(VALU_DEP_2) | instskip(NEXT) | instid1(VALU_DEP_1)
	v_add_nc_u32_e32 v17, v0, v7
	v_cmp_lt_i32_e64 s2, v17, v16
	s_cbranch_scc0 .LBB76_8
; %bb.3:
	v_mov_b32_e32 v9, 0
	s_delay_alu instid0(VALU_DEP_1)
	v_dual_mov_b32 v8, v9 :: v_dual_mov_b32 v1, v9
	v_dual_mov_b32 v0, v9 :: v_dual_mov_b32 v11, v9
	;; [unrolled: 1-line block ×3, first 2 shown]
	v_mov_b32_e32 v12, v9
	s_and_saveexec_b32 s3, s2
	s_cbranch_execz .LBB76_7
; %bb.4:
	v_dual_mov_b32 v15, 0 :: v_dual_lshlrev_b32 v14, 2, v17
	v_mov_b32_e32 v18, v17
	s_mov_b32 s4, 0
	s_delay_alu instid0(VALU_DEP_2)
	v_dual_mov_b32 v12, v15 :: v_dual_mov_b32 v13, v15
	v_dual_mov_b32 v10, v15 :: v_dual_mov_b32 v11, v15
	;; [unrolled: 1-line block ×4, first 2 shown]
.LBB76_5:                               ; =>This Inner Loop Header: Depth=1
	global_load_b32 v19, v18, s[6:7] scale_offset
	v_lshl_add_u64 v[28:29], v[14:15], 3, s[8:9]
	global_load_b128 v[20:23], v[28:29], off
	s_wait_xcnt 0x1
	v_add_nc_u32_e32 v18, 16, v18
	s_wait_loadcnt 0x1
	v_subrev_nc_u32_e32 v19, s12, v19
	global_load_b128 v[24:27], v[28:29], off offset:16
	global_load_b64 v[30:31], v19, s[10:11] scale_offset
	v_add_nc_u32_e32 v14, 64, v14
	s_wait_loadcnt 0x2
	s_wait_xcnt 0x1
	v_xor_b32_e32 v28, 0x80000000, v23
	v_mov_b32_e32 v29, v22
	v_cmp_ge_i32_e32 vcc_lo, v18, v16
	s_or_b32 s4, vcc_lo, s4
	s_wait_loadcnt 0x1
	v_xor_b32_e32 v32, 0x80000000, v27
	v_mov_b32_e32 v33, v26
	s_wait_loadcnt 0x0
	v_pk_fma_f32 v[8:9], v[20:21], v[30:31], v[8:9] op_sel_hi:[1,0,1]
	v_pk_fma_f32 v[12:13], v[22:23], v[30:31], v[12:13] op_sel_hi:[1,0,1]
	v_pk_fma_f32 v[10:11], v[24:25], v[30:31], v[10:11] op_sel_hi:[1,0,1]
	v_pk_fma_f32 v[0:1], v[26:27], v[30:31], v[0:1] op_sel_hi:[1,0,1]
	s_delay_alu instid0(VALU_DEP_4) | instskip(NEXT) | instid1(VALU_DEP_4)
	v_pk_fma_f32 v[8:9], v[20:21], v[30:31], v[8:9] op_sel:[1,1,0] op_sel_hi:[0,1,1] neg_lo:[1,0,0]
	v_pk_fma_f32 v[12:13], v[28:29], v[30:31], v[12:13] op_sel:[0,1,0]
	s_delay_alu instid0(VALU_DEP_4) | instskip(NEXT) | instid1(VALU_DEP_4)
	v_pk_fma_f32 v[10:11], v[24:25], v[30:31], v[10:11] op_sel:[1,1,0] op_sel_hi:[0,1,1] neg_lo:[1,0,0]
	v_pk_fma_f32 v[0:1], v[32:33], v[30:31], v[0:1] op_sel:[0,1,0]
	s_and_not1_b32 exec_lo, exec_lo, s4
	s_cbranch_execnz .LBB76_5
; %bb.6:
	s_or_b32 exec_lo, exec_lo, s4
.LBB76_7:
	s_delay_alu instid0(SALU_CYCLE_1)
	s_or_b32 exec_lo, exec_lo, s3
	s_cbranch_execz .LBB76_9
	s_branch .LBB76_14
.LBB76_8:
                                        ; implicit-def: $vgpr9
                                        ; implicit-def: $vgpr1
                                        ; implicit-def: $vgpr11
                                        ; implicit-def: $vgpr13
.LBB76_9:
	v_mov_b32_e32 v9, 0
	s_delay_alu instid0(VALU_DEP_1)
	v_dual_mov_b32 v8, v9 :: v_dual_mov_b32 v1, v9
	v_dual_mov_b32 v0, v9 :: v_dual_mov_b32 v11, v9
	;; [unrolled: 1-line block ×3, first 2 shown]
	v_mov_b32_e32 v12, v9
	s_and_saveexec_b32 s3, s2
	s_cbranch_execz .LBB76_13
; %bb.10:
	v_dual_mov_b32 v15, 0 :: v_dual_lshlrev_b32 v14, 2, v17
	s_mov_b32 s2, 0
	s_delay_alu instid0(VALU_DEP_1)
	v_dual_mov_b32 v12, v15 :: v_dual_mov_b32 v13, v15
	v_dual_mov_b32 v10, v15 :: v_dual_mov_b32 v11, v15
	;; [unrolled: 1-line block ×4, first 2 shown]
.LBB76_11:                              ; =>This Inner Loop Header: Depth=1
	global_load_b32 v22, v17, s[6:7] scale_offset
	v_lshl_add_u64 v[26:27], v[14:15], 3, s[8:9]
	s_wait_xcnt 0x0
	v_dual_add_nc_u32 v17, 16, v17 :: v_dual_add_nc_u32 v14, 64, v14
	global_load_b128 v[18:21], v[26:27], off
	v_cmp_ge_i32_e32 vcc_lo, v17, v16
	s_or_b32 s2, vcc_lo, s2
	s_wait_loadcnt 0x1
	v_subrev_nc_u32_e32 v30, s12, v22
	global_load_b128 v[22:25], v[26:27], off offset:16
	global_load_b64 v[28:29], v30, s[10:11] scale_offset
	s_wait_loadcnt 0x2
	s_wait_xcnt 0x1
	v_xor_b32_e32 v26, 0x80000000, v21
	s_wait_loadcnt 0x1
	v_dual_mov_b32 v27, v20 :: v_dual_mov_b32 v31, v24
	s_wait_xcnt 0x0
	v_xor_b32_e32 v30, 0x80000000, v25
	s_wait_loadcnt 0x0
	v_pk_fma_f32 v[8:9], v[18:19], v[28:29], v[8:9] op_sel_hi:[1,0,1]
	v_pk_fma_f32 v[12:13], v[20:21], v[28:29], v[12:13] op_sel_hi:[1,0,1]
	v_pk_fma_f32 v[10:11], v[22:23], v[28:29], v[10:11] op_sel_hi:[1,0,1]
	v_pk_fma_f32 v[0:1], v[24:25], v[28:29], v[0:1] op_sel_hi:[1,0,1]
	s_delay_alu instid0(VALU_DEP_4) | instskip(NEXT) | instid1(VALU_DEP_4)
	v_pk_fma_f32 v[8:9], v[18:19], v[28:29], v[8:9] op_sel:[1,1,0] op_sel_hi:[0,1,1] neg_lo:[1,0,0]
	v_pk_fma_f32 v[12:13], v[26:27], v[28:29], v[12:13] op_sel:[0,1,0]
	s_delay_alu instid0(VALU_DEP_4) | instskip(NEXT) | instid1(VALU_DEP_4)
	v_pk_fma_f32 v[10:11], v[22:23], v[28:29], v[10:11] op_sel:[1,1,0] op_sel_hi:[0,1,1] neg_lo:[1,0,0]
	v_pk_fma_f32 v[0:1], v[30:31], v[28:29], v[0:1] op_sel:[0,1,0]
	s_and_not1_b32 exec_lo, exec_lo, s2
	s_cbranch_execnz .LBB76_11
; %bb.12:
	s_or_b32 exec_lo, exec_lo, s2
.LBB76_13:
	s_delay_alu instid0(SALU_CYCLE_1)
	s_or_b32 exec_lo, exec_lo, s3
.LBB76_14:
	v_mbcnt_lo_u32_b32 v14, -1, 0
	s_delay_alu instid0(VALU_DEP_1) | instskip(SKIP_1) | instid1(VALU_DEP_1)
	v_xor_b32_e32 v23, 4, v14
	v_xor_b32_e32 v15, 8, v14
	v_cmp_gt_i32_e32 vcc_lo, 32, v15
	v_cndmask_b32_e32 v15, v14, v15, vcc_lo
	s_delay_alu instid0(VALU_DEP_1)
	v_lshlrev_b32_e32 v15, 2, v15
	ds_bpermute_b32 v17, v15, v9
	s_wait_dscnt 0x0
	v_add_f32_e32 v9, v9, v17
	ds_bpermute_b32 v19, v15, v13
	ds_bpermute_b32 v16, v15, v8
	;; [unrolled: 1-line block ×7, first 2 shown]
	s_wait_dscnt 0x6
	v_add_f32_e32 v13, v13, v19
	v_cmp_gt_i32_e32 vcc_lo, 32, v23
	s_wait_dscnt 0x5
	v_add_f32_e32 v8, v8, v16
	s_wait_dscnt 0x2
	v_dual_add_f32 v10, v10, v20 :: v_dual_add_f32 v11, v11, v21
	s_wait_dscnt 0x0
	v_dual_add_f32 v0, v0, v22 :: v_dual_add_f32 v1, v1, v15
	v_dual_cndmask_b32 v23, v14, v23 :: v_dual_add_f32 v12, v12, v18
	s_delay_alu instid0(VALU_DEP_1)
	v_lshlrev_b32_e32 v23, 2, v23
	ds_bpermute_b32 v15, v23, v8
	ds_bpermute_b32 v16, v23, v9
	;; [unrolled: 1-line block ×8, first 2 shown]
	s_wait_dscnt 0x7
	v_dual_add_f32 v8, v8, v15 :: v_dual_bitop2_b32 v23, 2, v14 bitop3:0x14
	s_delay_alu instid0(VALU_DEP_1)
	v_cmp_gt_i32_e32 vcc_lo, 32, v23
	s_wait_dscnt 0x6
	v_add_f32_e32 v9, v9, v16
	s_wait_dscnt 0x3
	v_dual_add_f32 v13, v13, v18 :: v_dual_add_f32 v15, v10, v19
	s_wait_dscnt 0x2
	v_dual_add_f32 v16, v11, v20 :: v_dual_cndmask_b32 v23, v14, v23
	v_add_f32_e32 v12, v12, v17
	s_wait_dscnt 0x0
	v_dual_add_f32 v17, v0, v21 :: v_dual_add_f32 v18, v1, v22
	s_delay_alu instid0(VALU_DEP_3)
	v_lshlrev_b32_e32 v23, 2, v23
	ds_bpermute_b32 v0, v23, v8
	ds_bpermute_b32 v1, v23, v9
	;; [unrolled: 1-line block ×8, first 2 shown]
	s_wait_dscnt 0x7
	v_dual_add_f32 v0, v8, v0 :: v_dual_bitop2_b32 v23, 1, v14 bitop3:0x14
	s_delay_alu instid0(VALU_DEP_1)
	v_cmp_gt_i32_e32 vcc_lo, 32, v23
	s_wait_dscnt 0x4
	v_dual_add_f32 v10, v12, v10 :: v_dual_add_f32 v11, v13, v11
	s_wait_dscnt 0x2
	v_dual_add_f32 v12, v15, v19 :: v_dual_add_f32 v13, v16, v20
	v_dual_cndmask_b32 v14, v14, v23, vcc_lo :: v_dual_add_f32 v8, v9, v1
	s_wait_dscnt 0x0
	v_dual_add_f32 v1, v17, v21 :: v_dual_add_f32 v9, v18, v22
	v_cmp_eq_u32_e32 vcc_lo, 15, v7
	s_delay_alu instid0(VALU_DEP_3)
	v_lshlrev_b32_e32 v23, 2, v14
	ds_bpermute_b32 v16, v23, v0
	ds_bpermute_b32 v17, v23, v8
	;; [unrolled: 1-line block ×8, first 2 shown]
	s_and_b32 exec_lo, exec_lo, vcc_lo
	s_cbranch_execz .LBB76_19
; %bb.15:
	s_load_b64 s[2:3], s[0:1], 0x38
	v_cmp_eq_f32_e32 vcc_lo, 0, v4
	s_wait_xcnt 0x0
	v_cmp_eq_f32_e64 s0, 0, v5
	s_wait_dscnt 0x7
	v_add_f32_e32 v0, v0, v16
	s_wait_dscnt 0x5
	v_dual_add_f32 v20, v8, v17 :: v_dual_add_f32 v8, v10, v18
	s_wait_dscnt 0x3
	v_dual_add_f32 v18, v11, v19 :: v_dual_add_f32 v10, v12, v21
	s_wait_dscnt 0x2
	v_add_f32_e32 v16, v13, v22
	s_wait_dscnt 0x1
	v_add_f32_e32 v12, v1, v14
	;; [unrolled: 2-line block ×3, first 2 shown]
	s_and_b32 s0, vcc_lo, s0
	s_delay_alu instid0(SALU_CYCLE_1) | instskip(NEXT) | instid1(SALU_CYCLE_1)
	s_and_saveexec_b32 s1, s0
	s_xor_b32 s0, exec_lo, s1
	s_cbranch_execz .LBB76_17
; %bb.16:
	v_xor_b32_e32 v4, 0x80000000, v3
	v_dual_mov_b32 v5, v2 :: v_dual_lshlrev_b32 v6, 2, v6
	s_delay_alu instid0(VALU_DEP_1) | instskip(NEXT) | instid1(VALU_DEP_2)
	v_ashrrev_i32_e32 v7, 31, v6
	v_pk_mul_f32 v[20:21], v[20:21], v[4:5] op_sel_hi:[0,1]
	v_pk_mul_f32 v[18:19], v[18:19], v[4:5] op_sel_hi:[0,1]
	;; [unrolled: 1-line block ×4, first 2 shown]
	s_wait_kmcnt 0x0
	v_lshl_add_u64 v[22:23], v[6:7], 3, s[2:3]
	v_pk_fma_f32 v[4:5], v[2:3], v[0:1], v[20:21] op_sel_hi:[1,0,1]
	v_pk_fma_f32 v[6:7], v[2:3], v[8:9], v[18:19] op_sel_hi:[1,0,1]
	;; [unrolled: 1-line block ×4, first 2 shown]
	s_clause 0x1
	global_store_b128 v[22:23], v[4:7], off
	global_store_b128 v[22:23], v[0:3], off offset:16
                                        ; implicit-def: $vgpr6
                                        ; implicit-def: $vgpr0
                                        ; implicit-def: $vgpr20
                                        ; implicit-def: $vgpr8
                                        ; implicit-def: $vgpr18
                                        ; implicit-def: $vgpr10
                                        ; implicit-def: $vgpr16
                                        ; implicit-def: $vgpr12
                                        ; implicit-def: $vgpr14
                                        ; implicit-def: $vgpr2_vgpr3
                                        ; implicit-def: $vgpr4_vgpr5
.LBB76_17:
	s_wait_xcnt 0x0
	s_and_not1_saveexec_b32 s0, s0
	s_cbranch_execz .LBB76_19
; %bb.18:
	v_lshlrev_b32_e32 v6, 2, v6
	v_xor_b32_e32 v32, 0x80000000, v5
	s_delay_alu instid0(VALU_DEP_2) | instskip(SKIP_1) | instid1(VALU_DEP_1)
	v_dual_mov_b32 v33, v4 :: v_dual_ashrrev_i32 v7, 31, v6
	s_wait_kmcnt 0x0
	v_lshl_add_u64 v[30:31], v[6:7], 3, s[2:3]
	v_xor_b32_e32 v6, 0x80000000, v3
	v_mov_b32_e32 v7, v2
	s_clause 0x1
	global_load_b128 v[22:25], v[30:31], off
	global_load_b128 v[26:29], v[30:31], off offset:16
	v_pk_mul_f32 v[20:21], v[20:21], v[6:7] op_sel_hi:[0,1]
	v_pk_mul_f32 v[18:19], v[18:19], v[6:7] op_sel_hi:[0,1]
	;; [unrolled: 1-line block ×4, first 2 shown]
	s_delay_alu instid0(VALU_DEP_4) | instskip(NEXT) | instid1(VALU_DEP_4)
	v_pk_fma_f32 v[0:1], v[2:3], v[0:1], v[20:21] op_sel_hi:[1,0,1]
	v_pk_fma_f32 v[8:9], v[2:3], v[8:9], v[18:19] op_sel_hi:[1,0,1]
	s_delay_alu instid0(VALU_DEP_4) | instskip(NEXT) | instid1(VALU_DEP_4)
	v_pk_fma_f32 v[10:11], v[2:3], v[10:11], v[16:17] op_sel_hi:[1,0,1]
	v_pk_fma_f32 v[2:3], v[2:3], v[12:13], v[6:7] op_sel_hi:[1,0,1]
	s_wait_loadcnt 0x1
	v_pk_fma_f32 v[0:1], v[4:5], v[22:23], v[0:1] op_sel_hi:[1,0,1]
	v_pk_fma_f32 v[6:7], v[4:5], v[24:25], v[8:9] op_sel_hi:[1,0,1]
	s_wait_loadcnt 0x0
	v_dual_mov_b32 v8, v25 :: v_dual_mov_b32 v14, v29
	v_pk_fma_f32 v[10:11], v[4:5], v[26:27], v[10:11] op_sel_hi:[1,0,1]
	v_pk_fma_f32 v[12:13], v[4:5], v[28:29], v[2:3] op_sel_hi:[1,0,1]
	v_pk_fma_f32 v[0:1], v[32:33], v[22:23], v[0:1] op_sel:[0,1,0]
	s_delay_alu instid0(VALU_DEP_4) | instskip(NEXT) | instid1(VALU_DEP_4)
	v_pk_fma_f32 v[2:3], v[32:33], v[8:9], v[6:7] op_sel_hi:[1,0,1]
	v_pk_fma_f32 v[4:5], v[32:33], v[26:27], v[10:11] op_sel:[0,1,0]
	s_delay_alu instid0(VALU_DEP_4)
	v_pk_fma_f32 v[6:7], v[32:33], v[14:15], v[12:13] op_sel_hi:[1,0,1]
	s_clause 0x1
	global_store_b128 v[30:31], v[0:3], off
	global_store_b128 v[30:31], v[4:7], off offset:16
.LBB76_19:
	s_endpgm
	.section	.rodata,"a",@progbits
	.p2align	6, 0x0
	.amdhsa_kernel _ZN9rocsparseL19gebsrmvn_4xn_kernelILj128ELj1ELj16E21rocsparse_complex_numIfEEEvi20rocsparse_direction_NS_24const_host_device_scalarIT2_EEPKiS8_PKS5_SA_S6_PS5_21rocsparse_index_base_b
		.amdhsa_group_segment_fixed_size 0
		.amdhsa_private_segment_fixed_size 0
		.amdhsa_kernarg_size 72
		.amdhsa_user_sgpr_count 2
		.amdhsa_user_sgpr_dispatch_ptr 0
		.amdhsa_user_sgpr_queue_ptr 0
		.amdhsa_user_sgpr_kernarg_segment_ptr 1
		.amdhsa_user_sgpr_dispatch_id 0
		.amdhsa_user_sgpr_kernarg_preload_length 0
		.amdhsa_user_sgpr_kernarg_preload_offset 0
		.amdhsa_user_sgpr_private_segment_size 0
		.amdhsa_wavefront_size32 1
		.amdhsa_uses_dynamic_stack 0
		.amdhsa_enable_private_segment 0
		.amdhsa_system_sgpr_workgroup_id_x 1
		.amdhsa_system_sgpr_workgroup_id_y 0
		.amdhsa_system_sgpr_workgroup_id_z 0
		.amdhsa_system_sgpr_workgroup_info 0
		.amdhsa_system_vgpr_workitem_id 0
		.amdhsa_next_free_vgpr 34
		.amdhsa_next_free_sgpr 14
		.amdhsa_named_barrier_count 0
		.amdhsa_reserve_vcc 1
		.amdhsa_float_round_mode_32 0
		.amdhsa_float_round_mode_16_64 0
		.amdhsa_float_denorm_mode_32 3
		.amdhsa_float_denorm_mode_16_64 3
		.amdhsa_fp16_overflow 0
		.amdhsa_memory_ordered 1
		.amdhsa_forward_progress 1
		.amdhsa_inst_pref_size 16
		.amdhsa_round_robin_scheduling 0
		.amdhsa_exception_fp_ieee_invalid_op 0
		.amdhsa_exception_fp_denorm_src 0
		.amdhsa_exception_fp_ieee_div_zero 0
		.amdhsa_exception_fp_ieee_overflow 0
		.amdhsa_exception_fp_ieee_underflow 0
		.amdhsa_exception_fp_ieee_inexact 0
		.amdhsa_exception_int_div_zero 0
	.end_amdhsa_kernel
	.section	.text._ZN9rocsparseL19gebsrmvn_4xn_kernelILj128ELj1ELj16E21rocsparse_complex_numIfEEEvi20rocsparse_direction_NS_24const_host_device_scalarIT2_EEPKiS8_PKS5_SA_S6_PS5_21rocsparse_index_base_b,"axG",@progbits,_ZN9rocsparseL19gebsrmvn_4xn_kernelILj128ELj1ELj16E21rocsparse_complex_numIfEEEvi20rocsparse_direction_NS_24const_host_device_scalarIT2_EEPKiS8_PKS5_SA_S6_PS5_21rocsparse_index_base_b,comdat
.Lfunc_end76:
	.size	_ZN9rocsparseL19gebsrmvn_4xn_kernelILj128ELj1ELj16E21rocsparse_complex_numIfEEEvi20rocsparse_direction_NS_24const_host_device_scalarIT2_EEPKiS8_PKS5_SA_S6_PS5_21rocsparse_index_base_b, .Lfunc_end76-_ZN9rocsparseL19gebsrmvn_4xn_kernelILj128ELj1ELj16E21rocsparse_complex_numIfEEEvi20rocsparse_direction_NS_24const_host_device_scalarIT2_EEPKiS8_PKS5_SA_S6_PS5_21rocsparse_index_base_b
                                        ; -- End function
	.set _ZN9rocsparseL19gebsrmvn_4xn_kernelILj128ELj1ELj16E21rocsparse_complex_numIfEEEvi20rocsparse_direction_NS_24const_host_device_scalarIT2_EEPKiS8_PKS5_SA_S6_PS5_21rocsparse_index_base_b.num_vgpr, 34
	.set _ZN9rocsparseL19gebsrmvn_4xn_kernelILj128ELj1ELj16E21rocsparse_complex_numIfEEEvi20rocsparse_direction_NS_24const_host_device_scalarIT2_EEPKiS8_PKS5_SA_S6_PS5_21rocsparse_index_base_b.num_agpr, 0
	.set _ZN9rocsparseL19gebsrmvn_4xn_kernelILj128ELj1ELj16E21rocsparse_complex_numIfEEEvi20rocsparse_direction_NS_24const_host_device_scalarIT2_EEPKiS8_PKS5_SA_S6_PS5_21rocsparse_index_base_b.numbered_sgpr, 14
	.set _ZN9rocsparseL19gebsrmvn_4xn_kernelILj128ELj1ELj16E21rocsparse_complex_numIfEEEvi20rocsparse_direction_NS_24const_host_device_scalarIT2_EEPKiS8_PKS5_SA_S6_PS5_21rocsparse_index_base_b.num_named_barrier, 0
	.set _ZN9rocsparseL19gebsrmvn_4xn_kernelILj128ELj1ELj16E21rocsparse_complex_numIfEEEvi20rocsparse_direction_NS_24const_host_device_scalarIT2_EEPKiS8_PKS5_SA_S6_PS5_21rocsparse_index_base_b.private_seg_size, 0
	.set _ZN9rocsparseL19gebsrmvn_4xn_kernelILj128ELj1ELj16E21rocsparse_complex_numIfEEEvi20rocsparse_direction_NS_24const_host_device_scalarIT2_EEPKiS8_PKS5_SA_S6_PS5_21rocsparse_index_base_b.uses_vcc, 1
	.set _ZN9rocsparseL19gebsrmvn_4xn_kernelILj128ELj1ELj16E21rocsparse_complex_numIfEEEvi20rocsparse_direction_NS_24const_host_device_scalarIT2_EEPKiS8_PKS5_SA_S6_PS5_21rocsparse_index_base_b.uses_flat_scratch, 1
	.set _ZN9rocsparseL19gebsrmvn_4xn_kernelILj128ELj1ELj16E21rocsparse_complex_numIfEEEvi20rocsparse_direction_NS_24const_host_device_scalarIT2_EEPKiS8_PKS5_SA_S6_PS5_21rocsparse_index_base_b.has_dyn_sized_stack, 0
	.set _ZN9rocsparseL19gebsrmvn_4xn_kernelILj128ELj1ELj16E21rocsparse_complex_numIfEEEvi20rocsparse_direction_NS_24const_host_device_scalarIT2_EEPKiS8_PKS5_SA_S6_PS5_21rocsparse_index_base_b.has_recursion, 0
	.set _ZN9rocsparseL19gebsrmvn_4xn_kernelILj128ELj1ELj16E21rocsparse_complex_numIfEEEvi20rocsparse_direction_NS_24const_host_device_scalarIT2_EEPKiS8_PKS5_SA_S6_PS5_21rocsparse_index_base_b.has_indirect_call, 0
	.section	.AMDGPU.csdata,"",@progbits
; Kernel info:
; codeLenInByte = 2024
; TotalNumSgprs: 16
; NumVgprs: 34
; ScratchSize: 0
; MemoryBound: 0
; FloatMode: 240
; IeeeMode: 1
; LDSByteSize: 0 bytes/workgroup (compile time only)
; SGPRBlocks: 0
; VGPRBlocks: 2
; NumSGPRsForWavesPerEU: 16
; NumVGPRsForWavesPerEU: 34
; NamedBarCnt: 0
; Occupancy: 16
; WaveLimiterHint : 1
; COMPUTE_PGM_RSRC2:SCRATCH_EN: 0
; COMPUTE_PGM_RSRC2:USER_SGPR: 2
; COMPUTE_PGM_RSRC2:TRAP_HANDLER: 0
; COMPUTE_PGM_RSRC2:TGID_X_EN: 1
; COMPUTE_PGM_RSRC2:TGID_Y_EN: 0
; COMPUTE_PGM_RSRC2:TGID_Z_EN: 0
; COMPUTE_PGM_RSRC2:TIDIG_COMP_CNT: 0
	.section	.text._ZN9rocsparseL19gebsrmvn_4xn_kernelILj128ELj1ELj32E21rocsparse_complex_numIfEEEvi20rocsparse_direction_NS_24const_host_device_scalarIT2_EEPKiS8_PKS5_SA_S6_PS5_21rocsparse_index_base_b,"axG",@progbits,_ZN9rocsparseL19gebsrmvn_4xn_kernelILj128ELj1ELj32E21rocsparse_complex_numIfEEEvi20rocsparse_direction_NS_24const_host_device_scalarIT2_EEPKiS8_PKS5_SA_S6_PS5_21rocsparse_index_base_b,comdat
	.globl	_ZN9rocsparseL19gebsrmvn_4xn_kernelILj128ELj1ELj32E21rocsparse_complex_numIfEEEvi20rocsparse_direction_NS_24const_host_device_scalarIT2_EEPKiS8_PKS5_SA_S6_PS5_21rocsparse_index_base_b ; -- Begin function _ZN9rocsparseL19gebsrmvn_4xn_kernelILj128ELj1ELj32E21rocsparse_complex_numIfEEEvi20rocsparse_direction_NS_24const_host_device_scalarIT2_EEPKiS8_PKS5_SA_S6_PS5_21rocsparse_index_base_b
	.p2align	8
	.type	_ZN9rocsparseL19gebsrmvn_4xn_kernelILj128ELj1ELj32E21rocsparse_complex_numIfEEEvi20rocsparse_direction_NS_24const_host_device_scalarIT2_EEPKiS8_PKS5_SA_S6_PS5_21rocsparse_index_base_b,@function
_ZN9rocsparseL19gebsrmvn_4xn_kernelILj128ELj1ELj32E21rocsparse_complex_numIfEEEvi20rocsparse_direction_NS_24const_host_device_scalarIT2_EEPKiS8_PKS5_SA_S6_PS5_21rocsparse_index_base_b: ; @_ZN9rocsparseL19gebsrmvn_4xn_kernelILj128ELj1ELj32E21rocsparse_complex_numIfEEEvi20rocsparse_direction_NS_24const_host_device_scalarIT2_EEPKiS8_PKS5_SA_S6_PS5_21rocsparse_index_base_b
; %bb.0:
	s_clause 0x2
	s_load_b64 s[12:13], s[0:1], 0x40
	s_load_b64 s[2:3], s[0:1], 0x8
	;; [unrolled: 1-line block ×3, first 2 shown]
	v_mov_b32_e32 v1, 0
	s_add_nc_u64 s[6:7], s[0:1], 8
	s_add_nc_u64 s[8:9], s[0:1], 48
	s_wait_kmcnt 0x0
	s_bitcmp1_b32 s13, 0
	s_cselect_b32 s3, s7, s3
	s_cselect_b32 s2, s6, s2
	;; [unrolled: 1-line block ×4, first 2 shown]
	s_clause 0x1
	flat_load_b64 v[2:3], v1, s[2:3]
	flat_load_b64 v[4:5], v1, s[4:5]
	s_wait_loadcnt_dscnt 0x101
	v_cmp_eq_f32_e32 vcc_lo, 0, v2
	v_cmp_eq_f32_e64 s2, 0, v3
	s_wait_loadcnt_dscnt 0x0
	v_cmp_eq_f32_e64 s3, 1.0, v4
	v_cmp_eq_f32_e64 s4, 0, v5
	s_and_b32 s2, vcc_lo, s2
	s_and_b32 s3, s3, s4
	s_delay_alu instid0(SALU_CYCLE_1) | instskip(NEXT) | instid1(SALU_CYCLE_1)
	s_and_b32 s2, s2, s3
	s_xor_b32 s2, s2, -1
	s_delay_alu instid0(SALU_CYCLE_1)
	s_and_saveexec_b32 s3, s2
	s_cbranch_execz .LBB77_19
; %bb.1:
	s_load_b64 s[2:3], s[0:1], 0x0
	s_bfe_u32 s4, ttmp6, 0x4000c
	s_and_b32 s5, ttmp6, 15
	s_add_co_i32 s4, s4, 1
	s_getreg_b32 s6, hwreg(HW_REG_IB_STS2, 6, 4)
	s_mul_i32 s4, ttmp9, s4
	v_lshrrev_b32_e32 v1, 5, v0
	s_add_co_i32 s5, s5, s4
	s_cmp_eq_u32 s6, 0
	s_cselect_b32 s4, ttmp9, s5
	s_delay_alu instid0(VALU_DEP_1) | instid1(SALU_CYCLE_1)
	v_lshl_or_b32 v6, s4, 2, v1
	s_wait_kmcnt 0x0
	s_delay_alu instid0(VALU_DEP_1)
	v_cmp_gt_i32_e32 vcc_lo, s2, v6
	s_and_b32 exec_lo, exec_lo, vcc_lo
	s_cbranch_execz .LBB77_19
; %bb.2:
	s_load_b256 s[4:11], s[0:1], 0x10
	v_ashrrev_i32_e32 v7, 31, v6
	s_cmp_lg_u32 s3, 0
	s_wait_kmcnt 0x0
	s_delay_alu instid0(VALU_DEP_1)
	v_lshl_add_u64 v[8:9], v[6:7], 2, s[4:5]
	v_and_b32_e32 v7, 31, v0
	global_load_b64 v[8:9], v[8:9], off
	s_wait_loadcnt 0x0
	v_subrev_nc_u32_e32 v0, s12, v8
	v_subrev_nc_u32_e32 v16, s12, v9
	s_delay_alu instid0(VALU_DEP_2) | instskip(NEXT) | instid1(VALU_DEP_1)
	v_add_nc_u32_e32 v17, v0, v7
	v_cmp_lt_i32_e64 s2, v17, v16
	s_cbranch_scc0 .LBB77_8
; %bb.3:
	v_mov_b32_e32 v9, 0
	s_delay_alu instid0(VALU_DEP_1)
	v_dual_mov_b32 v8, v9 :: v_dual_mov_b32 v1, v9
	v_dual_mov_b32 v0, v9 :: v_dual_mov_b32 v11, v9
	;; [unrolled: 1-line block ×3, first 2 shown]
	v_mov_b32_e32 v12, v9
	s_and_saveexec_b32 s3, s2
	s_cbranch_execz .LBB77_7
; %bb.4:
	v_dual_mov_b32 v15, 0 :: v_dual_lshlrev_b32 v14, 2, v17
	v_mov_b32_e32 v18, v17
	s_mov_b32 s4, 0
	s_delay_alu instid0(VALU_DEP_2)
	v_dual_mov_b32 v12, v15 :: v_dual_mov_b32 v13, v15
	v_dual_mov_b32 v10, v15 :: v_dual_mov_b32 v11, v15
	;; [unrolled: 1-line block ×4, first 2 shown]
.LBB77_5:                               ; =>This Inner Loop Header: Depth=1
	global_load_b32 v19, v18, s[6:7] scale_offset
	v_lshl_add_u64 v[28:29], v[14:15], 3, s[8:9]
	global_load_b128 v[20:23], v[28:29], off
	s_wait_xcnt 0x1
	v_add_nc_u32_e32 v18, 32, v18
	s_wait_loadcnt 0x1
	v_subrev_nc_u32_e32 v19, s12, v19
	global_load_b128 v[24:27], v[28:29], off offset:16
	global_load_b64 v[30:31], v19, s[10:11] scale_offset
	v_add_nc_u32_e32 v14, 0x80, v14
	s_wait_loadcnt 0x2
	s_wait_xcnt 0x1
	v_xor_b32_e32 v28, 0x80000000, v23
	v_mov_b32_e32 v29, v22
	v_cmp_ge_i32_e32 vcc_lo, v18, v16
	s_or_b32 s4, vcc_lo, s4
	s_wait_loadcnt 0x1
	v_xor_b32_e32 v32, 0x80000000, v27
	v_mov_b32_e32 v33, v26
	s_wait_loadcnt 0x0
	v_pk_fma_f32 v[8:9], v[20:21], v[30:31], v[8:9] op_sel_hi:[1,0,1]
	v_pk_fma_f32 v[12:13], v[22:23], v[30:31], v[12:13] op_sel_hi:[1,0,1]
	;; [unrolled: 1-line block ×4, first 2 shown]
	s_delay_alu instid0(VALU_DEP_4) | instskip(NEXT) | instid1(VALU_DEP_4)
	v_pk_fma_f32 v[8:9], v[20:21], v[30:31], v[8:9] op_sel:[1,1,0] op_sel_hi:[0,1,1] neg_lo:[1,0,0]
	v_pk_fma_f32 v[12:13], v[28:29], v[30:31], v[12:13] op_sel:[0,1,0]
	s_delay_alu instid0(VALU_DEP_4) | instskip(NEXT) | instid1(VALU_DEP_4)
	v_pk_fma_f32 v[10:11], v[24:25], v[30:31], v[10:11] op_sel:[1,1,0] op_sel_hi:[0,1,1] neg_lo:[1,0,0]
	v_pk_fma_f32 v[0:1], v[32:33], v[30:31], v[0:1] op_sel:[0,1,0]
	s_and_not1_b32 exec_lo, exec_lo, s4
	s_cbranch_execnz .LBB77_5
; %bb.6:
	s_or_b32 exec_lo, exec_lo, s4
.LBB77_7:
	s_delay_alu instid0(SALU_CYCLE_1)
	s_or_b32 exec_lo, exec_lo, s3
	s_cbranch_execz .LBB77_9
	s_branch .LBB77_14
.LBB77_8:
                                        ; implicit-def: $vgpr9
                                        ; implicit-def: $vgpr1
                                        ; implicit-def: $vgpr11
                                        ; implicit-def: $vgpr13
.LBB77_9:
	v_mov_b32_e32 v9, 0
	s_delay_alu instid0(VALU_DEP_1)
	v_dual_mov_b32 v8, v9 :: v_dual_mov_b32 v1, v9
	v_dual_mov_b32 v0, v9 :: v_dual_mov_b32 v11, v9
	;; [unrolled: 1-line block ×3, first 2 shown]
	v_mov_b32_e32 v12, v9
	s_and_saveexec_b32 s3, s2
	s_cbranch_execz .LBB77_13
; %bb.10:
	v_dual_mov_b32 v15, 0 :: v_dual_lshlrev_b32 v14, 2, v17
	s_mov_b32 s2, 0
	s_delay_alu instid0(VALU_DEP_1)
	v_dual_mov_b32 v12, v15 :: v_dual_mov_b32 v13, v15
	v_dual_mov_b32 v10, v15 :: v_dual_mov_b32 v11, v15
	;; [unrolled: 1-line block ×4, first 2 shown]
.LBB77_11:                              ; =>This Inner Loop Header: Depth=1
	global_load_b32 v22, v17, s[6:7] scale_offset
	v_lshl_add_u64 v[26:27], v[14:15], 3, s[8:9]
	global_load_b128 v[18:21], v[26:27], off
	s_wait_xcnt 0x1
	v_add_nc_u32_e32 v17, 32, v17
	s_wait_loadcnt 0x1
	v_subrev_nc_u32_e32 v30, s12, v22
	global_load_b128 v[22:25], v[26:27], off offset:16
	global_load_b64 v[28:29], v30, s[10:11] scale_offset
	v_add_nc_u32_e32 v14, 0x80, v14
	s_wait_loadcnt 0x2
	s_wait_xcnt 0x1
	v_xor_b32_e32 v26, 0x80000000, v21
	v_mov_b32_e32 v27, v20
	v_cmp_ge_i32_e32 vcc_lo, v17, v16
	s_or_b32 s2, vcc_lo, s2
	s_wait_loadcnt 0x1
	s_wait_xcnt 0x0
	v_xor_b32_e32 v30, 0x80000000, v25
	v_mov_b32_e32 v31, v24
	s_wait_loadcnt 0x0
	v_pk_fma_f32 v[8:9], v[18:19], v[28:29], v[8:9] op_sel_hi:[1,0,1]
	v_pk_fma_f32 v[12:13], v[20:21], v[28:29], v[12:13] op_sel_hi:[1,0,1]
	;; [unrolled: 1-line block ×4, first 2 shown]
	s_delay_alu instid0(VALU_DEP_4) | instskip(NEXT) | instid1(VALU_DEP_4)
	v_pk_fma_f32 v[8:9], v[18:19], v[28:29], v[8:9] op_sel:[1,1,0] op_sel_hi:[0,1,1] neg_lo:[1,0,0]
	v_pk_fma_f32 v[12:13], v[26:27], v[28:29], v[12:13] op_sel:[0,1,0]
	s_delay_alu instid0(VALU_DEP_4) | instskip(NEXT) | instid1(VALU_DEP_4)
	v_pk_fma_f32 v[10:11], v[22:23], v[28:29], v[10:11] op_sel:[1,1,0] op_sel_hi:[0,1,1] neg_lo:[1,0,0]
	v_pk_fma_f32 v[0:1], v[30:31], v[28:29], v[0:1] op_sel:[0,1,0]
	s_and_not1_b32 exec_lo, exec_lo, s2
	s_cbranch_execnz .LBB77_11
; %bb.12:
	s_or_b32 exec_lo, exec_lo, s2
.LBB77_13:
	s_delay_alu instid0(SALU_CYCLE_1)
	s_or_b32 exec_lo, exec_lo, s3
.LBB77_14:
	v_mbcnt_lo_u32_b32 v14, -1, 0
	s_delay_alu instid0(VALU_DEP_1) | instskip(SKIP_1) | instid1(VALU_DEP_1)
	v_xor_b32_e32 v23, 8, v14
	v_xor_b32_e32 v15, 16, v14
	v_cmp_gt_i32_e32 vcc_lo, 32, v15
	v_cndmask_b32_e32 v15, v14, v15, vcc_lo
	s_delay_alu instid0(VALU_DEP_1)
	v_lshlrev_b32_e32 v15, 2, v15
	ds_bpermute_b32 v17, v15, v9
	s_wait_dscnt 0x0
	v_add_f32_e32 v9, v9, v17
	ds_bpermute_b32 v19, v15, v13
	ds_bpermute_b32 v16, v15, v8
	;; [unrolled: 1-line block ×7, first 2 shown]
	s_wait_dscnt 0x6
	v_add_f32_e32 v13, v13, v19
	v_cmp_gt_i32_e32 vcc_lo, 32, v23
	s_wait_dscnt 0x5
	v_add_f32_e32 v8, v8, v16
	s_wait_dscnt 0x2
	v_dual_add_f32 v10, v10, v20 :: v_dual_add_f32 v11, v11, v21
	s_wait_dscnt 0x0
	v_dual_add_f32 v0, v0, v22 :: v_dual_add_f32 v1, v1, v15
	v_dual_cndmask_b32 v23, v14, v23 :: v_dual_add_f32 v12, v12, v18
	s_delay_alu instid0(VALU_DEP_1)
	v_lshlrev_b32_e32 v23, 2, v23
	ds_bpermute_b32 v15, v23, v8
	ds_bpermute_b32 v16, v23, v9
	;; [unrolled: 1-line block ×8, first 2 shown]
	s_wait_dscnt 0x7
	v_dual_add_f32 v8, v8, v15 :: v_dual_bitop2_b32 v23, 4, v14 bitop3:0x14
	s_delay_alu instid0(VALU_DEP_1)
	v_cmp_gt_i32_e32 vcc_lo, 32, v23
	s_wait_dscnt 0x6
	v_add_f32_e32 v9, v9, v16
	s_wait_dscnt 0x3
	v_dual_add_f32 v13, v13, v18 :: v_dual_add_f32 v10, v10, v19
	s_wait_dscnt 0x1
	v_dual_add_f32 v11, v11, v20 :: v_dual_add_f32 v0, v0, v21
	v_dual_cndmask_b32 v23, v14, v23 :: v_dual_add_f32 v12, v12, v17
	s_wait_dscnt 0x0
	s_delay_alu instid0(VALU_DEP_1)
	v_dual_add_f32 v1, v1, v22 :: v_dual_lshlrev_b32 v23, 2, v23
	ds_bpermute_b32 v15, v23, v8
	ds_bpermute_b32 v16, v23, v9
	;; [unrolled: 1-line block ×8, first 2 shown]
	s_wait_dscnt 0x7
	v_dual_add_f32 v8, v8, v15 :: v_dual_bitop2_b32 v23, 2, v14 bitop3:0x14
	s_delay_alu instid0(VALU_DEP_1)
	v_cmp_gt_i32_e32 vcc_lo, 32, v23
	s_wait_dscnt 0x4
	v_dual_add_f32 v12, v12, v17 :: v_dual_add_f32 v13, v13, v18
	s_wait_dscnt 0x3
	v_dual_add_f32 v9, v9, v16 :: v_dual_add_f32 v15, v10, v19
	s_wait_dscnt 0x2
	v_dual_add_f32 v16, v11, v20 :: v_dual_cndmask_b32 v23, v14, v23
	s_wait_dscnt 0x0
	v_dual_add_f32 v17, v0, v21 :: v_dual_add_f32 v18, v1, v22
	s_delay_alu instid0(VALU_DEP_2)
	v_lshlrev_b32_e32 v23, 2, v23
	ds_bpermute_b32 v0, v23, v8
	ds_bpermute_b32 v1, v23, v9
	;; [unrolled: 1-line block ×8, first 2 shown]
	s_wait_dscnt 0x7
	v_dual_add_f32 v0, v8, v0 :: v_dual_bitop2_b32 v23, 1, v14 bitop3:0x14
	s_delay_alu instid0(VALU_DEP_1)
	v_cmp_gt_i32_e32 vcc_lo, 32, v23
	s_wait_dscnt 0x5
	v_dual_add_f32 v8, v9, v1 :: v_dual_add_f32 v10, v12, v10
	s_wait_dscnt 0x3
	v_add_f32_e32 v12, v15, v19
	v_add_f32_e32 v11, v13, v11
	s_wait_dscnt 0x2
	v_dual_cndmask_b32 v14, v14, v23 :: v_dual_add_f32 v13, v16, v20
	s_wait_dscnt 0x0
	v_dual_add_f32 v1, v17, v21 :: v_dual_add_f32 v9, v18, v22
	v_cmp_eq_u32_e32 vcc_lo, 31, v7
	s_delay_alu instid0(VALU_DEP_3)
	v_lshlrev_b32_e32 v23, 2, v14
	ds_bpermute_b32 v16, v23, v0
	ds_bpermute_b32 v17, v23, v8
	;; [unrolled: 1-line block ×8, first 2 shown]
	s_and_b32 exec_lo, exec_lo, vcc_lo
	s_cbranch_execz .LBB77_19
; %bb.15:
	s_load_b64 s[2:3], s[0:1], 0x38
	v_cmp_eq_f32_e32 vcc_lo, 0, v4
	s_wait_xcnt 0x0
	v_cmp_eq_f32_e64 s0, 0, v5
	s_wait_dscnt 0x7
	v_add_f32_e32 v0, v0, v16
	s_wait_dscnt 0x5
	v_dual_add_f32 v20, v8, v17 :: v_dual_add_f32 v8, v10, v18
	s_wait_dscnt 0x3
	v_dual_add_f32 v18, v11, v19 :: v_dual_add_f32 v10, v12, v21
	s_wait_dscnt 0x2
	v_add_f32_e32 v16, v13, v22
	s_wait_dscnt 0x1
	v_add_f32_e32 v12, v1, v14
	;; [unrolled: 2-line block ×3, first 2 shown]
	s_and_b32 s0, vcc_lo, s0
	s_delay_alu instid0(SALU_CYCLE_1) | instskip(NEXT) | instid1(SALU_CYCLE_1)
	s_and_saveexec_b32 s1, s0
	s_xor_b32 s0, exec_lo, s1
	s_cbranch_execz .LBB77_17
; %bb.16:
	v_xor_b32_e32 v4, 0x80000000, v3
	v_dual_mov_b32 v5, v2 :: v_dual_lshlrev_b32 v6, 2, v6
	s_delay_alu instid0(VALU_DEP_1) | instskip(NEXT) | instid1(VALU_DEP_2)
	v_ashrrev_i32_e32 v7, 31, v6
	v_pk_mul_f32 v[20:21], v[20:21], v[4:5] op_sel_hi:[0,1]
	v_pk_mul_f32 v[18:19], v[18:19], v[4:5] op_sel_hi:[0,1]
	;; [unrolled: 1-line block ×4, first 2 shown]
	s_wait_kmcnt 0x0
	v_lshl_add_u64 v[22:23], v[6:7], 3, s[2:3]
	v_pk_fma_f32 v[4:5], v[2:3], v[0:1], v[20:21] op_sel_hi:[1,0,1]
	v_pk_fma_f32 v[6:7], v[2:3], v[8:9], v[18:19] op_sel_hi:[1,0,1]
	v_pk_fma_f32 v[0:1], v[2:3], v[10:11], v[16:17] op_sel_hi:[1,0,1]
	v_pk_fma_f32 v[2:3], v[2:3], v[12:13], v[14:15] op_sel_hi:[1,0,1]
	s_clause 0x1
	global_store_b128 v[22:23], v[4:7], off
	global_store_b128 v[22:23], v[0:3], off offset:16
                                        ; implicit-def: $vgpr6
                                        ; implicit-def: $vgpr0
                                        ; implicit-def: $vgpr20
                                        ; implicit-def: $vgpr8
                                        ; implicit-def: $vgpr18
                                        ; implicit-def: $vgpr10
                                        ; implicit-def: $vgpr16
                                        ; implicit-def: $vgpr12
                                        ; implicit-def: $vgpr14
                                        ; implicit-def: $vgpr2_vgpr3
                                        ; implicit-def: $vgpr4_vgpr5
.LBB77_17:
	s_wait_xcnt 0x0
	s_and_not1_saveexec_b32 s0, s0
	s_cbranch_execz .LBB77_19
; %bb.18:
	v_lshlrev_b32_e32 v6, 2, v6
	v_xor_b32_e32 v32, 0x80000000, v5
	s_delay_alu instid0(VALU_DEP_2) | instskip(SKIP_1) | instid1(VALU_DEP_1)
	v_dual_mov_b32 v33, v4 :: v_dual_ashrrev_i32 v7, 31, v6
	s_wait_kmcnt 0x0
	v_lshl_add_u64 v[30:31], v[6:7], 3, s[2:3]
	v_xor_b32_e32 v6, 0x80000000, v3
	v_mov_b32_e32 v7, v2
	s_clause 0x1
	global_load_b128 v[22:25], v[30:31], off
	global_load_b128 v[26:29], v[30:31], off offset:16
	v_pk_mul_f32 v[20:21], v[20:21], v[6:7] op_sel_hi:[0,1]
	v_pk_mul_f32 v[18:19], v[18:19], v[6:7] op_sel_hi:[0,1]
	;; [unrolled: 1-line block ×4, first 2 shown]
	s_delay_alu instid0(VALU_DEP_4) | instskip(NEXT) | instid1(VALU_DEP_4)
	v_pk_fma_f32 v[0:1], v[2:3], v[0:1], v[20:21] op_sel_hi:[1,0,1]
	v_pk_fma_f32 v[8:9], v[2:3], v[8:9], v[18:19] op_sel_hi:[1,0,1]
	s_delay_alu instid0(VALU_DEP_4) | instskip(NEXT) | instid1(VALU_DEP_4)
	v_pk_fma_f32 v[10:11], v[2:3], v[10:11], v[16:17] op_sel_hi:[1,0,1]
	v_pk_fma_f32 v[2:3], v[2:3], v[12:13], v[6:7] op_sel_hi:[1,0,1]
	s_wait_loadcnt 0x1
	v_pk_fma_f32 v[0:1], v[4:5], v[22:23], v[0:1] op_sel_hi:[1,0,1]
	v_pk_fma_f32 v[6:7], v[4:5], v[24:25], v[8:9] op_sel_hi:[1,0,1]
	s_wait_loadcnt 0x0
	v_dual_mov_b32 v8, v25 :: v_dual_mov_b32 v14, v29
	v_pk_fma_f32 v[10:11], v[4:5], v[26:27], v[10:11] op_sel_hi:[1,0,1]
	v_pk_fma_f32 v[12:13], v[4:5], v[28:29], v[2:3] op_sel_hi:[1,0,1]
	v_pk_fma_f32 v[0:1], v[32:33], v[22:23], v[0:1] op_sel:[0,1,0]
	s_delay_alu instid0(VALU_DEP_4) | instskip(NEXT) | instid1(VALU_DEP_4)
	v_pk_fma_f32 v[2:3], v[32:33], v[8:9], v[6:7] op_sel_hi:[1,0,1]
	v_pk_fma_f32 v[4:5], v[32:33], v[26:27], v[10:11] op_sel:[0,1,0]
	s_delay_alu instid0(VALU_DEP_4)
	v_pk_fma_f32 v[6:7], v[32:33], v[14:15], v[12:13] op_sel_hi:[1,0,1]
	s_clause 0x1
	global_store_b128 v[30:31], v[0:3], off
	global_store_b128 v[30:31], v[4:7], off offset:16
.LBB77_19:
	s_endpgm
	.section	.rodata,"a",@progbits
	.p2align	6, 0x0
	.amdhsa_kernel _ZN9rocsparseL19gebsrmvn_4xn_kernelILj128ELj1ELj32E21rocsparse_complex_numIfEEEvi20rocsparse_direction_NS_24const_host_device_scalarIT2_EEPKiS8_PKS5_SA_S6_PS5_21rocsparse_index_base_b
		.amdhsa_group_segment_fixed_size 0
		.amdhsa_private_segment_fixed_size 0
		.amdhsa_kernarg_size 72
		.amdhsa_user_sgpr_count 2
		.amdhsa_user_sgpr_dispatch_ptr 0
		.amdhsa_user_sgpr_queue_ptr 0
		.amdhsa_user_sgpr_kernarg_segment_ptr 1
		.amdhsa_user_sgpr_dispatch_id 0
		.amdhsa_user_sgpr_kernarg_preload_length 0
		.amdhsa_user_sgpr_kernarg_preload_offset 0
		.amdhsa_user_sgpr_private_segment_size 0
		.amdhsa_wavefront_size32 1
		.amdhsa_uses_dynamic_stack 0
		.amdhsa_enable_private_segment 0
		.amdhsa_system_sgpr_workgroup_id_x 1
		.amdhsa_system_sgpr_workgroup_id_y 0
		.amdhsa_system_sgpr_workgroup_id_z 0
		.amdhsa_system_sgpr_workgroup_info 0
		.amdhsa_system_vgpr_workitem_id 0
		.amdhsa_next_free_vgpr 34
		.amdhsa_next_free_sgpr 14
		.amdhsa_named_barrier_count 0
		.amdhsa_reserve_vcc 1
		.amdhsa_float_round_mode_32 0
		.amdhsa_float_round_mode_16_64 0
		.amdhsa_float_denorm_mode_32 3
		.amdhsa_float_denorm_mode_16_64 3
		.amdhsa_fp16_overflow 0
		.amdhsa_memory_ordered 1
		.amdhsa_forward_progress 1
		.amdhsa_inst_pref_size 17
		.amdhsa_round_robin_scheduling 0
		.amdhsa_exception_fp_ieee_invalid_op 0
		.amdhsa_exception_fp_denorm_src 0
		.amdhsa_exception_fp_ieee_div_zero 0
		.amdhsa_exception_fp_ieee_overflow 0
		.amdhsa_exception_fp_ieee_underflow 0
		.amdhsa_exception_fp_ieee_inexact 0
		.amdhsa_exception_int_div_zero 0
	.end_amdhsa_kernel
	.section	.text._ZN9rocsparseL19gebsrmvn_4xn_kernelILj128ELj1ELj32E21rocsparse_complex_numIfEEEvi20rocsparse_direction_NS_24const_host_device_scalarIT2_EEPKiS8_PKS5_SA_S6_PS5_21rocsparse_index_base_b,"axG",@progbits,_ZN9rocsparseL19gebsrmvn_4xn_kernelILj128ELj1ELj32E21rocsparse_complex_numIfEEEvi20rocsparse_direction_NS_24const_host_device_scalarIT2_EEPKiS8_PKS5_SA_S6_PS5_21rocsparse_index_base_b,comdat
.Lfunc_end77:
	.size	_ZN9rocsparseL19gebsrmvn_4xn_kernelILj128ELj1ELj32E21rocsparse_complex_numIfEEEvi20rocsparse_direction_NS_24const_host_device_scalarIT2_EEPKiS8_PKS5_SA_S6_PS5_21rocsparse_index_base_b, .Lfunc_end77-_ZN9rocsparseL19gebsrmvn_4xn_kernelILj128ELj1ELj32E21rocsparse_complex_numIfEEEvi20rocsparse_direction_NS_24const_host_device_scalarIT2_EEPKiS8_PKS5_SA_S6_PS5_21rocsparse_index_base_b
                                        ; -- End function
	.set _ZN9rocsparseL19gebsrmvn_4xn_kernelILj128ELj1ELj32E21rocsparse_complex_numIfEEEvi20rocsparse_direction_NS_24const_host_device_scalarIT2_EEPKiS8_PKS5_SA_S6_PS5_21rocsparse_index_base_b.num_vgpr, 34
	.set _ZN9rocsparseL19gebsrmvn_4xn_kernelILj128ELj1ELj32E21rocsparse_complex_numIfEEEvi20rocsparse_direction_NS_24const_host_device_scalarIT2_EEPKiS8_PKS5_SA_S6_PS5_21rocsparse_index_base_b.num_agpr, 0
	.set _ZN9rocsparseL19gebsrmvn_4xn_kernelILj128ELj1ELj32E21rocsparse_complex_numIfEEEvi20rocsparse_direction_NS_24const_host_device_scalarIT2_EEPKiS8_PKS5_SA_S6_PS5_21rocsparse_index_base_b.numbered_sgpr, 14
	.set _ZN9rocsparseL19gebsrmvn_4xn_kernelILj128ELj1ELj32E21rocsparse_complex_numIfEEEvi20rocsparse_direction_NS_24const_host_device_scalarIT2_EEPKiS8_PKS5_SA_S6_PS5_21rocsparse_index_base_b.num_named_barrier, 0
	.set _ZN9rocsparseL19gebsrmvn_4xn_kernelILj128ELj1ELj32E21rocsparse_complex_numIfEEEvi20rocsparse_direction_NS_24const_host_device_scalarIT2_EEPKiS8_PKS5_SA_S6_PS5_21rocsparse_index_base_b.private_seg_size, 0
	.set _ZN9rocsparseL19gebsrmvn_4xn_kernelILj128ELj1ELj32E21rocsparse_complex_numIfEEEvi20rocsparse_direction_NS_24const_host_device_scalarIT2_EEPKiS8_PKS5_SA_S6_PS5_21rocsparse_index_base_b.uses_vcc, 1
	.set _ZN9rocsparseL19gebsrmvn_4xn_kernelILj128ELj1ELj32E21rocsparse_complex_numIfEEEvi20rocsparse_direction_NS_24const_host_device_scalarIT2_EEPKiS8_PKS5_SA_S6_PS5_21rocsparse_index_base_b.uses_flat_scratch, 1
	.set _ZN9rocsparseL19gebsrmvn_4xn_kernelILj128ELj1ELj32E21rocsparse_complex_numIfEEEvi20rocsparse_direction_NS_24const_host_device_scalarIT2_EEPKiS8_PKS5_SA_S6_PS5_21rocsparse_index_base_b.has_dyn_sized_stack, 0
	.set _ZN9rocsparseL19gebsrmvn_4xn_kernelILj128ELj1ELj32E21rocsparse_complex_numIfEEEvi20rocsparse_direction_NS_24const_host_device_scalarIT2_EEPKiS8_PKS5_SA_S6_PS5_21rocsparse_index_base_b.has_recursion, 0
	.set _ZN9rocsparseL19gebsrmvn_4xn_kernelILj128ELj1ELj32E21rocsparse_complex_numIfEEEvi20rocsparse_direction_NS_24const_host_device_scalarIT2_EEPKiS8_PKS5_SA_S6_PS5_21rocsparse_index_base_b.has_indirect_call, 0
	.section	.AMDGPU.csdata,"",@progbits
; Kernel info:
; codeLenInByte = 2176
; TotalNumSgprs: 16
; NumVgprs: 34
; ScratchSize: 0
; MemoryBound: 0
; FloatMode: 240
; IeeeMode: 1
; LDSByteSize: 0 bytes/workgroup (compile time only)
; SGPRBlocks: 0
; VGPRBlocks: 2
; NumSGPRsForWavesPerEU: 16
; NumVGPRsForWavesPerEU: 34
; NamedBarCnt: 0
; Occupancy: 16
; WaveLimiterHint : 1
; COMPUTE_PGM_RSRC2:SCRATCH_EN: 0
; COMPUTE_PGM_RSRC2:USER_SGPR: 2
; COMPUTE_PGM_RSRC2:TRAP_HANDLER: 0
; COMPUTE_PGM_RSRC2:TGID_X_EN: 1
; COMPUTE_PGM_RSRC2:TGID_Y_EN: 0
; COMPUTE_PGM_RSRC2:TGID_Z_EN: 0
; COMPUTE_PGM_RSRC2:TIDIG_COMP_CNT: 0
	.section	.text._ZN9rocsparseL19gebsrmvn_4xn_kernelILj128ELj1ELj64E21rocsparse_complex_numIfEEEvi20rocsparse_direction_NS_24const_host_device_scalarIT2_EEPKiS8_PKS5_SA_S6_PS5_21rocsparse_index_base_b,"axG",@progbits,_ZN9rocsparseL19gebsrmvn_4xn_kernelILj128ELj1ELj64E21rocsparse_complex_numIfEEEvi20rocsparse_direction_NS_24const_host_device_scalarIT2_EEPKiS8_PKS5_SA_S6_PS5_21rocsparse_index_base_b,comdat
	.globl	_ZN9rocsparseL19gebsrmvn_4xn_kernelILj128ELj1ELj64E21rocsparse_complex_numIfEEEvi20rocsparse_direction_NS_24const_host_device_scalarIT2_EEPKiS8_PKS5_SA_S6_PS5_21rocsparse_index_base_b ; -- Begin function _ZN9rocsparseL19gebsrmvn_4xn_kernelILj128ELj1ELj64E21rocsparse_complex_numIfEEEvi20rocsparse_direction_NS_24const_host_device_scalarIT2_EEPKiS8_PKS5_SA_S6_PS5_21rocsparse_index_base_b
	.p2align	8
	.type	_ZN9rocsparseL19gebsrmvn_4xn_kernelILj128ELj1ELj64E21rocsparse_complex_numIfEEEvi20rocsparse_direction_NS_24const_host_device_scalarIT2_EEPKiS8_PKS5_SA_S6_PS5_21rocsparse_index_base_b,@function
_ZN9rocsparseL19gebsrmvn_4xn_kernelILj128ELj1ELj64E21rocsparse_complex_numIfEEEvi20rocsparse_direction_NS_24const_host_device_scalarIT2_EEPKiS8_PKS5_SA_S6_PS5_21rocsparse_index_base_b: ; @_ZN9rocsparseL19gebsrmvn_4xn_kernelILj128ELj1ELj64E21rocsparse_complex_numIfEEEvi20rocsparse_direction_NS_24const_host_device_scalarIT2_EEPKiS8_PKS5_SA_S6_PS5_21rocsparse_index_base_b
; %bb.0:
	s_clause 0x2
	s_load_b64 s[12:13], s[0:1], 0x40
	s_load_b64 s[2:3], s[0:1], 0x8
	;; [unrolled: 1-line block ×3, first 2 shown]
	v_mov_b32_e32 v1, 0
	s_add_nc_u64 s[6:7], s[0:1], 8
	s_add_nc_u64 s[8:9], s[0:1], 48
	s_wait_kmcnt 0x0
	s_bitcmp1_b32 s13, 0
	s_cselect_b32 s3, s7, s3
	s_cselect_b32 s2, s6, s2
	;; [unrolled: 1-line block ×4, first 2 shown]
	s_clause 0x1
	flat_load_b64 v[2:3], v1, s[2:3]
	flat_load_b64 v[4:5], v1, s[4:5]
	s_wait_loadcnt_dscnt 0x101
	v_cmp_eq_f32_e32 vcc_lo, 0, v2
	v_cmp_eq_f32_e64 s2, 0, v3
	s_wait_loadcnt_dscnt 0x0
	v_cmp_eq_f32_e64 s3, 1.0, v4
	v_cmp_eq_f32_e64 s4, 0, v5
	s_and_b32 s2, vcc_lo, s2
	s_and_b32 s3, s3, s4
	s_delay_alu instid0(SALU_CYCLE_1) | instskip(NEXT) | instid1(SALU_CYCLE_1)
	s_and_b32 s2, s2, s3
	s_xor_b32 s2, s2, -1
	s_delay_alu instid0(SALU_CYCLE_1)
	s_and_saveexec_b32 s3, s2
	s_cbranch_execz .LBB78_19
; %bb.1:
	s_load_b64 s[2:3], s[0:1], 0x0
	s_bfe_u32 s4, ttmp6, 0x4000c
	s_and_b32 s5, ttmp6, 15
	s_add_co_i32 s4, s4, 1
	s_getreg_b32 s6, hwreg(HW_REG_IB_STS2, 6, 4)
	s_mul_i32 s4, ttmp9, s4
	v_lshrrev_b32_e32 v1, 6, v0
	s_add_co_i32 s5, s5, s4
	s_cmp_eq_u32 s6, 0
	s_cselect_b32 s4, ttmp9, s5
	s_delay_alu instid0(VALU_DEP_1) | instid1(SALU_CYCLE_1)
	v_lshl_or_b32 v6, s4, 1, v1
	s_wait_kmcnt 0x0
	s_delay_alu instid0(VALU_DEP_1)
	v_cmp_gt_i32_e32 vcc_lo, s2, v6
	s_and_b32 exec_lo, exec_lo, vcc_lo
	s_cbranch_execz .LBB78_19
; %bb.2:
	s_load_b256 s[4:11], s[0:1], 0x10
	v_ashrrev_i32_e32 v7, 31, v6
	s_cmp_lg_u32 s3, 0
	s_wait_kmcnt 0x0
	s_delay_alu instid0(VALU_DEP_1)
	v_lshl_add_u64 v[8:9], v[6:7], 2, s[4:5]
	v_and_b32_e32 v7, 63, v0
	global_load_b64 v[8:9], v[8:9], off
	s_wait_loadcnt 0x0
	v_subrev_nc_u32_e32 v0, s12, v8
	v_subrev_nc_u32_e32 v16, s12, v9
	s_delay_alu instid0(VALU_DEP_2) | instskip(NEXT) | instid1(VALU_DEP_1)
	v_add_nc_u32_e32 v17, v0, v7
	v_cmp_lt_i32_e64 s2, v17, v16
	s_cbranch_scc0 .LBB78_8
; %bb.3:
	v_mov_b32_e32 v9, 0
	s_delay_alu instid0(VALU_DEP_1)
	v_dual_mov_b32 v8, v9 :: v_dual_mov_b32 v1, v9
	v_dual_mov_b32 v0, v9 :: v_dual_mov_b32 v11, v9
	;; [unrolled: 1-line block ×3, first 2 shown]
	v_mov_b32_e32 v12, v9
	s_and_saveexec_b32 s3, s2
	s_cbranch_execz .LBB78_7
; %bb.4:
	v_dual_mov_b32 v15, 0 :: v_dual_lshlrev_b32 v14, 2, v17
	v_mov_b32_e32 v18, v17
	s_mov_b32 s4, 0
	s_delay_alu instid0(VALU_DEP_2)
	v_dual_mov_b32 v12, v15 :: v_dual_mov_b32 v13, v15
	v_dual_mov_b32 v10, v15 :: v_dual_mov_b32 v11, v15
	;; [unrolled: 1-line block ×4, first 2 shown]
.LBB78_5:                               ; =>This Inner Loop Header: Depth=1
	global_load_b32 v19, v18, s[6:7] scale_offset
	v_lshl_add_u64 v[28:29], v[14:15], 3, s[8:9]
	global_load_b128 v[20:23], v[28:29], off
	s_wait_xcnt 0x1
	v_add_nc_u32_e32 v18, 64, v18
	s_wait_loadcnt 0x1
	v_subrev_nc_u32_e32 v19, s12, v19
	global_load_b128 v[24:27], v[28:29], off offset:16
	global_load_b64 v[30:31], v19, s[10:11] scale_offset
	v_add_nc_u32_e32 v14, 0x100, v14
	s_wait_loadcnt 0x2
	s_wait_xcnt 0x1
	v_xor_b32_e32 v28, 0x80000000, v23
	v_mov_b32_e32 v29, v22
	v_cmp_ge_i32_e32 vcc_lo, v18, v16
	s_or_b32 s4, vcc_lo, s4
	s_wait_loadcnt 0x1
	v_xor_b32_e32 v32, 0x80000000, v27
	v_mov_b32_e32 v33, v26
	s_wait_loadcnt 0x0
	v_pk_fma_f32 v[8:9], v[20:21], v[30:31], v[8:9] op_sel_hi:[1,0,1]
	v_pk_fma_f32 v[12:13], v[22:23], v[30:31], v[12:13] op_sel_hi:[1,0,1]
	;; [unrolled: 1-line block ×4, first 2 shown]
	s_delay_alu instid0(VALU_DEP_4) | instskip(NEXT) | instid1(VALU_DEP_4)
	v_pk_fma_f32 v[8:9], v[20:21], v[30:31], v[8:9] op_sel:[1,1,0] op_sel_hi:[0,1,1] neg_lo:[1,0,0]
	v_pk_fma_f32 v[12:13], v[28:29], v[30:31], v[12:13] op_sel:[0,1,0]
	s_delay_alu instid0(VALU_DEP_4) | instskip(NEXT) | instid1(VALU_DEP_4)
	v_pk_fma_f32 v[10:11], v[24:25], v[30:31], v[10:11] op_sel:[1,1,0] op_sel_hi:[0,1,1] neg_lo:[1,0,0]
	v_pk_fma_f32 v[0:1], v[32:33], v[30:31], v[0:1] op_sel:[0,1,0]
	s_and_not1_b32 exec_lo, exec_lo, s4
	s_cbranch_execnz .LBB78_5
; %bb.6:
	s_or_b32 exec_lo, exec_lo, s4
.LBB78_7:
	s_delay_alu instid0(SALU_CYCLE_1)
	s_or_b32 exec_lo, exec_lo, s3
	s_cbranch_execz .LBB78_9
	s_branch .LBB78_14
.LBB78_8:
                                        ; implicit-def: $vgpr9
                                        ; implicit-def: $vgpr1
                                        ; implicit-def: $vgpr11
                                        ; implicit-def: $vgpr13
.LBB78_9:
	v_mov_b32_e32 v9, 0
	s_delay_alu instid0(VALU_DEP_1)
	v_dual_mov_b32 v8, v9 :: v_dual_mov_b32 v1, v9
	v_dual_mov_b32 v0, v9 :: v_dual_mov_b32 v11, v9
	;; [unrolled: 1-line block ×3, first 2 shown]
	v_mov_b32_e32 v12, v9
	s_and_saveexec_b32 s3, s2
	s_cbranch_execz .LBB78_13
; %bb.10:
	v_dual_mov_b32 v15, 0 :: v_dual_lshlrev_b32 v14, 2, v17
	s_mov_b32 s2, 0
	s_delay_alu instid0(VALU_DEP_1)
	v_dual_mov_b32 v12, v15 :: v_dual_mov_b32 v13, v15
	v_dual_mov_b32 v10, v15 :: v_dual_mov_b32 v11, v15
	;; [unrolled: 1-line block ×4, first 2 shown]
.LBB78_11:                              ; =>This Inner Loop Header: Depth=1
	global_load_b32 v22, v17, s[6:7] scale_offset
	v_lshl_add_u64 v[26:27], v[14:15], 3, s[8:9]
	global_load_b128 v[18:21], v[26:27], off
	s_wait_xcnt 0x1
	v_add_nc_u32_e32 v17, 64, v17
	s_wait_loadcnt 0x1
	v_subrev_nc_u32_e32 v30, s12, v22
	global_load_b128 v[22:25], v[26:27], off offset:16
	global_load_b64 v[28:29], v30, s[10:11] scale_offset
	v_add_nc_u32_e32 v14, 0x100, v14
	s_wait_loadcnt 0x2
	s_wait_xcnt 0x1
	v_xor_b32_e32 v26, 0x80000000, v21
	v_mov_b32_e32 v27, v20
	v_cmp_ge_i32_e32 vcc_lo, v17, v16
	s_or_b32 s2, vcc_lo, s2
	s_wait_loadcnt 0x1
	s_wait_xcnt 0x0
	v_xor_b32_e32 v30, 0x80000000, v25
	v_mov_b32_e32 v31, v24
	s_wait_loadcnt 0x0
	v_pk_fma_f32 v[8:9], v[18:19], v[28:29], v[8:9] op_sel_hi:[1,0,1]
	v_pk_fma_f32 v[12:13], v[20:21], v[28:29], v[12:13] op_sel_hi:[1,0,1]
	;; [unrolled: 1-line block ×4, first 2 shown]
	s_delay_alu instid0(VALU_DEP_4) | instskip(NEXT) | instid1(VALU_DEP_4)
	v_pk_fma_f32 v[8:9], v[18:19], v[28:29], v[8:9] op_sel:[1,1,0] op_sel_hi:[0,1,1] neg_lo:[1,0,0]
	v_pk_fma_f32 v[12:13], v[26:27], v[28:29], v[12:13] op_sel:[0,1,0]
	s_delay_alu instid0(VALU_DEP_4) | instskip(NEXT) | instid1(VALU_DEP_4)
	v_pk_fma_f32 v[10:11], v[22:23], v[28:29], v[10:11] op_sel:[1,1,0] op_sel_hi:[0,1,1] neg_lo:[1,0,0]
	v_pk_fma_f32 v[0:1], v[30:31], v[28:29], v[0:1] op_sel:[0,1,0]
	s_and_not1_b32 exec_lo, exec_lo, s2
	s_cbranch_execnz .LBB78_11
; %bb.12:
	s_or_b32 exec_lo, exec_lo, s2
.LBB78_13:
	s_delay_alu instid0(SALU_CYCLE_1)
	s_or_b32 exec_lo, exec_lo, s3
.LBB78_14:
	v_mbcnt_lo_u32_b32 v14, -1, 0
	s_delay_alu instid0(VALU_DEP_1) | instskip(SKIP_1) | instid1(VALU_DEP_1)
	v_xor_b32_e32 v23, 16, v14
	v_or_b32_e32 v15, 32, v14
	v_cmp_gt_i32_e32 vcc_lo, 32, v15
	v_cndmask_b32_e32 v15, v14, v15, vcc_lo
	s_delay_alu instid0(VALU_DEP_1)
	v_lshlrev_b32_e32 v15, 2, v15
	ds_bpermute_b32 v17, v15, v9
	s_wait_dscnt 0x0
	v_add_f32_e32 v9, v9, v17
	ds_bpermute_b32 v19, v15, v13
	ds_bpermute_b32 v16, v15, v8
	;; [unrolled: 1-line block ×7, first 2 shown]
	s_wait_dscnt 0x6
	v_add_f32_e32 v13, v13, v19
	v_cmp_gt_i32_e32 vcc_lo, 32, v23
	s_wait_dscnt 0x5
	v_add_f32_e32 v8, v8, v16
	s_wait_dscnt 0x2
	v_dual_add_f32 v10, v10, v20 :: v_dual_add_f32 v11, v11, v21
	s_wait_dscnt 0x0
	v_dual_add_f32 v0, v0, v22 :: v_dual_add_f32 v1, v1, v15
	v_dual_cndmask_b32 v23, v14, v23 :: v_dual_add_f32 v12, v12, v18
	s_delay_alu instid0(VALU_DEP_1)
	v_lshlrev_b32_e32 v23, 2, v23
	ds_bpermute_b32 v15, v23, v8
	ds_bpermute_b32 v16, v23, v9
	;; [unrolled: 1-line block ×8, first 2 shown]
	s_wait_dscnt 0x7
	v_dual_add_f32 v8, v8, v15 :: v_dual_bitop2_b32 v23, 8, v14 bitop3:0x14
	s_delay_alu instid0(VALU_DEP_1)
	v_cmp_gt_i32_e32 vcc_lo, 32, v23
	s_wait_dscnt 0x6
	v_add_f32_e32 v9, v9, v16
	s_wait_dscnt 0x3
	v_dual_add_f32 v13, v13, v18 :: v_dual_add_f32 v10, v10, v19
	s_wait_dscnt 0x1
	v_dual_add_f32 v11, v11, v20 :: v_dual_add_f32 v0, v0, v21
	v_dual_cndmask_b32 v23, v14, v23 :: v_dual_add_f32 v12, v12, v17
	s_wait_dscnt 0x0
	s_delay_alu instid0(VALU_DEP_1)
	v_dual_add_f32 v1, v1, v22 :: v_dual_lshlrev_b32 v23, 2, v23
	ds_bpermute_b32 v15, v23, v8
	ds_bpermute_b32 v16, v23, v9
	;; [unrolled: 1-line block ×8, first 2 shown]
	s_wait_dscnt 0x7
	v_dual_add_f32 v8, v8, v15 :: v_dual_bitop2_b32 v23, 4, v14 bitop3:0x14
	s_delay_alu instid0(VALU_DEP_1)
	v_cmp_gt_i32_e32 vcc_lo, 32, v23
	s_wait_dscnt 0x4
	v_dual_add_f32 v12, v12, v17 :: v_dual_add_f32 v13, v13, v18
	s_wait_dscnt 0x3
	v_dual_add_f32 v9, v9, v16 :: v_dual_add_f32 v10, v10, v19
	s_wait_dscnt 0x2
	v_dual_add_f32 v11, v11, v20 :: v_dual_cndmask_b32 v23, v14, v23, vcc_lo
	s_wait_dscnt 0x0
	v_dual_add_f32 v0, v0, v21 :: v_dual_add_f32 v1, v1, v22
	s_delay_alu instid0(VALU_DEP_2)
	v_lshlrev_b32_e32 v23, 2, v23
	ds_bpermute_b32 v15, v23, v8
	ds_bpermute_b32 v16, v23, v9
	;; [unrolled: 1-line block ×8, first 2 shown]
	s_wait_dscnt 0x7
	v_dual_add_f32 v8, v8, v15 :: v_dual_bitop2_b32 v23, 2, v14 bitop3:0x14
	s_delay_alu instid0(VALU_DEP_1)
	v_cmp_gt_i32_e32 vcc_lo, 32, v23
	s_wait_dscnt 0x5
	v_dual_add_f32 v9, v9, v16 :: v_dual_add_f32 v12, v12, v17
	s_wait_dscnt 0x3
	v_dual_add_f32 v13, v13, v18 :: v_dual_add_f32 v15, v10, v19
	s_wait_dscnt 0x2
	v_dual_cndmask_b32 v23, v14, v23 :: v_dual_add_f32 v16, v11, v20
	s_wait_dscnt 0x0
	v_dual_add_f32 v17, v0, v21 :: v_dual_add_f32 v18, v1, v22
	s_delay_alu instid0(VALU_DEP_2)
	v_lshlrev_b32_e32 v23, 2, v23
	ds_bpermute_b32 v0, v23, v8
	ds_bpermute_b32 v1, v23, v9
	;; [unrolled: 1-line block ×8, first 2 shown]
	s_wait_dscnt 0x7
	v_dual_add_f32 v0, v8, v0 :: v_dual_bitop2_b32 v23, 1, v14 bitop3:0x14
	s_delay_alu instid0(VALU_DEP_1)
	v_cmp_gt_i32_e32 vcc_lo, 32, v23
	s_wait_dscnt 0x5
	v_dual_add_f32 v8, v9, v1 :: v_dual_add_f32 v10, v12, v10
	s_wait_dscnt 0x4
	v_add_f32_e32 v11, v13, v11
	s_wait_dscnt 0x2
	v_dual_add_f32 v12, v15, v19 :: v_dual_add_f32 v13, v16, v20
	s_wait_dscnt 0x1
	v_dual_cndmask_b32 v14, v14, v23 :: v_dual_add_f32 v1, v17, v21
	s_wait_dscnt 0x0
	v_add_f32_e32 v9, v18, v22
	v_cmp_eq_u32_e32 vcc_lo, 63, v7
	s_delay_alu instid0(VALU_DEP_3)
	v_lshlrev_b32_e32 v23, 2, v14
	ds_bpermute_b32 v16, v23, v0
	ds_bpermute_b32 v17, v23, v8
	;; [unrolled: 1-line block ×8, first 2 shown]
	s_and_b32 exec_lo, exec_lo, vcc_lo
	s_cbranch_execz .LBB78_19
; %bb.15:
	s_load_b64 s[2:3], s[0:1], 0x38
	v_cmp_eq_f32_e32 vcc_lo, 0, v4
	s_wait_xcnt 0x0
	v_cmp_eq_f32_e64 s0, 0, v5
	s_wait_dscnt 0x7
	v_add_f32_e32 v0, v0, v16
	s_wait_dscnt 0x5
	v_dual_add_f32 v20, v8, v17 :: v_dual_add_f32 v8, v10, v18
	s_wait_dscnt 0x3
	v_dual_add_f32 v18, v11, v19 :: v_dual_add_f32 v10, v12, v21
	s_wait_dscnt 0x2
	v_add_f32_e32 v16, v13, v22
	s_wait_dscnt 0x1
	v_add_f32_e32 v12, v1, v14
	;; [unrolled: 2-line block ×3, first 2 shown]
	s_and_b32 s0, vcc_lo, s0
	s_delay_alu instid0(SALU_CYCLE_1) | instskip(NEXT) | instid1(SALU_CYCLE_1)
	s_and_saveexec_b32 s1, s0
	s_xor_b32 s0, exec_lo, s1
	s_cbranch_execz .LBB78_17
; %bb.16:
	v_xor_b32_e32 v4, 0x80000000, v3
	v_dual_mov_b32 v5, v2 :: v_dual_lshlrev_b32 v6, 2, v6
	s_delay_alu instid0(VALU_DEP_1) | instskip(NEXT) | instid1(VALU_DEP_2)
	v_ashrrev_i32_e32 v7, 31, v6
	v_pk_mul_f32 v[20:21], v[20:21], v[4:5] op_sel_hi:[0,1]
	v_pk_mul_f32 v[18:19], v[18:19], v[4:5] op_sel_hi:[0,1]
	;; [unrolled: 1-line block ×4, first 2 shown]
	s_wait_kmcnt 0x0
	v_lshl_add_u64 v[22:23], v[6:7], 3, s[2:3]
	v_pk_fma_f32 v[4:5], v[2:3], v[0:1], v[20:21] op_sel_hi:[1,0,1]
	v_pk_fma_f32 v[6:7], v[2:3], v[8:9], v[18:19] op_sel_hi:[1,0,1]
	;; [unrolled: 1-line block ×4, first 2 shown]
	s_clause 0x1
	global_store_b128 v[22:23], v[4:7], off
	global_store_b128 v[22:23], v[0:3], off offset:16
                                        ; implicit-def: $vgpr6
                                        ; implicit-def: $vgpr0
                                        ; implicit-def: $vgpr20
                                        ; implicit-def: $vgpr8
                                        ; implicit-def: $vgpr18
                                        ; implicit-def: $vgpr10
                                        ; implicit-def: $vgpr16
                                        ; implicit-def: $vgpr12
                                        ; implicit-def: $vgpr14
                                        ; implicit-def: $vgpr2_vgpr3
                                        ; implicit-def: $vgpr4_vgpr5
.LBB78_17:
	s_wait_xcnt 0x0
	s_and_not1_saveexec_b32 s0, s0
	s_cbranch_execz .LBB78_19
; %bb.18:
	v_lshlrev_b32_e32 v6, 2, v6
	v_xor_b32_e32 v32, 0x80000000, v5
	s_delay_alu instid0(VALU_DEP_2) | instskip(SKIP_1) | instid1(VALU_DEP_1)
	v_dual_mov_b32 v33, v4 :: v_dual_ashrrev_i32 v7, 31, v6
	s_wait_kmcnt 0x0
	v_lshl_add_u64 v[30:31], v[6:7], 3, s[2:3]
	v_xor_b32_e32 v6, 0x80000000, v3
	v_mov_b32_e32 v7, v2
	s_clause 0x1
	global_load_b128 v[22:25], v[30:31], off
	global_load_b128 v[26:29], v[30:31], off offset:16
	v_pk_mul_f32 v[20:21], v[20:21], v[6:7] op_sel_hi:[0,1]
	v_pk_mul_f32 v[18:19], v[18:19], v[6:7] op_sel_hi:[0,1]
	;; [unrolled: 1-line block ×4, first 2 shown]
	s_delay_alu instid0(VALU_DEP_4) | instskip(NEXT) | instid1(VALU_DEP_4)
	v_pk_fma_f32 v[0:1], v[2:3], v[0:1], v[20:21] op_sel_hi:[1,0,1]
	v_pk_fma_f32 v[8:9], v[2:3], v[8:9], v[18:19] op_sel_hi:[1,0,1]
	s_delay_alu instid0(VALU_DEP_4) | instskip(NEXT) | instid1(VALU_DEP_4)
	v_pk_fma_f32 v[10:11], v[2:3], v[10:11], v[16:17] op_sel_hi:[1,0,1]
	v_pk_fma_f32 v[2:3], v[2:3], v[12:13], v[6:7] op_sel_hi:[1,0,1]
	s_wait_loadcnt 0x1
	v_pk_fma_f32 v[0:1], v[4:5], v[22:23], v[0:1] op_sel_hi:[1,0,1]
	v_pk_fma_f32 v[6:7], v[4:5], v[24:25], v[8:9] op_sel_hi:[1,0,1]
	s_wait_loadcnt 0x0
	v_dual_mov_b32 v8, v25 :: v_dual_mov_b32 v14, v29
	v_pk_fma_f32 v[10:11], v[4:5], v[26:27], v[10:11] op_sel_hi:[1,0,1]
	v_pk_fma_f32 v[12:13], v[4:5], v[28:29], v[2:3] op_sel_hi:[1,0,1]
	v_pk_fma_f32 v[0:1], v[32:33], v[22:23], v[0:1] op_sel:[0,1,0]
	s_delay_alu instid0(VALU_DEP_4) | instskip(NEXT) | instid1(VALU_DEP_4)
	v_pk_fma_f32 v[2:3], v[32:33], v[8:9], v[6:7] op_sel_hi:[1,0,1]
	v_pk_fma_f32 v[4:5], v[32:33], v[26:27], v[10:11] op_sel:[0,1,0]
	s_delay_alu instid0(VALU_DEP_4)
	v_pk_fma_f32 v[6:7], v[32:33], v[14:15], v[12:13] op_sel_hi:[1,0,1]
	s_clause 0x1
	global_store_b128 v[30:31], v[0:3], off
	global_store_b128 v[30:31], v[4:7], off offset:16
.LBB78_19:
	s_endpgm
	.section	.rodata,"a",@progbits
	.p2align	6, 0x0
	.amdhsa_kernel _ZN9rocsparseL19gebsrmvn_4xn_kernelILj128ELj1ELj64E21rocsparse_complex_numIfEEEvi20rocsparse_direction_NS_24const_host_device_scalarIT2_EEPKiS8_PKS5_SA_S6_PS5_21rocsparse_index_base_b
		.amdhsa_group_segment_fixed_size 0
		.amdhsa_private_segment_fixed_size 0
		.amdhsa_kernarg_size 72
		.amdhsa_user_sgpr_count 2
		.amdhsa_user_sgpr_dispatch_ptr 0
		.amdhsa_user_sgpr_queue_ptr 0
		.amdhsa_user_sgpr_kernarg_segment_ptr 1
		.amdhsa_user_sgpr_dispatch_id 0
		.amdhsa_user_sgpr_kernarg_preload_length 0
		.amdhsa_user_sgpr_kernarg_preload_offset 0
		.amdhsa_user_sgpr_private_segment_size 0
		.amdhsa_wavefront_size32 1
		.amdhsa_uses_dynamic_stack 0
		.amdhsa_enable_private_segment 0
		.amdhsa_system_sgpr_workgroup_id_x 1
		.amdhsa_system_sgpr_workgroup_id_y 0
		.amdhsa_system_sgpr_workgroup_id_z 0
		.amdhsa_system_sgpr_workgroup_info 0
		.amdhsa_system_vgpr_workitem_id 0
		.amdhsa_next_free_vgpr 34
		.amdhsa_next_free_sgpr 14
		.amdhsa_named_barrier_count 0
		.amdhsa_reserve_vcc 1
		.amdhsa_float_round_mode_32 0
		.amdhsa_float_round_mode_16_64 0
		.amdhsa_float_denorm_mode_32 3
		.amdhsa_float_denorm_mode_16_64 3
		.amdhsa_fp16_overflow 0
		.amdhsa_memory_ordered 1
		.amdhsa_forward_progress 1
		.amdhsa_inst_pref_size 19
		.amdhsa_round_robin_scheduling 0
		.amdhsa_exception_fp_ieee_invalid_op 0
		.amdhsa_exception_fp_denorm_src 0
		.amdhsa_exception_fp_ieee_div_zero 0
		.amdhsa_exception_fp_ieee_overflow 0
		.amdhsa_exception_fp_ieee_underflow 0
		.amdhsa_exception_fp_ieee_inexact 0
		.amdhsa_exception_int_div_zero 0
	.end_amdhsa_kernel
	.section	.text._ZN9rocsparseL19gebsrmvn_4xn_kernelILj128ELj1ELj64E21rocsparse_complex_numIfEEEvi20rocsparse_direction_NS_24const_host_device_scalarIT2_EEPKiS8_PKS5_SA_S6_PS5_21rocsparse_index_base_b,"axG",@progbits,_ZN9rocsparseL19gebsrmvn_4xn_kernelILj128ELj1ELj64E21rocsparse_complex_numIfEEEvi20rocsparse_direction_NS_24const_host_device_scalarIT2_EEPKiS8_PKS5_SA_S6_PS5_21rocsparse_index_base_b,comdat
.Lfunc_end78:
	.size	_ZN9rocsparseL19gebsrmvn_4xn_kernelILj128ELj1ELj64E21rocsparse_complex_numIfEEEvi20rocsparse_direction_NS_24const_host_device_scalarIT2_EEPKiS8_PKS5_SA_S6_PS5_21rocsparse_index_base_b, .Lfunc_end78-_ZN9rocsparseL19gebsrmvn_4xn_kernelILj128ELj1ELj64E21rocsparse_complex_numIfEEEvi20rocsparse_direction_NS_24const_host_device_scalarIT2_EEPKiS8_PKS5_SA_S6_PS5_21rocsparse_index_base_b
                                        ; -- End function
	.set _ZN9rocsparseL19gebsrmvn_4xn_kernelILj128ELj1ELj64E21rocsparse_complex_numIfEEEvi20rocsparse_direction_NS_24const_host_device_scalarIT2_EEPKiS8_PKS5_SA_S6_PS5_21rocsparse_index_base_b.num_vgpr, 34
	.set _ZN9rocsparseL19gebsrmvn_4xn_kernelILj128ELj1ELj64E21rocsparse_complex_numIfEEEvi20rocsparse_direction_NS_24const_host_device_scalarIT2_EEPKiS8_PKS5_SA_S6_PS5_21rocsparse_index_base_b.num_agpr, 0
	.set _ZN9rocsparseL19gebsrmvn_4xn_kernelILj128ELj1ELj64E21rocsparse_complex_numIfEEEvi20rocsparse_direction_NS_24const_host_device_scalarIT2_EEPKiS8_PKS5_SA_S6_PS5_21rocsparse_index_base_b.numbered_sgpr, 14
	.set _ZN9rocsparseL19gebsrmvn_4xn_kernelILj128ELj1ELj64E21rocsparse_complex_numIfEEEvi20rocsparse_direction_NS_24const_host_device_scalarIT2_EEPKiS8_PKS5_SA_S6_PS5_21rocsparse_index_base_b.num_named_barrier, 0
	.set _ZN9rocsparseL19gebsrmvn_4xn_kernelILj128ELj1ELj64E21rocsparse_complex_numIfEEEvi20rocsparse_direction_NS_24const_host_device_scalarIT2_EEPKiS8_PKS5_SA_S6_PS5_21rocsparse_index_base_b.private_seg_size, 0
	.set _ZN9rocsparseL19gebsrmvn_4xn_kernelILj128ELj1ELj64E21rocsparse_complex_numIfEEEvi20rocsparse_direction_NS_24const_host_device_scalarIT2_EEPKiS8_PKS5_SA_S6_PS5_21rocsparse_index_base_b.uses_vcc, 1
	.set _ZN9rocsparseL19gebsrmvn_4xn_kernelILj128ELj1ELj64E21rocsparse_complex_numIfEEEvi20rocsparse_direction_NS_24const_host_device_scalarIT2_EEPKiS8_PKS5_SA_S6_PS5_21rocsparse_index_base_b.uses_flat_scratch, 1
	.set _ZN9rocsparseL19gebsrmvn_4xn_kernelILj128ELj1ELj64E21rocsparse_complex_numIfEEEvi20rocsparse_direction_NS_24const_host_device_scalarIT2_EEPKiS8_PKS5_SA_S6_PS5_21rocsparse_index_base_b.has_dyn_sized_stack, 0
	.set _ZN9rocsparseL19gebsrmvn_4xn_kernelILj128ELj1ELj64E21rocsparse_complex_numIfEEEvi20rocsparse_direction_NS_24const_host_device_scalarIT2_EEPKiS8_PKS5_SA_S6_PS5_21rocsparse_index_base_b.has_recursion, 0
	.set _ZN9rocsparseL19gebsrmvn_4xn_kernelILj128ELj1ELj64E21rocsparse_complex_numIfEEEvi20rocsparse_direction_NS_24const_host_device_scalarIT2_EEPKiS8_PKS5_SA_S6_PS5_21rocsparse_index_base_b.has_indirect_call, 0
	.section	.AMDGPU.csdata,"",@progbits
; Kernel info:
; codeLenInByte = 2324
; TotalNumSgprs: 16
; NumVgprs: 34
; ScratchSize: 0
; MemoryBound: 0
; FloatMode: 240
; IeeeMode: 1
; LDSByteSize: 0 bytes/workgroup (compile time only)
; SGPRBlocks: 0
; VGPRBlocks: 2
; NumSGPRsForWavesPerEU: 16
; NumVGPRsForWavesPerEU: 34
; NamedBarCnt: 0
; Occupancy: 16
; WaveLimiterHint : 1
; COMPUTE_PGM_RSRC2:SCRATCH_EN: 0
; COMPUTE_PGM_RSRC2:USER_SGPR: 2
; COMPUTE_PGM_RSRC2:TRAP_HANDLER: 0
; COMPUTE_PGM_RSRC2:TGID_X_EN: 1
; COMPUTE_PGM_RSRC2:TGID_Y_EN: 0
; COMPUTE_PGM_RSRC2:TGID_Z_EN: 0
; COMPUTE_PGM_RSRC2:TIDIG_COMP_CNT: 0
	.section	.text._ZN9rocsparseL19gebsrmvn_4xn_kernelILj128ELj2ELj4E21rocsparse_complex_numIfEEEvi20rocsparse_direction_NS_24const_host_device_scalarIT2_EEPKiS8_PKS5_SA_S6_PS5_21rocsparse_index_base_b,"axG",@progbits,_ZN9rocsparseL19gebsrmvn_4xn_kernelILj128ELj2ELj4E21rocsparse_complex_numIfEEEvi20rocsparse_direction_NS_24const_host_device_scalarIT2_EEPKiS8_PKS5_SA_S6_PS5_21rocsparse_index_base_b,comdat
	.globl	_ZN9rocsparseL19gebsrmvn_4xn_kernelILj128ELj2ELj4E21rocsparse_complex_numIfEEEvi20rocsparse_direction_NS_24const_host_device_scalarIT2_EEPKiS8_PKS5_SA_S6_PS5_21rocsparse_index_base_b ; -- Begin function _ZN9rocsparseL19gebsrmvn_4xn_kernelILj128ELj2ELj4E21rocsparse_complex_numIfEEEvi20rocsparse_direction_NS_24const_host_device_scalarIT2_EEPKiS8_PKS5_SA_S6_PS5_21rocsparse_index_base_b
	.p2align	8
	.type	_ZN9rocsparseL19gebsrmvn_4xn_kernelILj128ELj2ELj4E21rocsparse_complex_numIfEEEvi20rocsparse_direction_NS_24const_host_device_scalarIT2_EEPKiS8_PKS5_SA_S6_PS5_21rocsparse_index_base_b,@function
_ZN9rocsparseL19gebsrmvn_4xn_kernelILj128ELj2ELj4E21rocsparse_complex_numIfEEEvi20rocsparse_direction_NS_24const_host_device_scalarIT2_EEPKiS8_PKS5_SA_S6_PS5_21rocsparse_index_base_b: ; @_ZN9rocsparseL19gebsrmvn_4xn_kernelILj128ELj2ELj4E21rocsparse_complex_numIfEEEvi20rocsparse_direction_NS_24const_host_device_scalarIT2_EEPKiS8_PKS5_SA_S6_PS5_21rocsparse_index_base_b
; %bb.0:
	s_clause 0x2
	s_load_b64 s[12:13], s[0:1], 0x40
	s_load_b64 s[2:3], s[0:1], 0x8
	;; [unrolled: 1-line block ×3, first 2 shown]
	v_mov_b32_e32 v1, 0
	s_add_nc_u64 s[6:7], s[0:1], 8
	s_add_nc_u64 s[8:9], s[0:1], 48
	s_wait_kmcnt 0x0
	s_bitcmp1_b32 s13, 0
	s_cselect_b32 s3, s7, s3
	s_cselect_b32 s2, s6, s2
	;; [unrolled: 1-line block ×4, first 2 shown]
	s_clause 0x1
	flat_load_b64 v[2:3], v1, s[2:3]
	flat_load_b64 v[4:5], v1, s[4:5]
	s_wait_loadcnt_dscnt 0x101
	v_cmp_eq_f32_e32 vcc_lo, 0, v2
	v_cmp_eq_f32_e64 s2, 0, v3
	s_wait_loadcnt_dscnt 0x0
	v_cmp_eq_f32_e64 s3, 1.0, v4
	v_cmp_eq_f32_e64 s4, 0, v5
	s_and_b32 s2, vcc_lo, s2
	s_and_b32 s3, s3, s4
	s_delay_alu instid0(SALU_CYCLE_1) | instskip(NEXT) | instid1(SALU_CYCLE_1)
	s_and_b32 s2, s2, s3
	s_xor_b32 s2, s2, -1
	s_delay_alu instid0(SALU_CYCLE_1)
	s_and_saveexec_b32 s3, s2
	s_cbranch_execz .LBB79_19
; %bb.1:
	s_load_b64 s[2:3], s[0:1], 0x0
	s_bfe_u32 s4, ttmp6, 0x4000c
	s_and_b32 s5, ttmp6, 15
	s_add_co_i32 s4, s4, 1
	s_getreg_b32 s6, hwreg(HW_REG_IB_STS2, 6, 4)
	s_mul_i32 s4, ttmp9, s4
	v_lshrrev_b32_e32 v1, 2, v0
	s_add_co_i32 s5, s5, s4
	s_cmp_eq_u32 s6, 0
	s_cselect_b32 s4, ttmp9, s5
	s_delay_alu instid0(VALU_DEP_1) | instid1(SALU_CYCLE_1)
	v_lshl_or_b32 v6, s4, 5, v1
	s_wait_kmcnt 0x0
	s_delay_alu instid0(VALU_DEP_1)
	v_cmp_gt_i32_e32 vcc_lo, s2, v6
	s_and_b32 exec_lo, exec_lo, vcc_lo
	s_cbranch_execz .LBB79_19
; %bb.2:
	s_load_b256 s[4:11], s[0:1], 0x10
	v_ashrrev_i32_e32 v7, 31, v6
	s_cmp_lg_u32 s3, 0
	s_wait_kmcnt 0x0
	s_delay_alu instid0(VALU_DEP_1)
	v_lshl_add_u64 v[8:9], v[6:7], 2, s[4:5]
	v_and_b32_e32 v7, 3, v0
	global_load_b64 v[8:9], v[8:9], off
	s_wait_loadcnt 0x0
	v_subrev_nc_u32_e32 v0, s12, v8
	v_subrev_nc_u32_e32 v16, s12, v9
	s_delay_alu instid0(VALU_DEP_2) | instskip(NEXT) | instid1(VALU_DEP_1)
	v_add_nc_u32_e32 v17, v0, v7
	v_cmp_lt_i32_e64 s2, v17, v16
	s_cbranch_scc0 .LBB79_8
; %bb.3:
	v_mov_b32_e32 v9, 0
	s_delay_alu instid0(VALU_DEP_1)
	v_dual_mov_b32 v8, v9 :: v_dual_mov_b32 v1, v9
	v_dual_mov_b32 v0, v9 :: v_dual_mov_b32 v11, v9
	;; [unrolled: 1-line block ×3, first 2 shown]
	v_mov_b32_e32 v12, v9
	s_and_saveexec_b32 s3, s2
	s_cbranch_execz .LBB79_7
; %bb.4:
	v_dual_mov_b32 v15, 0 :: v_dual_lshlrev_b32 v14, 3, v17
	v_mov_b32_e32 v18, v17
	s_mov_b32 s4, 0
	s_delay_alu instid0(VALU_DEP_2)
	v_dual_mov_b32 v12, v15 :: v_dual_mov_b32 v13, v15
	v_dual_mov_b32 v10, v15 :: v_dual_mov_b32 v11, v15
	v_dual_mov_b32 v0, v15 :: v_dual_mov_b32 v1, v15
	v_dual_mov_b32 v8, v15 :: v_dual_mov_b32 v9, v15
.LBB79_5:                               ; =>This Inner Loop Header: Depth=1
	global_load_b32 v19, v18, s[6:7] scale_offset
	v_lshl_add_u64 v[40:41], v[14:15], 3, s[8:9]
	s_clause 0x2
	global_load_b128 v[20:23], v[40:41], off offset:32
	global_load_b128 v[24:27], v[40:41], off offset:16
	global_load_b128 v[28:31], v[40:41], off
	s_wait_xcnt 0x3
	v_add_nc_u32_e32 v18, 4, v18
	v_add_nc_u32_e32 v14, 32, v14
	s_wait_loadcnt 0x3
	v_subrev_nc_u32_e32 v19, s12, v19
	s_delay_alu instid0(VALU_DEP_1) | instskip(SKIP_2) | instid1(VALU_DEP_2)
	v_dual_mov_b32 v33, v15 :: v_dual_lshlrev_b32 v32, 1, v19
	s_wait_loadcnt 0x1
	v_xor_b32_e32 v44, 0x80000000, v27
	v_lshl_add_u64 v[42:43], v[32:33], 3, s[10:11]
	global_load_b128 v[32:35], v[42:43], off
	global_load_b128 v[36:39], v[40:41], off offset:48
	s_wait_loadcnt 0x2
	s_wait_xcnt 0x0
	v_xor_b32_e32 v40, 0x80000000, v31
	v_dual_mov_b32 v41, v30 :: v_dual_mov_b32 v45, v26
	v_xor_b32_e32 v42, 0x80000000, v23
	v_mov_b32_e32 v43, v22
	v_cmp_ge_i32_e32 vcc_lo, v18, v16
	s_or_b32 s4, vcc_lo, s4
	s_wait_loadcnt 0x1
	v_pk_fma_f32 v[8:9], v[28:29], v[32:33], v[8:9] op_sel_hi:[1,0,1]
	v_pk_fma_f32 v[12:13], v[30:31], v[32:33], v[12:13] op_sel_hi:[1,0,1]
	;; [unrolled: 1-line block ×4, first 2 shown]
	s_wait_loadcnt 0x0
	v_mov_b32_e32 v47, v38
	v_pk_fma_f32 v[8:9], v[28:29], v[32:33], v[8:9] op_sel:[1,1,0] op_sel_hi:[0,1,1] neg_lo:[1,0,0]
	v_pk_fma_f32 v[12:13], v[40:41], v[32:33], v[12:13] op_sel:[0,1,0]
	v_pk_fma_f32 v[10:11], v[24:25], v[32:33], v[10:11] op_sel:[1,1,0] op_sel_hi:[0,1,1] neg_lo:[1,0,0]
	v_pk_fma_f32 v[0:1], v[44:45], v[32:33], v[0:1] op_sel:[0,1,0]
	v_xor_b32_e32 v46, 0x80000000, v39
	v_mov_b32_e32 v24, v35
	v_pk_fma_f32 v[8:9], v[20:21], v[34:35], v[8:9] op_sel_hi:[1,0,1]
	v_pk_fma_f32 v[12:13], v[22:23], v[34:35], v[12:13] op_sel_hi:[1,0,1]
	;; [unrolled: 1-line block ×4, first 2 shown]
	s_delay_alu instid0(VALU_DEP_4) | instskip(NEXT) | instid1(VALU_DEP_4)
	v_pk_fma_f32 v[8:9], v[20:21], v[24:25], v[8:9] op_sel:[1,0,0] op_sel_hi:[0,0,1] neg_lo:[1,0,0]
	v_pk_fma_f32 v[12:13], v[42:43], v[24:25], v[12:13] op_sel_hi:[1,0,1]
	s_delay_alu instid0(VALU_DEP_4) | instskip(NEXT) | instid1(VALU_DEP_4)
	v_pk_fma_f32 v[10:11], v[36:37], v[24:25], v[10:11] op_sel:[1,0,0] op_sel_hi:[0,0,1] neg_lo:[1,0,0]
	v_pk_fma_f32 v[0:1], v[46:47], v[24:25], v[0:1] op_sel_hi:[1,0,1]
	s_and_not1_b32 exec_lo, exec_lo, s4
	s_cbranch_execnz .LBB79_5
; %bb.6:
	s_or_b32 exec_lo, exec_lo, s4
.LBB79_7:
	s_delay_alu instid0(SALU_CYCLE_1)
	s_or_b32 exec_lo, exec_lo, s3
	s_cbranch_execz .LBB79_9
	s_branch .LBB79_14
.LBB79_8:
                                        ; implicit-def: $vgpr9
                                        ; implicit-def: $vgpr1
                                        ; implicit-def: $vgpr11
                                        ; implicit-def: $vgpr13
.LBB79_9:
	v_mov_b32_e32 v9, 0
	s_delay_alu instid0(VALU_DEP_1)
	v_dual_mov_b32 v8, v9 :: v_dual_mov_b32 v1, v9
	v_dual_mov_b32 v0, v9 :: v_dual_mov_b32 v11, v9
	;; [unrolled: 1-line block ×3, first 2 shown]
	v_mov_b32_e32 v12, v9
	s_and_saveexec_b32 s3, s2
	s_cbranch_execz .LBB79_13
; %bb.10:
	v_dual_mov_b32 v15, 0 :: v_dual_lshlrev_b32 v14, 3, v17
	s_mov_b32 s2, 0
	s_delay_alu instid0(VALU_DEP_1)
	v_dual_mov_b32 v12, v15 :: v_dual_mov_b32 v13, v15
	v_dual_mov_b32 v10, v15 :: v_dual_mov_b32 v11, v15
	;; [unrolled: 1-line block ×4, first 2 shown]
.LBB79_11:                              ; =>This Inner Loop Header: Depth=1
	global_load_b32 v22, v17, s[6:7] scale_offset
	v_lshl_add_u64 v[38:39], v[14:15], 3, s[8:9]
	s_wait_xcnt 0x0
	v_dual_add_nc_u32 v17, 4, v17 :: v_dual_add_nc_u32 v14, 32, v14
	global_load_b128 v[18:21], v[38:39], off offset:16
	v_cmp_ge_i32_e32 vcc_lo, v17, v16
	s_or_b32 s2, vcc_lo, s2
	s_wait_loadcnt 0x1
	v_subrev_nc_u32_e32 v26, s12, v22
	v_mov_b32_e32 v31, v15
	global_load_b128 v[22:25], v[38:39], off
	v_lshlrev_b32_e32 v30, 1, v26
	global_load_b128 v[26:29], v[38:39], off offset:32
	v_lshl_add_u64 v[40:41], v[30:31], 3, s[10:11]
	global_load_b128 v[30:33], v[38:39], off offset:48
	global_load_b128 v[34:37], v[40:41], off
	s_wait_loadcnt 0x4
	s_wait_xcnt 0x0
	v_xor_b32_e32 v40, 0x80000000, v21
	s_wait_loadcnt 0x3
	v_dual_mov_b32 v41, v20 :: v_dual_mov_b32 v39, v24
	v_xor_b32_e32 v38, 0x80000000, v25
	s_wait_loadcnt 0x2
	v_xor_b32_e32 v42, 0x80000000, v29
	s_wait_loadcnt 0x1
	v_dual_mov_b32 v43, v28 :: v_dual_mov_b32 v45, v32
	s_wait_loadcnt 0x0
	v_pk_fma_f32 v[8:9], v[22:23], v[34:35], v[8:9] op_sel_hi:[1,0,1]
	v_pk_fma_f32 v[12:13], v[18:19], v[34:35], v[12:13] op_sel_hi:[1,0,1]
	;; [unrolled: 1-line block ×4, first 2 shown]
	v_xor_b32_e32 v44, 0x80000000, v33
	v_pk_fma_f32 v[8:9], v[22:23], v[34:35], v[8:9] op_sel:[1,1,0] op_sel_hi:[0,1,1] neg_lo:[1,0,0]
	v_pk_fma_f32 v[12:13], v[18:19], v[34:35], v[12:13] op_sel:[1,1,0] op_sel_hi:[0,1,1] neg_lo:[1,0,0]
	;; [unrolled: 1-line block ×4, first 2 shown]
	v_mov_b32_e32 v18, v37
	v_pk_fma_f32 v[8:9], v[24:25], v[36:37], v[8:9] op_sel_hi:[1,0,1]
	v_pk_fma_f32 v[12:13], v[20:21], v[36:37], v[12:13] op_sel_hi:[1,0,1]
	;; [unrolled: 1-line block ×4, first 2 shown]
	s_delay_alu instid0(VALU_DEP_4) | instskip(NEXT) | instid1(VALU_DEP_4)
	v_pk_fma_f32 v[8:9], v[38:39], v[18:19], v[8:9] op_sel_hi:[1,0,1]
	v_pk_fma_f32 v[12:13], v[40:41], v[18:19], v[12:13] op_sel_hi:[1,0,1]
	s_delay_alu instid0(VALU_DEP_4) | instskip(NEXT) | instid1(VALU_DEP_4)
	v_pk_fma_f32 v[10:11], v[42:43], v[18:19], v[10:11] op_sel_hi:[1,0,1]
	v_pk_fma_f32 v[0:1], v[44:45], v[18:19], v[0:1] op_sel_hi:[1,0,1]
	s_and_not1_b32 exec_lo, exec_lo, s2
	s_cbranch_execnz .LBB79_11
; %bb.12:
	s_or_b32 exec_lo, exec_lo, s2
.LBB79_13:
	s_delay_alu instid0(SALU_CYCLE_1)
	s_or_b32 exec_lo, exec_lo, s3
.LBB79_14:
	v_mbcnt_lo_u32_b32 v14, -1, 0
	s_delay_alu instid0(VALU_DEP_1) | instskip(SKIP_1) | instid1(VALU_DEP_1)
	v_xor_b32_e32 v23, 1, v14
	v_xor_b32_e32 v15, 2, v14
	v_cmp_gt_i32_e32 vcc_lo, 32, v15
	v_cndmask_b32_e32 v15, v14, v15, vcc_lo
	s_delay_alu instid0(VALU_DEP_4) | instskip(SKIP_2) | instid1(VALU_DEP_2)
	v_cmp_gt_i32_e32 vcc_lo, 32, v23
	v_cndmask_b32_e32 v14, v14, v23, vcc_lo
	v_cmp_eq_u32_e32 vcc_lo, 3, v7
	v_dual_lshlrev_b32 v23, 2, v14 :: v_dual_lshlrev_b32 v15, 2, v15
	ds_bpermute_b32 v16, v15, v8
	s_wait_dscnt 0x0
	v_add_f32_e32 v8, v8, v16
	ds_bpermute_b32 v17, v15, v9
	ds_bpermute_b32 v18, v15, v12
	;; [unrolled: 1-line block ×7, first 2 shown]
	s_wait_dscnt 0x5
	v_dual_add_f32 v14, v9, v17 :: v_dual_add_f32 v12, v12, v18
	s_wait_dscnt 0x3
	v_dual_add_f32 v13, v13, v19 :: v_dual_add_f32 v10, v10, v20
	;; [unrolled: 2-line block ×3, first 2 shown]
	s_wait_dscnt 0x0
	v_add_f32_e32 v1, v1, v15
	ds_bpermute_b32 v0, v23, v8
	ds_bpermute_b32 v16, v23, v14
	;; [unrolled: 1-line block ×8, first 2 shown]
	s_and_b32 exec_lo, exec_lo, vcc_lo
	s_cbranch_execz .LBB79_19
; %bb.15:
	s_load_b64 s[2:3], s[0:1], 0x38
	v_cmp_eq_f32_e32 vcc_lo, 0, v4
	s_wait_xcnt 0x0
	v_cmp_eq_f32_e64 s0, 0, v5
	s_wait_dscnt 0x7
	v_add_f32_e32 v0, v8, v0
	s_wait_dscnt 0x5
	v_dual_add_f32 v20, v14, v16 :: v_dual_add_f32 v8, v12, v18
	s_wait_dscnt 0x3
	v_dual_add_f32 v18, v13, v19 :: v_dual_add_f32 v10, v10, v21
	;; [unrolled: 2-line block ×3, first 2 shown]
	s_wait_dscnt 0x0
	v_add_f32_e32 v14, v1, v17
	s_and_b32 s0, vcc_lo, s0
	s_delay_alu instid0(SALU_CYCLE_1) | instskip(NEXT) | instid1(SALU_CYCLE_1)
	s_and_saveexec_b32 s1, s0
	s_xor_b32 s0, exec_lo, s1
	s_cbranch_execz .LBB79_17
; %bb.16:
	v_xor_b32_e32 v4, 0x80000000, v3
	v_dual_mov_b32 v5, v2 :: v_dual_lshlrev_b32 v6, 2, v6
	s_delay_alu instid0(VALU_DEP_1) | instskip(NEXT) | instid1(VALU_DEP_2)
	v_ashrrev_i32_e32 v7, 31, v6
	v_pk_mul_f32 v[20:21], v[20:21], v[4:5] op_sel_hi:[0,1]
	v_pk_mul_f32 v[18:19], v[18:19], v[4:5] op_sel_hi:[0,1]
	;; [unrolled: 1-line block ×4, first 2 shown]
	s_wait_kmcnt 0x0
	v_lshl_add_u64 v[22:23], v[6:7], 3, s[2:3]
	v_pk_fma_f32 v[4:5], v[2:3], v[0:1], v[20:21] op_sel_hi:[1,0,1]
	v_pk_fma_f32 v[6:7], v[2:3], v[8:9], v[18:19] op_sel_hi:[1,0,1]
	;; [unrolled: 1-line block ×4, first 2 shown]
	s_clause 0x1
	global_store_b128 v[22:23], v[4:7], off
	global_store_b128 v[22:23], v[0:3], off offset:16
                                        ; implicit-def: $vgpr6
                                        ; implicit-def: $vgpr0
                                        ; implicit-def: $vgpr20
                                        ; implicit-def: $vgpr8
                                        ; implicit-def: $vgpr18
                                        ; implicit-def: $vgpr10
                                        ; implicit-def: $vgpr16
                                        ; implicit-def: $vgpr12
                                        ; implicit-def: $vgpr14
                                        ; implicit-def: $vgpr2_vgpr3
                                        ; implicit-def: $vgpr4_vgpr5
.LBB79_17:
	s_wait_xcnt 0x0
	s_and_not1_saveexec_b32 s0, s0
	s_cbranch_execz .LBB79_19
; %bb.18:
	v_lshlrev_b32_e32 v6, 2, v6
	v_xor_b32_e32 v32, 0x80000000, v5
	s_delay_alu instid0(VALU_DEP_2) | instskip(SKIP_1) | instid1(VALU_DEP_1)
	v_dual_mov_b32 v33, v4 :: v_dual_ashrrev_i32 v7, 31, v6
	s_wait_kmcnt 0x0
	v_lshl_add_u64 v[30:31], v[6:7], 3, s[2:3]
	v_xor_b32_e32 v6, 0x80000000, v3
	v_mov_b32_e32 v7, v2
	s_clause 0x1
	global_load_b128 v[22:25], v[30:31], off
	global_load_b128 v[26:29], v[30:31], off offset:16
	v_pk_mul_f32 v[20:21], v[20:21], v[6:7] op_sel_hi:[0,1]
	v_pk_mul_f32 v[18:19], v[18:19], v[6:7] op_sel_hi:[0,1]
	;; [unrolled: 1-line block ×4, first 2 shown]
	s_delay_alu instid0(VALU_DEP_4) | instskip(NEXT) | instid1(VALU_DEP_4)
	v_pk_fma_f32 v[0:1], v[2:3], v[0:1], v[20:21] op_sel_hi:[1,0,1]
	v_pk_fma_f32 v[8:9], v[2:3], v[8:9], v[18:19] op_sel_hi:[1,0,1]
	s_delay_alu instid0(VALU_DEP_4) | instskip(NEXT) | instid1(VALU_DEP_4)
	v_pk_fma_f32 v[10:11], v[2:3], v[10:11], v[16:17] op_sel_hi:[1,0,1]
	v_pk_fma_f32 v[2:3], v[2:3], v[12:13], v[6:7] op_sel_hi:[1,0,1]
	s_wait_loadcnt 0x1
	v_pk_fma_f32 v[0:1], v[4:5], v[22:23], v[0:1] op_sel_hi:[1,0,1]
	v_pk_fma_f32 v[6:7], v[4:5], v[24:25], v[8:9] op_sel_hi:[1,0,1]
	s_wait_loadcnt 0x0
	v_dual_mov_b32 v8, v25 :: v_dual_mov_b32 v14, v29
	v_pk_fma_f32 v[10:11], v[4:5], v[26:27], v[10:11] op_sel_hi:[1,0,1]
	v_pk_fma_f32 v[12:13], v[4:5], v[28:29], v[2:3] op_sel_hi:[1,0,1]
	v_pk_fma_f32 v[0:1], v[32:33], v[22:23], v[0:1] op_sel:[0,1,0]
	s_delay_alu instid0(VALU_DEP_4) | instskip(NEXT) | instid1(VALU_DEP_4)
	v_pk_fma_f32 v[2:3], v[32:33], v[8:9], v[6:7] op_sel_hi:[1,0,1]
	v_pk_fma_f32 v[4:5], v[32:33], v[26:27], v[10:11] op_sel:[0,1,0]
	s_delay_alu instid0(VALU_DEP_4)
	v_pk_fma_f32 v[6:7], v[32:33], v[14:15], v[12:13] op_sel_hi:[1,0,1]
	s_clause 0x1
	global_store_b128 v[30:31], v[0:3], off
	global_store_b128 v[30:31], v[4:7], off offset:16
.LBB79_19:
	s_endpgm
	.section	.rodata,"a",@progbits
	.p2align	6, 0x0
	.amdhsa_kernel _ZN9rocsparseL19gebsrmvn_4xn_kernelILj128ELj2ELj4E21rocsparse_complex_numIfEEEvi20rocsparse_direction_NS_24const_host_device_scalarIT2_EEPKiS8_PKS5_SA_S6_PS5_21rocsparse_index_base_b
		.amdhsa_group_segment_fixed_size 0
		.amdhsa_private_segment_fixed_size 0
		.amdhsa_kernarg_size 72
		.amdhsa_user_sgpr_count 2
		.amdhsa_user_sgpr_dispatch_ptr 0
		.amdhsa_user_sgpr_queue_ptr 0
		.amdhsa_user_sgpr_kernarg_segment_ptr 1
		.amdhsa_user_sgpr_dispatch_id 0
		.amdhsa_user_sgpr_kernarg_preload_length 0
		.amdhsa_user_sgpr_kernarg_preload_offset 0
		.amdhsa_user_sgpr_private_segment_size 0
		.amdhsa_wavefront_size32 1
		.amdhsa_uses_dynamic_stack 0
		.amdhsa_enable_private_segment 0
		.amdhsa_system_sgpr_workgroup_id_x 1
		.amdhsa_system_sgpr_workgroup_id_y 0
		.amdhsa_system_sgpr_workgroup_id_z 0
		.amdhsa_system_sgpr_workgroup_info 0
		.amdhsa_system_vgpr_workitem_id 0
		.amdhsa_next_free_vgpr 48
		.amdhsa_next_free_sgpr 14
		.amdhsa_named_barrier_count 0
		.amdhsa_reserve_vcc 1
		.amdhsa_float_round_mode_32 0
		.amdhsa_float_round_mode_16_64 0
		.amdhsa_float_denorm_mode_32 3
		.amdhsa_float_denorm_mode_16_64 3
		.amdhsa_fp16_overflow 0
		.amdhsa_memory_ordered 1
		.amdhsa_forward_progress 1
		.amdhsa_inst_pref_size 16
		.amdhsa_round_robin_scheduling 0
		.amdhsa_exception_fp_ieee_invalid_op 0
		.amdhsa_exception_fp_denorm_src 0
		.amdhsa_exception_fp_ieee_div_zero 0
		.amdhsa_exception_fp_ieee_overflow 0
		.amdhsa_exception_fp_ieee_underflow 0
		.amdhsa_exception_fp_ieee_inexact 0
		.amdhsa_exception_int_div_zero 0
	.end_amdhsa_kernel
	.section	.text._ZN9rocsparseL19gebsrmvn_4xn_kernelILj128ELj2ELj4E21rocsparse_complex_numIfEEEvi20rocsparse_direction_NS_24const_host_device_scalarIT2_EEPKiS8_PKS5_SA_S6_PS5_21rocsparse_index_base_b,"axG",@progbits,_ZN9rocsparseL19gebsrmvn_4xn_kernelILj128ELj2ELj4E21rocsparse_complex_numIfEEEvi20rocsparse_direction_NS_24const_host_device_scalarIT2_EEPKiS8_PKS5_SA_S6_PS5_21rocsparse_index_base_b,comdat
.Lfunc_end79:
	.size	_ZN9rocsparseL19gebsrmvn_4xn_kernelILj128ELj2ELj4E21rocsparse_complex_numIfEEEvi20rocsparse_direction_NS_24const_host_device_scalarIT2_EEPKiS8_PKS5_SA_S6_PS5_21rocsparse_index_base_b, .Lfunc_end79-_ZN9rocsparseL19gebsrmvn_4xn_kernelILj128ELj2ELj4E21rocsparse_complex_numIfEEEvi20rocsparse_direction_NS_24const_host_device_scalarIT2_EEPKiS8_PKS5_SA_S6_PS5_21rocsparse_index_base_b
                                        ; -- End function
	.set _ZN9rocsparseL19gebsrmvn_4xn_kernelILj128ELj2ELj4E21rocsparse_complex_numIfEEEvi20rocsparse_direction_NS_24const_host_device_scalarIT2_EEPKiS8_PKS5_SA_S6_PS5_21rocsparse_index_base_b.num_vgpr, 48
	.set _ZN9rocsparseL19gebsrmvn_4xn_kernelILj128ELj2ELj4E21rocsparse_complex_numIfEEEvi20rocsparse_direction_NS_24const_host_device_scalarIT2_EEPKiS8_PKS5_SA_S6_PS5_21rocsparse_index_base_b.num_agpr, 0
	.set _ZN9rocsparseL19gebsrmvn_4xn_kernelILj128ELj2ELj4E21rocsparse_complex_numIfEEEvi20rocsparse_direction_NS_24const_host_device_scalarIT2_EEPKiS8_PKS5_SA_S6_PS5_21rocsparse_index_base_b.numbered_sgpr, 14
	.set _ZN9rocsparseL19gebsrmvn_4xn_kernelILj128ELj2ELj4E21rocsparse_complex_numIfEEEvi20rocsparse_direction_NS_24const_host_device_scalarIT2_EEPKiS8_PKS5_SA_S6_PS5_21rocsparse_index_base_b.num_named_barrier, 0
	.set _ZN9rocsparseL19gebsrmvn_4xn_kernelILj128ELj2ELj4E21rocsparse_complex_numIfEEEvi20rocsparse_direction_NS_24const_host_device_scalarIT2_EEPKiS8_PKS5_SA_S6_PS5_21rocsparse_index_base_b.private_seg_size, 0
	.set _ZN9rocsparseL19gebsrmvn_4xn_kernelILj128ELj2ELj4E21rocsparse_complex_numIfEEEvi20rocsparse_direction_NS_24const_host_device_scalarIT2_EEPKiS8_PKS5_SA_S6_PS5_21rocsparse_index_base_b.uses_vcc, 1
	.set _ZN9rocsparseL19gebsrmvn_4xn_kernelILj128ELj2ELj4E21rocsparse_complex_numIfEEEvi20rocsparse_direction_NS_24const_host_device_scalarIT2_EEPKiS8_PKS5_SA_S6_PS5_21rocsparse_index_base_b.uses_flat_scratch, 1
	.set _ZN9rocsparseL19gebsrmvn_4xn_kernelILj128ELj2ELj4E21rocsparse_complex_numIfEEEvi20rocsparse_direction_NS_24const_host_device_scalarIT2_EEPKiS8_PKS5_SA_S6_PS5_21rocsparse_index_base_b.has_dyn_sized_stack, 0
	.set _ZN9rocsparseL19gebsrmvn_4xn_kernelILj128ELj2ELj4E21rocsparse_complex_numIfEEEvi20rocsparse_direction_NS_24const_host_device_scalarIT2_EEPKiS8_PKS5_SA_S6_PS5_21rocsparse_index_base_b.has_recursion, 0
	.set _ZN9rocsparseL19gebsrmvn_4xn_kernelILj128ELj2ELj4E21rocsparse_complex_numIfEEEvi20rocsparse_direction_NS_24const_host_device_scalarIT2_EEPKiS8_PKS5_SA_S6_PS5_21rocsparse_index_base_b.has_indirect_call, 0
	.section	.AMDGPU.csdata,"",@progbits
; Kernel info:
; codeLenInByte = 2024
; TotalNumSgprs: 16
; NumVgprs: 48
; ScratchSize: 0
; MemoryBound: 0
; FloatMode: 240
; IeeeMode: 1
; LDSByteSize: 0 bytes/workgroup (compile time only)
; SGPRBlocks: 0
; VGPRBlocks: 2
; NumSGPRsForWavesPerEU: 16
; NumVGPRsForWavesPerEU: 48
; NamedBarCnt: 0
; Occupancy: 16
; WaveLimiterHint : 1
; COMPUTE_PGM_RSRC2:SCRATCH_EN: 0
; COMPUTE_PGM_RSRC2:USER_SGPR: 2
; COMPUTE_PGM_RSRC2:TRAP_HANDLER: 0
; COMPUTE_PGM_RSRC2:TGID_X_EN: 1
; COMPUTE_PGM_RSRC2:TGID_Y_EN: 0
; COMPUTE_PGM_RSRC2:TGID_Z_EN: 0
; COMPUTE_PGM_RSRC2:TIDIG_COMP_CNT: 0
	.section	.text._ZN9rocsparseL19gebsrmvn_4xn_kernelILj128ELj2ELj8E21rocsparse_complex_numIfEEEvi20rocsparse_direction_NS_24const_host_device_scalarIT2_EEPKiS8_PKS5_SA_S6_PS5_21rocsparse_index_base_b,"axG",@progbits,_ZN9rocsparseL19gebsrmvn_4xn_kernelILj128ELj2ELj8E21rocsparse_complex_numIfEEEvi20rocsparse_direction_NS_24const_host_device_scalarIT2_EEPKiS8_PKS5_SA_S6_PS5_21rocsparse_index_base_b,comdat
	.globl	_ZN9rocsparseL19gebsrmvn_4xn_kernelILj128ELj2ELj8E21rocsparse_complex_numIfEEEvi20rocsparse_direction_NS_24const_host_device_scalarIT2_EEPKiS8_PKS5_SA_S6_PS5_21rocsparse_index_base_b ; -- Begin function _ZN9rocsparseL19gebsrmvn_4xn_kernelILj128ELj2ELj8E21rocsparse_complex_numIfEEEvi20rocsparse_direction_NS_24const_host_device_scalarIT2_EEPKiS8_PKS5_SA_S6_PS5_21rocsparse_index_base_b
	.p2align	8
	.type	_ZN9rocsparseL19gebsrmvn_4xn_kernelILj128ELj2ELj8E21rocsparse_complex_numIfEEEvi20rocsparse_direction_NS_24const_host_device_scalarIT2_EEPKiS8_PKS5_SA_S6_PS5_21rocsparse_index_base_b,@function
_ZN9rocsparseL19gebsrmvn_4xn_kernelILj128ELj2ELj8E21rocsparse_complex_numIfEEEvi20rocsparse_direction_NS_24const_host_device_scalarIT2_EEPKiS8_PKS5_SA_S6_PS5_21rocsparse_index_base_b: ; @_ZN9rocsparseL19gebsrmvn_4xn_kernelILj128ELj2ELj8E21rocsparse_complex_numIfEEEvi20rocsparse_direction_NS_24const_host_device_scalarIT2_EEPKiS8_PKS5_SA_S6_PS5_21rocsparse_index_base_b
; %bb.0:
	s_clause 0x2
	s_load_b64 s[12:13], s[0:1], 0x40
	s_load_b64 s[2:3], s[0:1], 0x8
	s_load_b64 s[4:5], s[0:1], 0x30
	v_mov_b32_e32 v1, 0
	s_add_nc_u64 s[6:7], s[0:1], 8
	s_add_nc_u64 s[8:9], s[0:1], 48
	s_wait_kmcnt 0x0
	s_bitcmp1_b32 s13, 0
	s_cselect_b32 s3, s7, s3
	s_cselect_b32 s2, s6, s2
	;; [unrolled: 1-line block ×4, first 2 shown]
	s_clause 0x1
	flat_load_b64 v[2:3], v1, s[2:3]
	flat_load_b64 v[4:5], v1, s[4:5]
	s_wait_loadcnt_dscnt 0x101
	v_cmp_eq_f32_e32 vcc_lo, 0, v2
	v_cmp_eq_f32_e64 s2, 0, v3
	s_wait_loadcnt_dscnt 0x0
	v_cmp_eq_f32_e64 s3, 1.0, v4
	v_cmp_eq_f32_e64 s4, 0, v5
	s_and_b32 s2, vcc_lo, s2
	s_and_b32 s3, s3, s4
	s_delay_alu instid0(SALU_CYCLE_1) | instskip(NEXT) | instid1(SALU_CYCLE_1)
	s_and_b32 s2, s2, s3
	s_xor_b32 s2, s2, -1
	s_delay_alu instid0(SALU_CYCLE_1)
	s_and_saveexec_b32 s3, s2
	s_cbranch_execz .LBB80_19
; %bb.1:
	s_load_b64 s[2:3], s[0:1], 0x0
	s_bfe_u32 s4, ttmp6, 0x4000c
	s_and_b32 s5, ttmp6, 15
	s_add_co_i32 s4, s4, 1
	s_getreg_b32 s6, hwreg(HW_REG_IB_STS2, 6, 4)
	s_mul_i32 s4, ttmp9, s4
	v_lshrrev_b32_e32 v1, 3, v0
	s_add_co_i32 s5, s5, s4
	s_cmp_eq_u32 s6, 0
	s_cselect_b32 s4, ttmp9, s5
	s_delay_alu instid0(VALU_DEP_1) | instid1(SALU_CYCLE_1)
	v_lshl_or_b32 v6, s4, 4, v1
	s_wait_kmcnt 0x0
	s_delay_alu instid0(VALU_DEP_1)
	v_cmp_gt_i32_e32 vcc_lo, s2, v6
	s_and_b32 exec_lo, exec_lo, vcc_lo
	s_cbranch_execz .LBB80_19
; %bb.2:
	s_load_b256 s[4:11], s[0:1], 0x10
	v_ashrrev_i32_e32 v7, 31, v6
	s_cmp_lg_u32 s3, 0
	s_wait_kmcnt 0x0
	s_delay_alu instid0(VALU_DEP_1)
	v_lshl_add_u64 v[8:9], v[6:7], 2, s[4:5]
	v_and_b32_e32 v7, 7, v0
	global_load_b64 v[8:9], v[8:9], off
	s_wait_loadcnt 0x0
	v_subrev_nc_u32_e32 v0, s12, v8
	v_subrev_nc_u32_e32 v16, s12, v9
	s_delay_alu instid0(VALU_DEP_2) | instskip(NEXT) | instid1(VALU_DEP_1)
	v_add_nc_u32_e32 v17, v0, v7
	v_cmp_lt_i32_e64 s2, v17, v16
	s_cbranch_scc0 .LBB80_8
; %bb.3:
	v_mov_b32_e32 v9, 0
	s_delay_alu instid0(VALU_DEP_1)
	v_dual_mov_b32 v8, v9 :: v_dual_mov_b32 v1, v9
	v_dual_mov_b32 v0, v9 :: v_dual_mov_b32 v11, v9
	;; [unrolled: 1-line block ×3, first 2 shown]
	v_mov_b32_e32 v12, v9
	s_and_saveexec_b32 s3, s2
	s_cbranch_execz .LBB80_7
; %bb.4:
	v_dual_mov_b32 v15, 0 :: v_dual_lshlrev_b32 v14, 3, v17
	v_mov_b32_e32 v18, v17
	s_mov_b32 s4, 0
	s_delay_alu instid0(VALU_DEP_2)
	v_dual_mov_b32 v12, v15 :: v_dual_mov_b32 v13, v15
	v_dual_mov_b32 v10, v15 :: v_dual_mov_b32 v11, v15
	;; [unrolled: 1-line block ×4, first 2 shown]
.LBB80_5:                               ; =>This Inner Loop Header: Depth=1
	global_load_b32 v19, v18, s[6:7] scale_offset
	v_lshl_add_u64 v[40:41], v[14:15], 3, s[8:9]
	s_clause 0x2
	global_load_b128 v[20:23], v[40:41], off offset:32
	global_load_b128 v[24:27], v[40:41], off offset:16
	global_load_b128 v[28:31], v[40:41], off
	s_wait_xcnt 0x3
	v_add_nc_u32_e32 v18, 8, v18
	v_add_nc_u32_e32 v14, 64, v14
	s_wait_loadcnt 0x3
	v_subrev_nc_u32_e32 v19, s12, v19
	s_delay_alu instid0(VALU_DEP_1) | instskip(SKIP_2) | instid1(VALU_DEP_2)
	v_dual_mov_b32 v33, v15 :: v_dual_lshlrev_b32 v32, 1, v19
	s_wait_loadcnt 0x1
	v_xor_b32_e32 v44, 0x80000000, v27
	v_lshl_add_u64 v[42:43], v[32:33], 3, s[10:11]
	global_load_b128 v[32:35], v[42:43], off
	global_load_b128 v[36:39], v[40:41], off offset:48
	s_wait_loadcnt 0x2
	s_wait_xcnt 0x0
	v_xor_b32_e32 v40, 0x80000000, v31
	v_dual_mov_b32 v41, v30 :: v_dual_mov_b32 v45, v26
	v_xor_b32_e32 v42, 0x80000000, v23
	v_mov_b32_e32 v43, v22
	v_cmp_ge_i32_e32 vcc_lo, v18, v16
	s_or_b32 s4, vcc_lo, s4
	s_wait_loadcnt 0x1
	v_pk_fma_f32 v[8:9], v[28:29], v[32:33], v[8:9] op_sel_hi:[1,0,1]
	v_pk_fma_f32 v[12:13], v[30:31], v[32:33], v[12:13] op_sel_hi:[1,0,1]
	;; [unrolled: 1-line block ×4, first 2 shown]
	s_wait_loadcnt 0x0
	v_mov_b32_e32 v47, v38
	v_pk_fma_f32 v[8:9], v[28:29], v[32:33], v[8:9] op_sel:[1,1,0] op_sel_hi:[0,1,1] neg_lo:[1,0,0]
	v_pk_fma_f32 v[12:13], v[40:41], v[32:33], v[12:13] op_sel:[0,1,0]
	v_pk_fma_f32 v[10:11], v[24:25], v[32:33], v[10:11] op_sel:[1,1,0] op_sel_hi:[0,1,1] neg_lo:[1,0,0]
	v_pk_fma_f32 v[0:1], v[44:45], v[32:33], v[0:1] op_sel:[0,1,0]
	v_xor_b32_e32 v46, 0x80000000, v39
	v_mov_b32_e32 v24, v35
	v_pk_fma_f32 v[8:9], v[20:21], v[34:35], v[8:9] op_sel_hi:[1,0,1]
	v_pk_fma_f32 v[12:13], v[22:23], v[34:35], v[12:13] op_sel_hi:[1,0,1]
	v_pk_fma_f32 v[10:11], v[36:37], v[34:35], v[10:11] op_sel_hi:[1,0,1]
	v_pk_fma_f32 v[0:1], v[38:39], v[34:35], v[0:1] op_sel_hi:[1,0,1]
	s_delay_alu instid0(VALU_DEP_4) | instskip(NEXT) | instid1(VALU_DEP_4)
	v_pk_fma_f32 v[8:9], v[20:21], v[24:25], v[8:9] op_sel:[1,0,0] op_sel_hi:[0,0,1] neg_lo:[1,0,0]
	v_pk_fma_f32 v[12:13], v[42:43], v[24:25], v[12:13] op_sel_hi:[1,0,1]
	s_delay_alu instid0(VALU_DEP_4) | instskip(NEXT) | instid1(VALU_DEP_4)
	v_pk_fma_f32 v[10:11], v[36:37], v[24:25], v[10:11] op_sel:[1,0,0] op_sel_hi:[0,0,1] neg_lo:[1,0,0]
	v_pk_fma_f32 v[0:1], v[46:47], v[24:25], v[0:1] op_sel_hi:[1,0,1]
	s_and_not1_b32 exec_lo, exec_lo, s4
	s_cbranch_execnz .LBB80_5
; %bb.6:
	s_or_b32 exec_lo, exec_lo, s4
.LBB80_7:
	s_delay_alu instid0(SALU_CYCLE_1)
	s_or_b32 exec_lo, exec_lo, s3
	s_cbranch_execz .LBB80_9
	s_branch .LBB80_14
.LBB80_8:
                                        ; implicit-def: $vgpr9
                                        ; implicit-def: $vgpr1
                                        ; implicit-def: $vgpr11
                                        ; implicit-def: $vgpr13
.LBB80_9:
	v_mov_b32_e32 v9, 0
	s_delay_alu instid0(VALU_DEP_1)
	v_dual_mov_b32 v8, v9 :: v_dual_mov_b32 v1, v9
	v_dual_mov_b32 v0, v9 :: v_dual_mov_b32 v11, v9
	;; [unrolled: 1-line block ×3, first 2 shown]
	v_mov_b32_e32 v12, v9
	s_and_saveexec_b32 s3, s2
	s_cbranch_execz .LBB80_13
; %bb.10:
	v_dual_mov_b32 v15, 0 :: v_dual_lshlrev_b32 v14, 3, v17
	s_mov_b32 s2, 0
	s_delay_alu instid0(VALU_DEP_1)
	v_dual_mov_b32 v12, v15 :: v_dual_mov_b32 v13, v15
	v_dual_mov_b32 v10, v15 :: v_dual_mov_b32 v11, v15
	;; [unrolled: 1-line block ×4, first 2 shown]
.LBB80_11:                              ; =>This Inner Loop Header: Depth=1
	global_load_b32 v22, v17, s[6:7] scale_offset
	v_lshl_add_u64 v[38:39], v[14:15], 3, s[8:9]
	s_wait_xcnt 0x0
	v_dual_add_nc_u32 v17, 8, v17 :: v_dual_add_nc_u32 v14, 64, v14
	global_load_b128 v[18:21], v[38:39], off offset:16
	v_cmp_ge_i32_e32 vcc_lo, v17, v16
	s_or_b32 s2, vcc_lo, s2
	s_wait_loadcnt 0x1
	v_subrev_nc_u32_e32 v26, s12, v22
	v_mov_b32_e32 v31, v15
	global_load_b128 v[22:25], v[38:39], off
	v_lshlrev_b32_e32 v30, 1, v26
	global_load_b128 v[26:29], v[38:39], off offset:32
	v_lshl_add_u64 v[40:41], v[30:31], 3, s[10:11]
	global_load_b128 v[30:33], v[38:39], off offset:48
	global_load_b128 v[34:37], v[40:41], off
	s_wait_loadcnt 0x4
	s_wait_xcnt 0x0
	v_xor_b32_e32 v40, 0x80000000, v21
	s_wait_loadcnt 0x3
	v_dual_mov_b32 v41, v20 :: v_dual_mov_b32 v39, v24
	v_xor_b32_e32 v38, 0x80000000, v25
	s_wait_loadcnt 0x2
	v_xor_b32_e32 v42, 0x80000000, v29
	s_wait_loadcnt 0x1
	v_dual_mov_b32 v43, v28 :: v_dual_mov_b32 v45, v32
	s_wait_loadcnt 0x0
	v_pk_fma_f32 v[8:9], v[22:23], v[34:35], v[8:9] op_sel_hi:[1,0,1]
	v_pk_fma_f32 v[12:13], v[18:19], v[34:35], v[12:13] op_sel_hi:[1,0,1]
	;; [unrolled: 1-line block ×4, first 2 shown]
	v_xor_b32_e32 v44, 0x80000000, v33
	v_pk_fma_f32 v[8:9], v[22:23], v[34:35], v[8:9] op_sel:[1,1,0] op_sel_hi:[0,1,1] neg_lo:[1,0,0]
	v_pk_fma_f32 v[12:13], v[18:19], v[34:35], v[12:13] op_sel:[1,1,0] op_sel_hi:[0,1,1] neg_lo:[1,0,0]
	;; [unrolled: 1-line block ×4, first 2 shown]
	v_mov_b32_e32 v18, v37
	v_pk_fma_f32 v[8:9], v[24:25], v[36:37], v[8:9] op_sel_hi:[1,0,1]
	v_pk_fma_f32 v[12:13], v[20:21], v[36:37], v[12:13] op_sel_hi:[1,0,1]
	;; [unrolled: 1-line block ×4, first 2 shown]
	s_delay_alu instid0(VALU_DEP_4) | instskip(NEXT) | instid1(VALU_DEP_4)
	v_pk_fma_f32 v[8:9], v[38:39], v[18:19], v[8:9] op_sel_hi:[1,0,1]
	v_pk_fma_f32 v[12:13], v[40:41], v[18:19], v[12:13] op_sel_hi:[1,0,1]
	s_delay_alu instid0(VALU_DEP_4) | instskip(NEXT) | instid1(VALU_DEP_4)
	v_pk_fma_f32 v[10:11], v[42:43], v[18:19], v[10:11] op_sel_hi:[1,0,1]
	v_pk_fma_f32 v[0:1], v[44:45], v[18:19], v[0:1] op_sel_hi:[1,0,1]
	s_and_not1_b32 exec_lo, exec_lo, s2
	s_cbranch_execnz .LBB80_11
; %bb.12:
	s_or_b32 exec_lo, exec_lo, s2
.LBB80_13:
	s_delay_alu instid0(SALU_CYCLE_1)
	s_or_b32 exec_lo, exec_lo, s3
.LBB80_14:
	v_mbcnt_lo_u32_b32 v14, -1, 0
	s_delay_alu instid0(VALU_DEP_1) | instskip(SKIP_1) | instid1(VALU_DEP_1)
	v_xor_b32_e32 v23, 2, v14
	v_xor_b32_e32 v15, 4, v14
	v_cmp_gt_i32_e32 vcc_lo, 32, v15
	v_cndmask_b32_e32 v15, v14, v15, vcc_lo
	s_delay_alu instid0(VALU_DEP_1)
	v_lshlrev_b32_e32 v15, 2, v15
	ds_bpermute_b32 v17, v15, v9
	s_wait_dscnt 0x0
	v_add_f32_e32 v9, v9, v17
	ds_bpermute_b32 v19, v15, v13
	ds_bpermute_b32 v16, v15, v8
	;; [unrolled: 1-line block ×7, first 2 shown]
	s_wait_dscnt 0x6
	v_add_f32_e32 v13, v13, v19
	v_cmp_gt_i32_e32 vcc_lo, 32, v23
	s_wait_dscnt 0x5
	v_add_f32_e32 v8, v8, v16
	s_wait_dscnt 0x4
	v_add_f32_e32 v12, v12, v18
	s_wait_dscnt 0x2
	v_dual_add_f32 v18, v0, v22 :: v_dual_add_f32 v16, v10, v20
	s_wait_dscnt 0x1
	v_dual_add_f32 v17, v11, v21 :: v_dual_cndmask_b32 v23, v14, v23, vcc_lo
	s_wait_dscnt 0x0
	v_add_f32_e32 v15, v1, v15
	s_delay_alu instid0(VALU_DEP_2)
	v_lshlrev_b32_e32 v23, 2, v23
	ds_bpermute_b32 v0, v23, v8
	ds_bpermute_b32 v1, v23, v9
	;; [unrolled: 1-line block ×8, first 2 shown]
	s_wait_dscnt 0x7
	v_dual_add_f32 v0, v8, v0 :: v_dual_bitop2_b32 v23, 1, v14 bitop3:0x14
	s_delay_alu instid0(VALU_DEP_1)
	v_cmp_gt_i32_e32 vcc_lo, 32, v23
	s_wait_dscnt 0x5
	v_dual_add_f32 v8, v9, v1 :: v_dual_add_f32 v10, v12, v10
	s_wait_dscnt 0x3
	v_add_f32_e32 v12, v16, v19
	v_add_f32_e32 v11, v13, v11
	s_wait_dscnt 0x2
	v_dual_cndmask_b32 v14, v14, v23 :: v_dual_add_f32 v13, v17, v20
	s_wait_dscnt 0x0
	v_dual_add_f32 v1, v18, v21 :: v_dual_add_f32 v9, v15, v22
	v_cmp_eq_u32_e32 vcc_lo, 7, v7
	s_delay_alu instid0(VALU_DEP_3)
	v_lshlrev_b32_e32 v23, 2, v14
	ds_bpermute_b32 v16, v23, v0
	ds_bpermute_b32 v17, v23, v8
	;; [unrolled: 1-line block ×8, first 2 shown]
	s_and_b32 exec_lo, exec_lo, vcc_lo
	s_cbranch_execz .LBB80_19
; %bb.15:
	s_load_b64 s[2:3], s[0:1], 0x38
	v_cmp_eq_f32_e32 vcc_lo, 0, v4
	s_wait_xcnt 0x0
	v_cmp_eq_f32_e64 s0, 0, v5
	s_wait_dscnt 0x7
	v_add_f32_e32 v0, v0, v16
	s_wait_dscnt 0x5
	v_dual_add_f32 v20, v8, v17 :: v_dual_add_f32 v8, v10, v18
	s_wait_dscnt 0x3
	v_dual_add_f32 v18, v11, v19 :: v_dual_add_f32 v10, v12, v21
	s_wait_dscnt 0x2
	v_add_f32_e32 v16, v13, v22
	s_wait_dscnt 0x1
	v_add_f32_e32 v12, v1, v14
	;; [unrolled: 2-line block ×3, first 2 shown]
	s_and_b32 s0, vcc_lo, s0
	s_delay_alu instid0(SALU_CYCLE_1) | instskip(NEXT) | instid1(SALU_CYCLE_1)
	s_and_saveexec_b32 s1, s0
	s_xor_b32 s0, exec_lo, s1
	s_cbranch_execz .LBB80_17
; %bb.16:
	v_xor_b32_e32 v4, 0x80000000, v3
	v_dual_mov_b32 v5, v2 :: v_dual_lshlrev_b32 v6, 2, v6
	s_delay_alu instid0(VALU_DEP_1) | instskip(NEXT) | instid1(VALU_DEP_2)
	v_ashrrev_i32_e32 v7, 31, v6
	v_pk_mul_f32 v[20:21], v[20:21], v[4:5] op_sel_hi:[0,1]
	v_pk_mul_f32 v[18:19], v[18:19], v[4:5] op_sel_hi:[0,1]
	;; [unrolled: 1-line block ×4, first 2 shown]
	s_wait_kmcnt 0x0
	v_lshl_add_u64 v[22:23], v[6:7], 3, s[2:3]
	v_pk_fma_f32 v[4:5], v[2:3], v[0:1], v[20:21] op_sel_hi:[1,0,1]
	v_pk_fma_f32 v[6:7], v[2:3], v[8:9], v[18:19] op_sel_hi:[1,0,1]
	v_pk_fma_f32 v[0:1], v[2:3], v[10:11], v[16:17] op_sel_hi:[1,0,1]
	v_pk_fma_f32 v[2:3], v[2:3], v[12:13], v[14:15] op_sel_hi:[1,0,1]
	s_clause 0x1
	global_store_b128 v[22:23], v[4:7], off
	global_store_b128 v[22:23], v[0:3], off offset:16
                                        ; implicit-def: $vgpr6
                                        ; implicit-def: $vgpr0
                                        ; implicit-def: $vgpr20
                                        ; implicit-def: $vgpr8
                                        ; implicit-def: $vgpr18
                                        ; implicit-def: $vgpr10
                                        ; implicit-def: $vgpr16
                                        ; implicit-def: $vgpr12
                                        ; implicit-def: $vgpr14
                                        ; implicit-def: $vgpr2_vgpr3
                                        ; implicit-def: $vgpr4_vgpr5
.LBB80_17:
	s_wait_xcnt 0x0
	s_and_not1_saveexec_b32 s0, s0
	s_cbranch_execz .LBB80_19
; %bb.18:
	v_lshlrev_b32_e32 v6, 2, v6
	v_xor_b32_e32 v32, 0x80000000, v5
	s_delay_alu instid0(VALU_DEP_2) | instskip(SKIP_1) | instid1(VALU_DEP_1)
	v_dual_mov_b32 v33, v4 :: v_dual_ashrrev_i32 v7, 31, v6
	s_wait_kmcnt 0x0
	v_lshl_add_u64 v[30:31], v[6:7], 3, s[2:3]
	v_xor_b32_e32 v6, 0x80000000, v3
	v_mov_b32_e32 v7, v2
	s_clause 0x1
	global_load_b128 v[22:25], v[30:31], off
	global_load_b128 v[26:29], v[30:31], off offset:16
	v_pk_mul_f32 v[20:21], v[20:21], v[6:7] op_sel_hi:[0,1]
	v_pk_mul_f32 v[18:19], v[18:19], v[6:7] op_sel_hi:[0,1]
	;; [unrolled: 1-line block ×4, first 2 shown]
	s_delay_alu instid0(VALU_DEP_4) | instskip(NEXT) | instid1(VALU_DEP_4)
	v_pk_fma_f32 v[0:1], v[2:3], v[0:1], v[20:21] op_sel_hi:[1,0,1]
	v_pk_fma_f32 v[8:9], v[2:3], v[8:9], v[18:19] op_sel_hi:[1,0,1]
	s_delay_alu instid0(VALU_DEP_4) | instskip(NEXT) | instid1(VALU_DEP_4)
	v_pk_fma_f32 v[10:11], v[2:3], v[10:11], v[16:17] op_sel_hi:[1,0,1]
	v_pk_fma_f32 v[2:3], v[2:3], v[12:13], v[6:7] op_sel_hi:[1,0,1]
	s_wait_loadcnt 0x1
	v_pk_fma_f32 v[0:1], v[4:5], v[22:23], v[0:1] op_sel_hi:[1,0,1]
	v_pk_fma_f32 v[6:7], v[4:5], v[24:25], v[8:9] op_sel_hi:[1,0,1]
	s_wait_loadcnt 0x0
	v_dual_mov_b32 v8, v25 :: v_dual_mov_b32 v14, v29
	v_pk_fma_f32 v[10:11], v[4:5], v[26:27], v[10:11] op_sel_hi:[1,0,1]
	v_pk_fma_f32 v[12:13], v[4:5], v[28:29], v[2:3] op_sel_hi:[1,0,1]
	v_pk_fma_f32 v[0:1], v[32:33], v[22:23], v[0:1] op_sel:[0,1,0]
	s_delay_alu instid0(VALU_DEP_4) | instskip(NEXT) | instid1(VALU_DEP_4)
	v_pk_fma_f32 v[2:3], v[32:33], v[8:9], v[6:7] op_sel_hi:[1,0,1]
	v_pk_fma_f32 v[4:5], v[32:33], v[26:27], v[10:11] op_sel:[0,1,0]
	s_delay_alu instid0(VALU_DEP_4)
	v_pk_fma_f32 v[6:7], v[32:33], v[14:15], v[12:13] op_sel_hi:[1,0,1]
	s_clause 0x1
	global_store_b128 v[30:31], v[0:3], off
	global_store_b128 v[30:31], v[4:7], off offset:16
.LBB80_19:
	s_endpgm
	.section	.rodata,"a",@progbits
	.p2align	6, 0x0
	.amdhsa_kernel _ZN9rocsparseL19gebsrmvn_4xn_kernelILj128ELj2ELj8E21rocsparse_complex_numIfEEEvi20rocsparse_direction_NS_24const_host_device_scalarIT2_EEPKiS8_PKS5_SA_S6_PS5_21rocsparse_index_base_b
		.amdhsa_group_segment_fixed_size 0
		.amdhsa_private_segment_fixed_size 0
		.amdhsa_kernarg_size 72
		.amdhsa_user_sgpr_count 2
		.amdhsa_user_sgpr_dispatch_ptr 0
		.amdhsa_user_sgpr_queue_ptr 0
		.amdhsa_user_sgpr_kernarg_segment_ptr 1
		.amdhsa_user_sgpr_dispatch_id 0
		.amdhsa_user_sgpr_kernarg_preload_length 0
		.amdhsa_user_sgpr_kernarg_preload_offset 0
		.amdhsa_user_sgpr_private_segment_size 0
		.amdhsa_wavefront_size32 1
		.amdhsa_uses_dynamic_stack 0
		.amdhsa_enable_private_segment 0
		.amdhsa_system_sgpr_workgroup_id_x 1
		.amdhsa_system_sgpr_workgroup_id_y 0
		.amdhsa_system_sgpr_workgroup_id_z 0
		.amdhsa_system_sgpr_workgroup_info 0
		.amdhsa_system_vgpr_workitem_id 0
		.amdhsa_next_free_vgpr 48
		.amdhsa_next_free_sgpr 14
		.amdhsa_named_barrier_count 0
		.amdhsa_reserve_vcc 1
		.amdhsa_float_round_mode_32 0
		.amdhsa_float_round_mode_16_64 0
		.amdhsa_float_denorm_mode_32 3
		.amdhsa_float_denorm_mode_16_64 3
		.amdhsa_fp16_overflow 0
		.amdhsa_memory_ordered 1
		.amdhsa_forward_progress 1
		.amdhsa_inst_pref_size 18
		.amdhsa_round_robin_scheduling 0
		.amdhsa_exception_fp_ieee_invalid_op 0
		.amdhsa_exception_fp_denorm_src 0
		.amdhsa_exception_fp_ieee_div_zero 0
		.amdhsa_exception_fp_ieee_overflow 0
		.amdhsa_exception_fp_ieee_underflow 0
		.amdhsa_exception_fp_ieee_inexact 0
		.amdhsa_exception_int_div_zero 0
	.end_amdhsa_kernel
	.section	.text._ZN9rocsparseL19gebsrmvn_4xn_kernelILj128ELj2ELj8E21rocsparse_complex_numIfEEEvi20rocsparse_direction_NS_24const_host_device_scalarIT2_EEPKiS8_PKS5_SA_S6_PS5_21rocsparse_index_base_b,"axG",@progbits,_ZN9rocsparseL19gebsrmvn_4xn_kernelILj128ELj2ELj8E21rocsparse_complex_numIfEEEvi20rocsparse_direction_NS_24const_host_device_scalarIT2_EEPKiS8_PKS5_SA_S6_PS5_21rocsparse_index_base_b,comdat
.Lfunc_end80:
	.size	_ZN9rocsparseL19gebsrmvn_4xn_kernelILj128ELj2ELj8E21rocsparse_complex_numIfEEEvi20rocsparse_direction_NS_24const_host_device_scalarIT2_EEPKiS8_PKS5_SA_S6_PS5_21rocsparse_index_base_b, .Lfunc_end80-_ZN9rocsparseL19gebsrmvn_4xn_kernelILj128ELj2ELj8E21rocsparse_complex_numIfEEEvi20rocsparse_direction_NS_24const_host_device_scalarIT2_EEPKiS8_PKS5_SA_S6_PS5_21rocsparse_index_base_b
                                        ; -- End function
	.set _ZN9rocsparseL19gebsrmvn_4xn_kernelILj128ELj2ELj8E21rocsparse_complex_numIfEEEvi20rocsparse_direction_NS_24const_host_device_scalarIT2_EEPKiS8_PKS5_SA_S6_PS5_21rocsparse_index_base_b.num_vgpr, 48
	.set _ZN9rocsparseL19gebsrmvn_4xn_kernelILj128ELj2ELj8E21rocsparse_complex_numIfEEEvi20rocsparse_direction_NS_24const_host_device_scalarIT2_EEPKiS8_PKS5_SA_S6_PS5_21rocsparse_index_base_b.num_agpr, 0
	.set _ZN9rocsparseL19gebsrmvn_4xn_kernelILj128ELj2ELj8E21rocsparse_complex_numIfEEEvi20rocsparse_direction_NS_24const_host_device_scalarIT2_EEPKiS8_PKS5_SA_S6_PS5_21rocsparse_index_base_b.numbered_sgpr, 14
	.set _ZN9rocsparseL19gebsrmvn_4xn_kernelILj128ELj2ELj8E21rocsparse_complex_numIfEEEvi20rocsparse_direction_NS_24const_host_device_scalarIT2_EEPKiS8_PKS5_SA_S6_PS5_21rocsparse_index_base_b.num_named_barrier, 0
	.set _ZN9rocsparseL19gebsrmvn_4xn_kernelILj128ELj2ELj8E21rocsparse_complex_numIfEEEvi20rocsparse_direction_NS_24const_host_device_scalarIT2_EEPKiS8_PKS5_SA_S6_PS5_21rocsparse_index_base_b.private_seg_size, 0
	.set _ZN9rocsparseL19gebsrmvn_4xn_kernelILj128ELj2ELj8E21rocsparse_complex_numIfEEEvi20rocsparse_direction_NS_24const_host_device_scalarIT2_EEPKiS8_PKS5_SA_S6_PS5_21rocsparse_index_base_b.uses_vcc, 1
	.set _ZN9rocsparseL19gebsrmvn_4xn_kernelILj128ELj2ELj8E21rocsparse_complex_numIfEEEvi20rocsparse_direction_NS_24const_host_device_scalarIT2_EEPKiS8_PKS5_SA_S6_PS5_21rocsparse_index_base_b.uses_flat_scratch, 1
	.set _ZN9rocsparseL19gebsrmvn_4xn_kernelILj128ELj2ELj8E21rocsparse_complex_numIfEEEvi20rocsparse_direction_NS_24const_host_device_scalarIT2_EEPKiS8_PKS5_SA_S6_PS5_21rocsparse_index_base_b.has_dyn_sized_stack, 0
	.set _ZN9rocsparseL19gebsrmvn_4xn_kernelILj128ELj2ELj8E21rocsparse_complex_numIfEEEvi20rocsparse_direction_NS_24const_host_device_scalarIT2_EEPKiS8_PKS5_SA_S6_PS5_21rocsparse_index_base_b.has_recursion, 0
	.set _ZN9rocsparseL19gebsrmvn_4xn_kernelILj128ELj2ELj8E21rocsparse_complex_numIfEEEvi20rocsparse_direction_NS_24const_host_device_scalarIT2_EEPKiS8_PKS5_SA_S6_PS5_21rocsparse_index_base_b.has_indirect_call, 0
	.section	.AMDGPU.csdata,"",@progbits
; Kernel info:
; codeLenInByte = 2184
; TotalNumSgprs: 16
; NumVgprs: 48
; ScratchSize: 0
; MemoryBound: 0
; FloatMode: 240
; IeeeMode: 1
; LDSByteSize: 0 bytes/workgroup (compile time only)
; SGPRBlocks: 0
; VGPRBlocks: 2
; NumSGPRsForWavesPerEU: 16
; NumVGPRsForWavesPerEU: 48
; NamedBarCnt: 0
; Occupancy: 16
; WaveLimiterHint : 1
; COMPUTE_PGM_RSRC2:SCRATCH_EN: 0
; COMPUTE_PGM_RSRC2:USER_SGPR: 2
; COMPUTE_PGM_RSRC2:TRAP_HANDLER: 0
; COMPUTE_PGM_RSRC2:TGID_X_EN: 1
; COMPUTE_PGM_RSRC2:TGID_Y_EN: 0
; COMPUTE_PGM_RSRC2:TGID_Z_EN: 0
; COMPUTE_PGM_RSRC2:TIDIG_COMP_CNT: 0
	.section	.text._ZN9rocsparseL19gebsrmvn_4xn_kernelILj128ELj2ELj16E21rocsparse_complex_numIfEEEvi20rocsparse_direction_NS_24const_host_device_scalarIT2_EEPKiS8_PKS5_SA_S6_PS5_21rocsparse_index_base_b,"axG",@progbits,_ZN9rocsparseL19gebsrmvn_4xn_kernelILj128ELj2ELj16E21rocsparse_complex_numIfEEEvi20rocsparse_direction_NS_24const_host_device_scalarIT2_EEPKiS8_PKS5_SA_S6_PS5_21rocsparse_index_base_b,comdat
	.globl	_ZN9rocsparseL19gebsrmvn_4xn_kernelILj128ELj2ELj16E21rocsparse_complex_numIfEEEvi20rocsparse_direction_NS_24const_host_device_scalarIT2_EEPKiS8_PKS5_SA_S6_PS5_21rocsparse_index_base_b ; -- Begin function _ZN9rocsparseL19gebsrmvn_4xn_kernelILj128ELj2ELj16E21rocsparse_complex_numIfEEEvi20rocsparse_direction_NS_24const_host_device_scalarIT2_EEPKiS8_PKS5_SA_S6_PS5_21rocsparse_index_base_b
	.p2align	8
	.type	_ZN9rocsparseL19gebsrmvn_4xn_kernelILj128ELj2ELj16E21rocsparse_complex_numIfEEEvi20rocsparse_direction_NS_24const_host_device_scalarIT2_EEPKiS8_PKS5_SA_S6_PS5_21rocsparse_index_base_b,@function
_ZN9rocsparseL19gebsrmvn_4xn_kernelILj128ELj2ELj16E21rocsparse_complex_numIfEEEvi20rocsparse_direction_NS_24const_host_device_scalarIT2_EEPKiS8_PKS5_SA_S6_PS5_21rocsparse_index_base_b: ; @_ZN9rocsparseL19gebsrmvn_4xn_kernelILj128ELj2ELj16E21rocsparse_complex_numIfEEEvi20rocsparse_direction_NS_24const_host_device_scalarIT2_EEPKiS8_PKS5_SA_S6_PS5_21rocsparse_index_base_b
; %bb.0:
	s_clause 0x2
	s_load_b64 s[12:13], s[0:1], 0x40
	s_load_b64 s[2:3], s[0:1], 0x8
	;; [unrolled: 1-line block ×3, first 2 shown]
	v_mov_b32_e32 v1, 0
	s_add_nc_u64 s[6:7], s[0:1], 8
	s_add_nc_u64 s[8:9], s[0:1], 48
	s_wait_kmcnt 0x0
	s_bitcmp1_b32 s13, 0
	s_cselect_b32 s3, s7, s3
	s_cselect_b32 s2, s6, s2
	;; [unrolled: 1-line block ×4, first 2 shown]
	s_clause 0x1
	flat_load_b64 v[2:3], v1, s[2:3]
	flat_load_b64 v[4:5], v1, s[4:5]
	s_wait_loadcnt_dscnt 0x101
	v_cmp_eq_f32_e32 vcc_lo, 0, v2
	v_cmp_eq_f32_e64 s2, 0, v3
	s_wait_loadcnt_dscnt 0x0
	v_cmp_eq_f32_e64 s3, 1.0, v4
	v_cmp_eq_f32_e64 s4, 0, v5
	s_and_b32 s2, vcc_lo, s2
	s_and_b32 s3, s3, s4
	s_delay_alu instid0(SALU_CYCLE_1) | instskip(NEXT) | instid1(SALU_CYCLE_1)
	s_and_b32 s2, s2, s3
	s_xor_b32 s2, s2, -1
	s_delay_alu instid0(SALU_CYCLE_1)
	s_and_saveexec_b32 s3, s2
	s_cbranch_execz .LBB81_19
; %bb.1:
	s_load_b64 s[2:3], s[0:1], 0x0
	s_bfe_u32 s4, ttmp6, 0x4000c
	s_and_b32 s5, ttmp6, 15
	s_add_co_i32 s4, s4, 1
	s_getreg_b32 s6, hwreg(HW_REG_IB_STS2, 6, 4)
	s_mul_i32 s4, ttmp9, s4
	v_lshrrev_b32_e32 v1, 4, v0
	s_add_co_i32 s5, s5, s4
	s_cmp_eq_u32 s6, 0
	s_cselect_b32 s4, ttmp9, s5
	s_delay_alu instid0(VALU_DEP_1) | instid1(SALU_CYCLE_1)
	v_lshl_or_b32 v6, s4, 3, v1
	s_wait_kmcnt 0x0
	s_delay_alu instid0(VALU_DEP_1)
	v_cmp_gt_i32_e32 vcc_lo, s2, v6
	s_and_b32 exec_lo, exec_lo, vcc_lo
	s_cbranch_execz .LBB81_19
; %bb.2:
	s_load_b256 s[4:11], s[0:1], 0x10
	v_ashrrev_i32_e32 v7, 31, v6
	s_cmp_lg_u32 s3, 0
	s_wait_kmcnt 0x0
	s_delay_alu instid0(VALU_DEP_1)
	v_lshl_add_u64 v[8:9], v[6:7], 2, s[4:5]
	v_and_b32_e32 v7, 15, v0
	global_load_b64 v[8:9], v[8:9], off
	s_wait_loadcnt 0x0
	v_subrev_nc_u32_e32 v0, s12, v8
	v_subrev_nc_u32_e32 v16, s12, v9
	s_delay_alu instid0(VALU_DEP_2) | instskip(NEXT) | instid1(VALU_DEP_1)
	v_add_nc_u32_e32 v17, v0, v7
	v_cmp_lt_i32_e64 s2, v17, v16
	s_cbranch_scc0 .LBB81_8
; %bb.3:
	v_mov_b32_e32 v9, 0
	s_delay_alu instid0(VALU_DEP_1)
	v_dual_mov_b32 v8, v9 :: v_dual_mov_b32 v1, v9
	v_dual_mov_b32 v0, v9 :: v_dual_mov_b32 v11, v9
	;; [unrolled: 1-line block ×3, first 2 shown]
	v_mov_b32_e32 v12, v9
	s_and_saveexec_b32 s3, s2
	s_cbranch_execz .LBB81_7
; %bb.4:
	v_dual_mov_b32 v15, 0 :: v_dual_lshlrev_b32 v14, 3, v17
	v_mov_b32_e32 v18, v17
	s_mov_b32 s4, 0
	s_delay_alu instid0(VALU_DEP_2)
	v_dual_mov_b32 v12, v15 :: v_dual_mov_b32 v13, v15
	v_dual_mov_b32 v10, v15 :: v_dual_mov_b32 v11, v15
	;; [unrolled: 1-line block ×4, first 2 shown]
.LBB81_5:                               ; =>This Inner Loop Header: Depth=1
	global_load_b32 v19, v18, s[6:7] scale_offset
	v_lshl_add_u64 v[40:41], v[14:15], 3, s[8:9]
	s_clause 0x2
	global_load_b128 v[20:23], v[40:41], off offset:32
	global_load_b128 v[24:27], v[40:41], off offset:16
	global_load_b128 v[28:31], v[40:41], off
	s_wait_xcnt 0x3
	v_add_nc_u32_e32 v18, 16, v18
	v_add_nc_u32_e32 v14, 0x80, v14
	s_wait_loadcnt 0x3
	v_subrev_nc_u32_e32 v19, s12, v19
	s_delay_alu instid0(VALU_DEP_1) | instskip(SKIP_2) | instid1(VALU_DEP_2)
	v_dual_mov_b32 v33, v15 :: v_dual_lshlrev_b32 v32, 1, v19
	s_wait_loadcnt 0x1
	v_xor_b32_e32 v44, 0x80000000, v27
	v_lshl_add_u64 v[42:43], v[32:33], 3, s[10:11]
	global_load_b128 v[32:35], v[42:43], off
	global_load_b128 v[36:39], v[40:41], off offset:48
	s_wait_loadcnt 0x2
	s_wait_xcnt 0x0
	v_xor_b32_e32 v40, 0x80000000, v31
	v_dual_mov_b32 v41, v30 :: v_dual_mov_b32 v45, v26
	v_xor_b32_e32 v42, 0x80000000, v23
	v_mov_b32_e32 v43, v22
	v_cmp_ge_i32_e32 vcc_lo, v18, v16
	s_or_b32 s4, vcc_lo, s4
	s_wait_loadcnt 0x1
	v_pk_fma_f32 v[8:9], v[28:29], v[32:33], v[8:9] op_sel_hi:[1,0,1]
	v_pk_fma_f32 v[12:13], v[30:31], v[32:33], v[12:13] op_sel_hi:[1,0,1]
	;; [unrolled: 1-line block ×4, first 2 shown]
	s_wait_loadcnt 0x0
	v_mov_b32_e32 v47, v38
	v_pk_fma_f32 v[8:9], v[28:29], v[32:33], v[8:9] op_sel:[1,1,0] op_sel_hi:[0,1,1] neg_lo:[1,0,0]
	v_pk_fma_f32 v[12:13], v[40:41], v[32:33], v[12:13] op_sel:[0,1,0]
	v_pk_fma_f32 v[10:11], v[24:25], v[32:33], v[10:11] op_sel:[1,1,0] op_sel_hi:[0,1,1] neg_lo:[1,0,0]
	v_pk_fma_f32 v[0:1], v[44:45], v[32:33], v[0:1] op_sel:[0,1,0]
	v_xor_b32_e32 v46, 0x80000000, v39
	v_mov_b32_e32 v24, v35
	v_pk_fma_f32 v[8:9], v[20:21], v[34:35], v[8:9] op_sel_hi:[1,0,1]
	v_pk_fma_f32 v[12:13], v[22:23], v[34:35], v[12:13] op_sel_hi:[1,0,1]
	;; [unrolled: 1-line block ×4, first 2 shown]
	s_delay_alu instid0(VALU_DEP_4) | instskip(NEXT) | instid1(VALU_DEP_4)
	v_pk_fma_f32 v[8:9], v[20:21], v[24:25], v[8:9] op_sel:[1,0,0] op_sel_hi:[0,0,1] neg_lo:[1,0,0]
	v_pk_fma_f32 v[12:13], v[42:43], v[24:25], v[12:13] op_sel_hi:[1,0,1]
	s_delay_alu instid0(VALU_DEP_4) | instskip(NEXT) | instid1(VALU_DEP_4)
	v_pk_fma_f32 v[10:11], v[36:37], v[24:25], v[10:11] op_sel:[1,0,0] op_sel_hi:[0,0,1] neg_lo:[1,0,0]
	v_pk_fma_f32 v[0:1], v[46:47], v[24:25], v[0:1] op_sel_hi:[1,0,1]
	s_and_not1_b32 exec_lo, exec_lo, s4
	s_cbranch_execnz .LBB81_5
; %bb.6:
	s_or_b32 exec_lo, exec_lo, s4
.LBB81_7:
	s_delay_alu instid0(SALU_CYCLE_1)
	s_or_b32 exec_lo, exec_lo, s3
	s_cbranch_execz .LBB81_9
	s_branch .LBB81_14
.LBB81_8:
                                        ; implicit-def: $vgpr9
                                        ; implicit-def: $vgpr1
                                        ; implicit-def: $vgpr11
                                        ; implicit-def: $vgpr13
.LBB81_9:
	v_mov_b32_e32 v9, 0
	s_delay_alu instid0(VALU_DEP_1)
	v_dual_mov_b32 v8, v9 :: v_dual_mov_b32 v1, v9
	v_dual_mov_b32 v0, v9 :: v_dual_mov_b32 v11, v9
	;; [unrolled: 1-line block ×3, first 2 shown]
	v_mov_b32_e32 v12, v9
	s_and_saveexec_b32 s3, s2
	s_cbranch_execz .LBB81_13
; %bb.10:
	v_dual_mov_b32 v15, 0 :: v_dual_lshlrev_b32 v14, 3, v17
	s_mov_b32 s2, 0
	s_delay_alu instid0(VALU_DEP_1)
	v_dual_mov_b32 v12, v15 :: v_dual_mov_b32 v13, v15
	v_dual_mov_b32 v10, v15 :: v_dual_mov_b32 v11, v15
	;; [unrolled: 1-line block ×4, first 2 shown]
.LBB81_11:                              ; =>This Inner Loop Header: Depth=1
	global_load_b32 v22, v17, s[6:7] scale_offset
	v_lshl_add_u64 v[38:39], v[14:15], 3, s[8:9]
	global_load_b128 v[18:21], v[38:39], off offset:16
	s_wait_loadcnt 0x1
	v_subrev_nc_u32_e32 v26, s12, v22
	v_mov_b32_e32 v31, v15
	global_load_b128 v[22:25], v[38:39], off
	v_add_nc_u32_e32 v17, 16, v17
	v_add_nc_u32_e32 v14, 0x80, v14
	v_lshlrev_b32_e32 v30, 1, v26
	global_load_b128 v[26:29], v[38:39], off offset:32
	v_lshl_add_u64 v[40:41], v[30:31], 3, s[10:11]
	global_load_b128 v[30:33], v[38:39], off offset:48
	global_load_b128 v[34:37], v[40:41], off
	s_wait_loadcnt 0x4
	s_wait_xcnt 0x0
	v_xor_b32_e32 v40, 0x80000000, v21
	v_mov_b32_e32 v41, v20
	s_wait_loadcnt 0x3
	v_xor_b32_e32 v38, 0x80000000, v25
	v_mov_b32_e32 v39, v24
	v_cmp_ge_i32_e32 vcc_lo, v17, v16
	s_wait_loadcnt 0x2
	v_xor_b32_e32 v42, 0x80000000, v29
	v_mov_b32_e32 v43, v28
	s_or_b32 s2, vcc_lo, s2
	s_wait_loadcnt 0x1
	v_xor_b32_e32 v44, 0x80000000, v33
	s_wait_loadcnt 0x0
	v_pk_fma_f32 v[8:9], v[22:23], v[34:35], v[8:9] op_sel_hi:[1,0,1]
	v_pk_fma_f32 v[12:13], v[18:19], v[34:35], v[12:13] op_sel_hi:[1,0,1]
	;; [unrolled: 1-line block ×4, first 2 shown]
	v_mov_b32_e32 v45, v32
	v_pk_fma_f32 v[8:9], v[22:23], v[34:35], v[8:9] op_sel:[1,1,0] op_sel_hi:[0,1,1] neg_lo:[1,0,0]
	v_pk_fma_f32 v[12:13], v[18:19], v[34:35], v[12:13] op_sel:[1,1,0] op_sel_hi:[0,1,1] neg_lo:[1,0,0]
	;; [unrolled: 1-line block ×4, first 2 shown]
	v_mov_b32_e32 v18, v37
	v_pk_fma_f32 v[8:9], v[24:25], v[36:37], v[8:9] op_sel_hi:[1,0,1]
	v_pk_fma_f32 v[12:13], v[20:21], v[36:37], v[12:13] op_sel_hi:[1,0,1]
	v_pk_fma_f32 v[10:11], v[28:29], v[36:37], v[10:11] op_sel_hi:[1,0,1]
	v_pk_fma_f32 v[0:1], v[32:33], v[36:37], v[0:1] op_sel_hi:[1,0,1]
	s_delay_alu instid0(VALU_DEP_4) | instskip(NEXT) | instid1(VALU_DEP_4)
	v_pk_fma_f32 v[8:9], v[38:39], v[18:19], v[8:9] op_sel_hi:[1,0,1]
	v_pk_fma_f32 v[12:13], v[40:41], v[18:19], v[12:13] op_sel_hi:[1,0,1]
	s_delay_alu instid0(VALU_DEP_4) | instskip(NEXT) | instid1(VALU_DEP_4)
	v_pk_fma_f32 v[10:11], v[42:43], v[18:19], v[10:11] op_sel_hi:[1,0,1]
	v_pk_fma_f32 v[0:1], v[44:45], v[18:19], v[0:1] op_sel_hi:[1,0,1]
	s_and_not1_b32 exec_lo, exec_lo, s2
	s_cbranch_execnz .LBB81_11
; %bb.12:
	s_or_b32 exec_lo, exec_lo, s2
.LBB81_13:
	s_delay_alu instid0(SALU_CYCLE_1)
	s_or_b32 exec_lo, exec_lo, s3
.LBB81_14:
	v_mbcnt_lo_u32_b32 v14, -1, 0
	s_delay_alu instid0(VALU_DEP_1) | instskip(SKIP_1) | instid1(VALU_DEP_1)
	v_xor_b32_e32 v23, 4, v14
	v_xor_b32_e32 v15, 8, v14
	v_cmp_gt_i32_e32 vcc_lo, 32, v15
	v_cndmask_b32_e32 v15, v14, v15, vcc_lo
	s_delay_alu instid0(VALU_DEP_1)
	v_lshlrev_b32_e32 v15, 2, v15
	ds_bpermute_b32 v17, v15, v9
	s_wait_dscnt 0x0
	v_add_f32_e32 v9, v9, v17
	ds_bpermute_b32 v19, v15, v13
	ds_bpermute_b32 v16, v15, v8
	;; [unrolled: 1-line block ×7, first 2 shown]
	s_wait_dscnt 0x6
	v_add_f32_e32 v13, v13, v19
	v_cmp_gt_i32_e32 vcc_lo, 32, v23
	s_wait_dscnt 0x5
	v_add_f32_e32 v8, v8, v16
	s_wait_dscnt 0x2
	v_dual_add_f32 v10, v10, v20 :: v_dual_add_f32 v11, v11, v21
	s_wait_dscnt 0x0
	v_dual_add_f32 v0, v0, v22 :: v_dual_add_f32 v1, v1, v15
	v_dual_cndmask_b32 v23, v14, v23 :: v_dual_add_f32 v12, v12, v18
	s_delay_alu instid0(VALU_DEP_1)
	v_lshlrev_b32_e32 v23, 2, v23
	ds_bpermute_b32 v15, v23, v8
	ds_bpermute_b32 v16, v23, v9
	;; [unrolled: 1-line block ×8, first 2 shown]
	s_wait_dscnt 0x7
	v_dual_add_f32 v8, v8, v15 :: v_dual_bitop2_b32 v23, 2, v14 bitop3:0x14
	s_delay_alu instid0(VALU_DEP_1)
	v_cmp_gt_i32_e32 vcc_lo, 32, v23
	s_wait_dscnt 0x6
	v_add_f32_e32 v9, v9, v16
	s_wait_dscnt 0x3
	v_dual_add_f32 v13, v13, v18 :: v_dual_add_f32 v15, v10, v19
	s_wait_dscnt 0x2
	v_dual_add_f32 v16, v11, v20 :: v_dual_cndmask_b32 v23, v14, v23
	v_add_f32_e32 v12, v12, v17
	s_wait_dscnt 0x0
	v_dual_add_f32 v17, v0, v21 :: v_dual_add_f32 v18, v1, v22
	s_delay_alu instid0(VALU_DEP_3)
	v_lshlrev_b32_e32 v23, 2, v23
	ds_bpermute_b32 v0, v23, v8
	ds_bpermute_b32 v1, v23, v9
	;; [unrolled: 1-line block ×8, first 2 shown]
	s_wait_dscnt 0x7
	v_dual_add_f32 v0, v8, v0 :: v_dual_bitop2_b32 v23, 1, v14 bitop3:0x14
	s_delay_alu instid0(VALU_DEP_1)
	v_cmp_gt_i32_e32 vcc_lo, 32, v23
	s_wait_dscnt 0x4
	v_dual_add_f32 v10, v12, v10 :: v_dual_add_f32 v11, v13, v11
	s_wait_dscnt 0x2
	v_dual_add_f32 v12, v15, v19 :: v_dual_add_f32 v13, v16, v20
	v_dual_cndmask_b32 v14, v14, v23, vcc_lo :: v_dual_add_f32 v8, v9, v1
	s_wait_dscnt 0x0
	v_dual_add_f32 v1, v17, v21 :: v_dual_add_f32 v9, v18, v22
	v_cmp_eq_u32_e32 vcc_lo, 15, v7
	s_delay_alu instid0(VALU_DEP_3)
	v_lshlrev_b32_e32 v23, 2, v14
	ds_bpermute_b32 v16, v23, v0
	ds_bpermute_b32 v17, v23, v8
	;; [unrolled: 1-line block ×8, first 2 shown]
	s_and_b32 exec_lo, exec_lo, vcc_lo
	s_cbranch_execz .LBB81_19
; %bb.15:
	s_load_b64 s[2:3], s[0:1], 0x38
	v_cmp_eq_f32_e32 vcc_lo, 0, v4
	s_wait_xcnt 0x0
	v_cmp_eq_f32_e64 s0, 0, v5
	s_wait_dscnt 0x7
	v_add_f32_e32 v0, v0, v16
	s_wait_dscnt 0x5
	v_dual_add_f32 v20, v8, v17 :: v_dual_add_f32 v8, v10, v18
	s_wait_dscnt 0x3
	v_dual_add_f32 v18, v11, v19 :: v_dual_add_f32 v10, v12, v21
	s_wait_dscnt 0x2
	v_add_f32_e32 v16, v13, v22
	s_wait_dscnt 0x1
	v_add_f32_e32 v12, v1, v14
	;; [unrolled: 2-line block ×3, first 2 shown]
	s_and_b32 s0, vcc_lo, s0
	s_delay_alu instid0(SALU_CYCLE_1) | instskip(NEXT) | instid1(SALU_CYCLE_1)
	s_and_saveexec_b32 s1, s0
	s_xor_b32 s0, exec_lo, s1
	s_cbranch_execz .LBB81_17
; %bb.16:
	v_xor_b32_e32 v4, 0x80000000, v3
	v_dual_mov_b32 v5, v2 :: v_dual_lshlrev_b32 v6, 2, v6
	s_delay_alu instid0(VALU_DEP_1) | instskip(NEXT) | instid1(VALU_DEP_2)
	v_ashrrev_i32_e32 v7, 31, v6
	v_pk_mul_f32 v[20:21], v[20:21], v[4:5] op_sel_hi:[0,1]
	v_pk_mul_f32 v[18:19], v[18:19], v[4:5] op_sel_hi:[0,1]
	;; [unrolled: 1-line block ×4, first 2 shown]
	s_wait_kmcnt 0x0
	v_lshl_add_u64 v[22:23], v[6:7], 3, s[2:3]
	v_pk_fma_f32 v[4:5], v[2:3], v[0:1], v[20:21] op_sel_hi:[1,0,1]
	v_pk_fma_f32 v[6:7], v[2:3], v[8:9], v[18:19] op_sel_hi:[1,0,1]
	;; [unrolled: 1-line block ×4, first 2 shown]
	s_clause 0x1
	global_store_b128 v[22:23], v[4:7], off
	global_store_b128 v[22:23], v[0:3], off offset:16
                                        ; implicit-def: $vgpr6
                                        ; implicit-def: $vgpr0
                                        ; implicit-def: $vgpr20
                                        ; implicit-def: $vgpr8
                                        ; implicit-def: $vgpr18
                                        ; implicit-def: $vgpr10
                                        ; implicit-def: $vgpr16
                                        ; implicit-def: $vgpr12
                                        ; implicit-def: $vgpr14
                                        ; implicit-def: $vgpr2_vgpr3
                                        ; implicit-def: $vgpr4_vgpr5
.LBB81_17:
	s_wait_xcnt 0x0
	s_and_not1_saveexec_b32 s0, s0
	s_cbranch_execz .LBB81_19
; %bb.18:
	v_lshlrev_b32_e32 v6, 2, v6
	v_xor_b32_e32 v32, 0x80000000, v5
	s_delay_alu instid0(VALU_DEP_2) | instskip(SKIP_1) | instid1(VALU_DEP_1)
	v_dual_mov_b32 v33, v4 :: v_dual_ashrrev_i32 v7, 31, v6
	s_wait_kmcnt 0x0
	v_lshl_add_u64 v[30:31], v[6:7], 3, s[2:3]
	v_xor_b32_e32 v6, 0x80000000, v3
	v_mov_b32_e32 v7, v2
	s_clause 0x1
	global_load_b128 v[22:25], v[30:31], off
	global_load_b128 v[26:29], v[30:31], off offset:16
	v_pk_mul_f32 v[20:21], v[20:21], v[6:7] op_sel_hi:[0,1]
	v_pk_mul_f32 v[18:19], v[18:19], v[6:7] op_sel_hi:[0,1]
	;; [unrolled: 1-line block ×4, first 2 shown]
	s_delay_alu instid0(VALU_DEP_4) | instskip(NEXT) | instid1(VALU_DEP_4)
	v_pk_fma_f32 v[0:1], v[2:3], v[0:1], v[20:21] op_sel_hi:[1,0,1]
	v_pk_fma_f32 v[8:9], v[2:3], v[8:9], v[18:19] op_sel_hi:[1,0,1]
	s_delay_alu instid0(VALU_DEP_4) | instskip(NEXT) | instid1(VALU_DEP_4)
	v_pk_fma_f32 v[10:11], v[2:3], v[10:11], v[16:17] op_sel_hi:[1,0,1]
	v_pk_fma_f32 v[2:3], v[2:3], v[12:13], v[6:7] op_sel_hi:[1,0,1]
	s_wait_loadcnt 0x1
	v_pk_fma_f32 v[0:1], v[4:5], v[22:23], v[0:1] op_sel_hi:[1,0,1]
	v_pk_fma_f32 v[6:7], v[4:5], v[24:25], v[8:9] op_sel_hi:[1,0,1]
	s_wait_loadcnt 0x0
	v_dual_mov_b32 v8, v25 :: v_dual_mov_b32 v14, v29
	v_pk_fma_f32 v[10:11], v[4:5], v[26:27], v[10:11] op_sel_hi:[1,0,1]
	v_pk_fma_f32 v[12:13], v[4:5], v[28:29], v[2:3] op_sel_hi:[1,0,1]
	v_pk_fma_f32 v[0:1], v[32:33], v[22:23], v[0:1] op_sel:[0,1,0]
	s_delay_alu instid0(VALU_DEP_4) | instskip(NEXT) | instid1(VALU_DEP_4)
	v_pk_fma_f32 v[2:3], v[32:33], v[8:9], v[6:7] op_sel_hi:[1,0,1]
	v_pk_fma_f32 v[4:5], v[32:33], v[26:27], v[10:11] op_sel:[0,1,0]
	s_delay_alu instid0(VALU_DEP_4)
	v_pk_fma_f32 v[6:7], v[32:33], v[14:15], v[12:13] op_sel_hi:[1,0,1]
	s_clause 0x1
	global_store_b128 v[30:31], v[0:3], off
	global_store_b128 v[30:31], v[4:7], off offset:16
.LBB81_19:
	s_endpgm
	.section	.rodata,"a",@progbits
	.p2align	6, 0x0
	.amdhsa_kernel _ZN9rocsparseL19gebsrmvn_4xn_kernelILj128ELj2ELj16E21rocsparse_complex_numIfEEEvi20rocsparse_direction_NS_24const_host_device_scalarIT2_EEPKiS8_PKS5_SA_S6_PS5_21rocsparse_index_base_b
		.amdhsa_group_segment_fixed_size 0
		.amdhsa_private_segment_fixed_size 0
		.amdhsa_kernarg_size 72
		.amdhsa_user_sgpr_count 2
		.amdhsa_user_sgpr_dispatch_ptr 0
		.amdhsa_user_sgpr_queue_ptr 0
		.amdhsa_user_sgpr_kernarg_segment_ptr 1
		.amdhsa_user_sgpr_dispatch_id 0
		.amdhsa_user_sgpr_kernarg_preload_length 0
		.amdhsa_user_sgpr_kernarg_preload_offset 0
		.amdhsa_user_sgpr_private_segment_size 0
		.amdhsa_wavefront_size32 1
		.amdhsa_uses_dynamic_stack 0
		.amdhsa_enable_private_segment 0
		.amdhsa_system_sgpr_workgroup_id_x 1
		.amdhsa_system_sgpr_workgroup_id_y 0
		.amdhsa_system_sgpr_workgroup_id_z 0
		.amdhsa_system_sgpr_workgroup_info 0
		.amdhsa_system_vgpr_workitem_id 0
		.amdhsa_next_free_vgpr 48
		.amdhsa_next_free_sgpr 14
		.amdhsa_named_barrier_count 0
		.amdhsa_reserve_vcc 1
		.amdhsa_float_round_mode_32 0
		.amdhsa_float_round_mode_16_64 0
		.amdhsa_float_denorm_mode_32 3
		.amdhsa_float_denorm_mode_16_64 3
		.amdhsa_fp16_overflow 0
		.amdhsa_memory_ordered 1
		.amdhsa_forward_progress 1
		.amdhsa_inst_pref_size 18
		.amdhsa_round_robin_scheduling 0
		.amdhsa_exception_fp_ieee_invalid_op 0
		.amdhsa_exception_fp_denorm_src 0
		.amdhsa_exception_fp_ieee_div_zero 0
		.amdhsa_exception_fp_ieee_overflow 0
		.amdhsa_exception_fp_ieee_underflow 0
		.amdhsa_exception_fp_ieee_inexact 0
		.amdhsa_exception_int_div_zero 0
	.end_amdhsa_kernel
	.section	.text._ZN9rocsparseL19gebsrmvn_4xn_kernelILj128ELj2ELj16E21rocsparse_complex_numIfEEEvi20rocsparse_direction_NS_24const_host_device_scalarIT2_EEPKiS8_PKS5_SA_S6_PS5_21rocsparse_index_base_b,"axG",@progbits,_ZN9rocsparseL19gebsrmvn_4xn_kernelILj128ELj2ELj16E21rocsparse_complex_numIfEEEvi20rocsparse_direction_NS_24const_host_device_scalarIT2_EEPKiS8_PKS5_SA_S6_PS5_21rocsparse_index_base_b,comdat
.Lfunc_end81:
	.size	_ZN9rocsparseL19gebsrmvn_4xn_kernelILj128ELj2ELj16E21rocsparse_complex_numIfEEEvi20rocsparse_direction_NS_24const_host_device_scalarIT2_EEPKiS8_PKS5_SA_S6_PS5_21rocsparse_index_base_b, .Lfunc_end81-_ZN9rocsparseL19gebsrmvn_4xn_kernelILj128ELj2ELj16E21rocsparse_complex_numIfEEEvi20rocsparse_direction_NS_24const_host_device_scalarIT2_EEPKiS8_PKS5_SA_S6_PS5_21rocsparse_index_base_b
                                        ; -- End function
	.set _ZN9rocsparseL19gebsrmvn_4xn_kernelILj128ELj2ELj16E21rocsparse_complex_numIfEEEvi20rocsparse_direction_NS_24const_host_device_scalarIT2_EEPKiS8_PKS5_SA_S6_PS5_21rocsparse_index_base_b.num_vgpr, 48
	.set _ZN9rocsparseL19gebsrmvn_4xn_kernelILj128ELj2ELj16E21rocsparse_complex_numIfEEEvi20rocsparse_direction_NS_24const_host_device_scalarIT2_EEPKiS8_PKS5_SA_S6_PS5_21rocsparse_index_base_b.num_agpr, 0
	.set _ZN9rocsparseL19gebsrmvn_4xn_kernelILj128ELj2ELj16E21rocsparse_complex_numIfEEEvi20rocsparse_direction_NS_24const_host_device_scalarIT2_EEPKiS8_PKS5_SA_S6_PS5_21rocsparse_index_base_b.numbered_sgpr, 14
	.set _ZN9rocsparseL19gebsrmvn_4xn_kernelILj128ELj2ELj16E21rocsparse_complex_numIfEEEvi20rocsparse_direction_NS_24const_host_device_scalarIT2_EEPKiS8_PKS5_SA_S6_PS5_21rocsparse_index_base_b.num_named_barrier, 0
	.set _ZN9rocsparseL19gebsrmvn_4xn_kernelILj128ELj2ELj16E21rocsparse_complex_numIfEEEvi20rocsparse_direction_NS_24const_host_device_scalarIT2_EEPKiS8_PKS5_SA_S6_PS5_21rocsparse_index_base_b.private_seg_size, 0
	.set _ZN9rocsparseL19gebsrmvn_4xn_kernelILj128ELj2ELj16E21rocsparse_complex_numIfEEEvi20rocsparse_direction_NS_24const_host_device_scalarIT2_EEPKiS8_PKS5_SA_S6_PS5_21rocsparse_index_base_b.uses_vcc, 1
	.set _ZN9rocsparseL19gebsrmvn_4xn_kernelILj128ELj2ELj16E21rocsparse_complex_numIfEEEvi20rocsparse_direction_NS_24const_host_device_scalarIT2_EEPKiS8_PKS5_SA_S6_PS5_21rocsparse_index_base_b.uses_flat_scratch, 1
	.set _ZN9rocsparseL19gebsrmvn_4xn_kernelILj128ELj2ELj16E21rocsparse_complex_numIfEEEvi20rocsparse_direction_NS_24const_host_device_scalarIT2_EEPKiS8_PKS5_SA_S6_PS5_21rocsparse_index_base_b.has_dyn_sized_stack, 0
	.set _ZN9rocsparseL19gebsrmvn_4xn_kernelILj128ELj2ELj16E21rocsparse_complex_numIfEEEvi20rocsparse_direction_NS_24const_host_device_scalarIT2_EEPKiS8_PKS5_SA_S6_PS5_21rocsparse_index_base_b.has_recursion, 0
	.set _ZN9rocsparseL19gebsrmvn_4xn_kernelILj128ELj2ELj16E21rocsparse_complex_numIfEEEvi20rocsparse_direction_NS_24const_host_device_scalarIT2_EEPKiS8_PKS5_SA_S6_PS5_21rocsparse_index_base_b.has_indirect_call, 0
	.section	.AMDGPU.csdata,"",@progbits
; Kernel info:
; codeLenInByte = 2304
; TotalNumSgprs: 16
; NumVgprs: 48
; ScratchSize: 0
; MemoryBound: 0
; FloatMode: 240
; IeeeMode: 1
; LDSByteSize: 0 bytes/workgroup (compile time only)
; SGPRBlocks: 0
; VGPRBlocks: 2
; NumSGPRsForWavesPerEU: 16
; NumVGPRsForWavesPerEU: 48
; NamedBarCnt: 0
; Occupancy: 16
; WaveLimiterHint : 1
; COMPUTE_PGM_RSRC2:SCRATCH_EN: 0
; COMPUTE_PGM_RSRC2:USER_SGPR: 2
; COMPUTE_PGM_RSRC2:TRAP_HANDLER: 0
; COMPUTE_PGM_RSRC2:TGID_X_EN: 1
; COMPUTE_PGM_RSRC2:TGID_Y_EN: 0
; COMPUTE_PGM_RSRC2:TGID_Z_EN: 0
; COMPUTE_PGM_RSRC2:TIDIG_COMP_CNT: 0
	.section	.text._ZN9rocsparseL19gebsrmvn_4xn_kernelILj128ELj2ELj32E21rocsparse_complex_numIfEEEvi20rocsparse_direction_NS_24const_host_device_scalarIT2_EEPKiS8_PKS5_SA_S6_PS5_21rocsparse_index_base_b,"axG",@progbits,_ZN9rocsparseL19gebsrmvn_4xn_kernelILj128ELj2ELj32E21rocsparse_complex_numIfEEEvi20rocsparse_direction_NS_24const_host_device_scalarIT2_EEPKiS8_PKS5_SA_S6_PS5_21rocsparse_index_base_b,comdat
	.globl	_ZN9rocsparseL19gebsrmvn_4xn_kernelILj128ELj2ELj32E21rocsparse_complex_numIfEEEvi20rocsparse_direction_NS_24const_host_device_scalarIT2_EEPKiS8_PKS5_SA_S6_PS5_21rocsparse_index_base_b ; -- Begin function _ZN9rocsparseL19gebsrmvn_4xn_kernelILj128ELj2ELj32E21rocsparse_complex_numIfEEEvi20rocsparse_direction_NS_24const_host_device_scalarIT2_EEPKiS8_PKS5_SA_S6_PS5_21rocsparse_index_base_b
	.p2align	8
	.type	_ZN9rocsparseL19gebsrmvn_4xn_kernelILj128ELj2ELj32E21rocsparse_complex_numIfEEEvi20rocsparse_direction_NS_24const_host_device_scalarIT2_EEPKiS8_PKS5_SA_S6_PS5_21rocsparse_index_base_b,@function
_ZN9rocsparseL19gebsrmvn_4xn_kernelILj128ELj2ELj32E21rocsparse_complex_numIfEEEvi20rocsparse_direction_NS_24const_host_device_scalarIT2_EEPKiS8_PKS5_SA_S6_PS5_21rocsparse_index_base_b: ; @_ZN9rocsparseL19gebsrmvn_4xn_kernelILj128ELj2ELj32E21rocsparse_complex_numIfEEEvi20rocsparse_direction_NS_24const_host_device_scalarIT2_EEPKiS8_PKS5_SA_S6_PS5_21rocsparse_index_base_b
; %bb.0:
	s_clause 0x2
	s_load_b64 s[12:13], s[0:1], 0x40
	s_load_b64 s[2:3], s[0:1], 0x8
	;; [unrolled: 1-line block ×3, first 2 shown]
	v_mov_b32_e32 v1, 0
	s_add_nc_u64 s[6:7], s[0:1], 8
	s_add_nc_u64 s[8:9], s[0:1], 48
	s_wait_kmcnt 0x0
	s_bitcmp1_b32 s13, 0
	s_cselect_b32 s3, s7, s3
	s_cselect_b32 s2, s6, s2
	;; [unrolled: 1-line block ×4, first 2 shown]
	s_clause 0x1
	flat_load_b64 v[2:3], v1, s[2:3]
	flat_load_b64 v[4:5], v1, s[4:5]
	s_wait_loadcnt_dscnt 0x101
	v_cmp_eq_f32_e32 vcc_lo, 0, v2
	v_cmp_eq_f32_e64 s2, 0, v3
	s_wait_loadcnt_dscnt 0x0
	v_cmp_eq_f32_e64 s3, 1.0, v4
	v_cmp_eq_f32_e64 s4, 0, v5
	s_and_b32 s2, vcc_lo, s2
	s_and_b32 s3, s3, s4
	s_delay_alu instid0(SALU_CYCLE_1) | instskip(NEXT) | instid1(SALU_CYCLE_1)
	s_and_b32 s2, s2, s3
	s_xor_b32 s2, s2, -1
	s_delay_alu instid0(SALU_CYCLE_1)
	s_and_saveexec_b32 s3, s2
	s_cbranch_execz .LBB82_19
; %bb.1:
	s_load_b64 s[2:3], s[0:1], 0x0
	s_bfe_u32 s4, ttmp6, 0x4000c
	s_and_b32 s5, ttmp6, 15
	s_add_co_i32 s4, s4, 1
	s_getreg_b32 s6, hwreg(HW_REG_IB_STS2, 6, 4)
	s_mul_i32 s4, ttmp9, s4
	v_lshrrev_b32_e32 v1, 5, v0
	s_add_co_i32 s5, s5, s4
	s_cmp_eq_u32 s6, 0
	s_cselect_b32 s4, ttmp9, s5
	s_delay_alu instid0(VALU_DEP_1) | instid1(SALU_CYCLE_1)
	v_lshl_or_b32 v6, s4, 2, v1
	s_wait_kmcnt 0x0
	s_delay_alu instid0(VALU_DEP_1)
	v_cmp_gt_i32_e32 vcc_lo, s2, v6
	s_and_b32 exec_lo, exec_lo, vcc_lo
	s_cbranch_execz .LBB82_19
; %bb.2:
	s_load_b256 s[4:11], s[0:1], 0x10
	v_ashrrev_i32_e32 v7, 31, v6
	s_cmp_lg_u32 s3, 0
	s_wait_kmcnt 0x0
	s_delay_alu instid0(VALU_DEP_1)
	v_lshl_add_u64 v[8:9], v[6:7], 2, s[4:5]
	v_and_b32_e32 v7, 31, v0
	global_load_b64 v[8:9], v[8:9], off
	s_wait_loadcnt 0x0
	v_subrev_nc_u32_e32 v0, s12, v8
	v_subrev_nc_u32_e32 v16, s12, v9
	s_delay_alu instid0(VALU_DEP_2) | instskip(NEXT) | instid1(VALU_DEP_1)
	v_add_nc_u32_e32 v17, v0, v7
	v_cmp_lt_i32_e64 s2, v17, v16
	s_cbranch_scc0 .LBB82_8
; %bb.3:
	v_mov_b32_e32 v9, 0
	s_delay_alu instid0(VALU_DEP_1)
	v_dual_mov_b32 v8, v9 :: v_dual_mov_b32 v1, v9
	v_dual_mov_b32 v0, v9 :: v_dual_mov_b32 v11, v9
	;; [unrolled: 1-line block ×3, first 2 shown]
	v_mov_b32_e32 v12, v9
	s_and_saveexec_b32 s3, s2
	s_cbranch_execz .LBB82_7
; %bb.4:
	v_dual_mov_b32 v15, 0 :: v_dual_lshlrev_b32 v14, 3, v17
	v_mov_b32_e32 v18, v17
	s_mov_b32 s4, 0
	s_delay_alu instid0(VALU_DEP_2)
	v_dual_mov_b32 v12, v15 :: v_dual_mov_b32 v13, v15
	v_dual_mov_b32 v10, v15 :: v_dual_mov_b32 v11, v15
	;; [unrolled: 1-line block ×4, first 2 shown]
.LBB82_5:                               ; =>This Inner Loop Header: Depth=1
	global_load_b32 v19, v18, s[6:7] scale_offset
	v_lshl_add_u64 v[40:41], v[14:15], 3, s[8:9]
	s_clause 0x2
	global_load_b128 v[20:23], v[40:41], off offset:32
	global_load_b128 v[24:27], v[40:41], off offset:16
	global_load_b128 v[28:31], v[40:41], off
	s_wait_xcnt 0x3
	v_add_nc_u32_e32 v18, 32, v18
	v_add_nc_u32_e32 v14, 0x100, v14
	s_wait_loadcnt 0x3
	v_subrev_nc_u32_e32 v19, s12, v19
	s_delay_alu instid0(VALU_DEP_1) | instskip(SKIP_2) | instid1(VALU_DEP_2)
	v_dual_mov_b32 v33, v15 :: v_dual_lshlrev_b32 v32, 1, v19
	s_wait_loadcnt 0x1
	v_xor_b32_e32 v44, 0x80000000, v27
	v_lshl_add_u64 v[42:43], v[32:33], 3, s[10:11]
	global_load_b128 v[32:35], v[42:43], off
	global_load_b128 v[36:39], v[40:41], off offset:48
	s_wait_loadcnt 0x2
	s_wait_xcnt 0x0
	v_xor_b32_e32 v40, 0x80000000, v31
	v_dual_mov_b32 v41, v30 :: v_dual_mov_b32 v45, v26
	v_xor_b32_e32 v42, 0x80000000, v23
	v_mov_b32_e32 v43, v22
	v_cmp_ge_i32_e32 vcc_lo, v18, v16
	s_or_b32 s4, vcc_lo, s4
	s_wait_loadcnt 0x1
	v_pk_fma_f32 v[8:9], v[28:29], v[32:33], v[8:9] op_sel_hi:[1,0,1]
	v_pk_fma_f32 v[12:13], v[30:31], v[32:33], v[12:13] op_sel_hi:[1,0,1]
	;; [unrolled: 1-line block ×4, first 2 shown]
	s_wait_loadcnt 0x0
	v_mov_b32_e32 v47, v38
	v_pk_fma_f32 v[8:9], v[28:29], v[32:33], v[8:9] op_sel:[1,1,0] op_sel_hi:[0,1,1] neg_lo:[1,0,0]
	v_pk_fma_f32 v[12:13], v[40:41], v[32:33], v[12:13] op_sel:[0,1,0]
	v_pk_fma_f32 v[10:11], v[24:25], v[32:33], v[10:11] op_sel:[1,1,0] op_sel_hi:[0,1,1] neg_lo:[1,0,0]
	v_pk_fma_f32 v[0:1], v[44:45], v[32:33], v[0:1] op_sel:[0,1,0]
	v_xor_b32_e32 v46, 0x80000000, v39
	v_mov_b32_e32 v24, v35
	v_pk_fma_f32 v[8:9], v[20:21], v[34:35], v[8:9] op_sel_hi:[1,0,1]
	v_pk_fma_f32 v[12:13], v[22:23], v[34:35], v[12:13] op_sel_hi:[1,0,1]
	;; [unrolled: 1-line block ×4, first 2 shown]
	s_delay_alu instid0(VALU_DEP_4) | instskip(NEXT) | instid1(VALU_DEP_4)
	v_pk_fma_f32 v[8:9], v[20:21], v[24:25], v[8:9] op_sel:[1,0,0] op_sel_hi:[0,0,1] neg_lo:[1,0,0]
	v_pk_fma_f32 v[12:13], v[42:43], v[24:25], v[12:13] op_sel_hi:[1,0,1]
	s_delay_alu instid0(VALU_DEP_4) | instskip(NEXT) | instid1(VALU_DEP_4)
	v_pk_fma_f32 v[10:11], v[36:37], v[24:25], v[10:11] op_sel:[1,0,0] op_sel_hi:[0,0,1] neg_lo:[1,0,0]
	v_pk_fma_f32 v[0:1], v[46:47], v[24:25], v[0:1] op_sel_hi:[1,0,1]
	s_and_not1_b32 exec_lo, exec_lo, s4
	s_cbranch_execnz .LBB82_5
; %bb.6:
	s_or_b32 exec_lo, exec_lo, s4
.LBB82_7:
	s_delay_alu instid0(SALU_CYCLE_1)
	s_or_b32 exec_lo, exec_lo, s3
	s_cbranch_execz .LBB82_9
	s_branch .LBB82_14
.LBB82_8:
                                        ; implicit-def: $vgpr9
                                        ; implicit-def: $vgpr1
                                        ; implicit-def: $vgpr11
                                        ; implicit-def: $vgpr13
.LBB82_9:
	v_mov_b32_e32 v9, 0
	s_delay_alu instid0(VALU_DEP_1)
	v_dual_mov_b32 v8, v9 :: v_dual_mov_b32 v1, v9
	v_dual_mov_b32 v0, v9 :: v_dual_mov_b32 v11, v9
	;; [unrolled: 1-line block ×3, first 2 shown]
	v_mov_b32_e32 v12, v9
	s_and_saveexec_b32 s3, s2
	s_cbranch_execz .LBB82_13
; %bb.10:
	v_dual_mov_b32 v15, 0 :: v_dual_lshlrev_b32 v14, 3, v17
	s_mov_b32 s2, 0
	s_delay_alu instid0(VALU_DEP_1)
	v_dual_mov_b32 v12, v15 :: v_dual_mov_b32 v13, v15
	v_dual_mov_b32 v10, v15 :: v_dual_mov_b32 v11, v15
	;; [unrolled: 1-line block ×4, first 2 shown]
.LBB82_11:                              ; =>This Inner Loop Header: Depth=1
	global_load_b32 v22, v17, s[6:7] scale_offset
	v_lshl_add_u64 v[38:39], v[14:15], 3, s[8:9]
	global_load_b128 v[18:21], v[38:39], off offset:16
	s_wait_loadcnt 0x1
	v_subrev_nc_u32_e32 v26, s12, v22
	v_mov_b32_e32 v31, v15
	global_load_b128 v[22:25], v[38:39], off
	v_add_nc_u32_e32 v17, 32, v17
	v_add_nc_u32_e32 v14, 0x100, v14
	v_lshlrev_b32_e32 v30, 1, v26
	global_load_b128 v[26:29], v[38:39], off offset:32
	v_lshl_add_u64 v[40:41], v[30:31], 3, s[10:11]
	global_load_b128 v[30:33], v[38:39], off offset:48
	global_load_b128 v[34:37], v[40:41], off
	s_wait_loadcnt 0x4
	s_wait_xcnt 0x0
	v_xor_b32_e32 v40, 0x80000000, v21
	v_mov_b32_e32 v41, v20
	s_wait_loadcnt 0x3
	v_xor_b32_e32 v38, 0x80000000, v25
	v_mov_b32_e32 v39, v24
	v_cmp_ge_i32_e32 vcc_lo, v17, v16
	s_wait_loadcnt 0x2
	v_xor_b32_e32 v42, 0x80000000, v29
	v_mov_b32_e32 v43, v28
	s_or_b32 s2, vcc_lo, s2
	s_wait_loadcnt 0x1
	v_xor_b32_e32 v44, 0x80000000, v33
	s_wait_loadcnt 0x0
	v_pk_fma_f32 v[8:9], v[22:23], v[34:35], v[8:9] op_sel_hi:[1,0,1]
	v_pk_fma_f32 v[12:13], v[18:19], v[34:35], v[12:13] op_sel_hi:[1,0,1]
	;; [unrolled: 1-line block ×4, first 2 shown]
	v_mov_b32_e32 v45, v32
	v_pk_fma_f32 v[8:9], v[22:23], v[34:35], v[8:9] op_sel:[1,1,0] op_sel_hi:[0,1,1] neg_lo:[1,0,0]
	v_pk_fma_f32 v[12:13], v[18:19], v[34:35], v[12:13] op_sel:[1,1,0] op_sel_hi:[0,1,1] neg_lo:[1,0,0]
	;; [unrolled: 1-line block ×4, first 2 shown]
	v_mov_b32_e32 v18, v37
	v_pk_fma_f32 v[8:9], v[24:25], v[36:37], v[8:9] op_sel_hi:[1,0,1]
	v_pk_fma_f32 v[12:13], v[20:21], v[36:37], v[12:13] op_sel_hi:[1,0,1]
	;; [unrolled: 1-line block ×4, first 2 shown]
	s_delay_alu instid0(VALU_DEP_4) | instskip(NEXT) | instid1(VALU_DEP_4)
	v_pk_fma_f32 v[8:9], v[38:39], v[18:19], v[8:9] op_sel_hi:[1,0,1]
	v_pk_fma_f32 v[12:13], v[40:41], v[18:19], v[12:13] op_sel_hi:[1,0,1]
	s_delay_alu instid0(VALU_DEP_4) | instskip(NEXT) | instid1(VALU_DEP_4)
	v_pk_fma_f32 v[10:11], v[42:43], v[18:19], v[10:11] op_sel_hi:[1,0,1]
	v_pk_fma_f32 v[0:1], v[44:45], v[18:19], v[0:1] op_sel_hi:[1,0,1]
	s_and_not1_b32 exec_lo, exec_lo, s2
	s_cbranch_execnz .LBB82_11
; %bb.12:
	s_or_b32 exec_lo, exec_lo, s2
.LBB82_13:
	s_delay_alu instid0(SALU_CYCLE_1)
	s_or_b32 exec_lo, exec_lo, s3
.LBB82_14:
	v_mbcnt_lo_u32_b32 v14, -1, 0
	s_delay_alu instid0(VALU_DEP_1) | instskip(SKIP_1) | instid1(VALU_DEP_1)
	v_xor_b32_e32 v23, 8, v14
	v_xor_b32_e32 v15, 16, v14
	v_cmp_gt_i32_e32 vcc_lo, 32, v15
	v_cndmask_b32_e32 v15, v14, v15, vcc_lo
	s_delay_alu instid0(VALU_DEP_1)
	v_lshlrev_b32_e32 v15, 2, v15
	ds_bpermute_b32 v17, v15, v9
	s_wait_dscnt 0x0
	v_add_f32_e32 v9, v9, v17
	ds_bpermute_b32 v19, v15, v13
	ds_bpermute_b32 v16, v15, v8
	;; [unrolled: 1-line block ×7, first 2 shown]
	s_wait_dscnt 0x6
	v_add_f32_e32 v13, v13, v19
	v_cmp_gt_i32_e32 vcc_lo, 32, v23
	s_wait_dscnt 0x5
	v_add_f32_e32 v8, v8, v16
	s_wait_dscnt 0x2
	v_dual_add_f32 v10, v10, v20 :: v_dual_add_f32 v11, v11, v21
	s_wait_dscnt 0x0
	v_dual_add_f32 v0, v0, v22 :: v_dual_add_f32 v1, v1, v15
	v_dual_cndmask_b32 v23, v14, v23 :: v_dual_add_f32 v12, v12, v18
	s_delay_alu instid0(VALU_DEP_1)
	v_lshlrev_b32_e32 v23, 2, v23
	ds_bpermute_b32 v15, v23, v8
	ds_bpermute_b32 v16, v23, v9
	;; [unrolled: 1-line block ×8, first 2 shown]
	s_wait_dscnt 0x7
	v_dual_add_f32 v8, v8, v15 :: v_dual_bitop2_b32 v23, 4, v14 bitop3:0x14
	s_delay_alu instid0(VALU_DEP_1)
	v_cmp_gt_i32_e32 vcc_lo, 32, v23
	s_wait_dscnt 0x6
	v_add_f32_e32 v9, v9, v16
	s_wait_dscnt 0x3
	v_dual_add_f32 v13, v13, v18 :: v_dual_add_f32 v10, v10, v19
	s_wait_dscnt 0x1
	v_dual_add_f32 v11, v11, v20 :: v_dual_add_f32 v0, v0, v21
	v_dual_cndmask_b32 v23, v14, v23 :: v_dual_add_f32 v12, v12, v17
	s_wait_dscnt 0x0
	s_delay_alu instid0(VALU_DEP_1)
	v_dual_add_f32 v1, v1, v22 :: v_dual_lshlrev_b32 v23, 2, v23
	ds_bpermute_b32 v15, v23, v8
	ds_bpermute_b32 v16, v23, v9
	;; [unrolled: 1-line block ×8, first 2 shown]
	s_wait_dscnt 0x7
	v_dual_add_f32 v8, v8, v15 :: v_dual_bitop2_b32 v23, 2, v14 bitop3:0x14
	s_delay_alu instid0(VALU_DEP_1)
	v_cmp_gt_i32_e32 vcc_lo, 32, v23
	s_wait_dscnt 0x4
	v_dual_add_f32 v12, v12, v17 :: v_dual_add_f32 v13, v13, v18
	s_wait_dscnt 0x3
	v_dual_add_f32 v9, v9, v16 :: v_dual_add_f32 v15, v10, v19
	s_wait_dscnt 0x2
	v_dual_add_f32 v16, v11, v20 :: v_dual_cndmask_b32 v23, v14, v23
	s_wait_dscnt 0x0
	v_dual_add_f32 v17, v0, v21 :: v_dual_add_f32 v18, v1, v22
	s_delay_alu instid0(VALU_DEP_2)
	v_lshlrev_b32_e32 v23, 2, v23
	ds_bpermute_b32 v0, v23, v8
	ds_bpermute_b32 v1, v23, v9
	;; [unrolled: 1-line block ×8, first 2 shown]
	s_wait_dscnt 0x7
	v_dual_add_f32 v0, v8, v0 :: v_dual_bitop2_b32 v23, 1, v14 bitop3:0x14
	s_delay_alu instid0(VALU_DEP_1)
	v_cmp_gt_i32_e32 vcc_lo, 32, v23
	s_wait_dscnt 0x5
	v_dual_add_f32 v8, v9, v1 :: v_dual_add_f32 v10, v12, v10
	s_wait_dscnt 0x3
	v_add_f32_e32 v12, v15, v19
	v_add_f32_e32 v11, v13, v11
	s_wait_dscnt 0x2
	v_dual_cndmask_b32 v14, v14, v23 :: v_dual_add_f32 v13, v16, v20
	s_wait_dscnt 0x0
	v_dual_add_f32 v1, v17, v21 :: v_dual_add_f32 v9, v18, v22
	v_cmp_eq_u32_e32 vcc_lo, 31, v7
	s_delay_alu instid0(VALU_DEP_3)
	v_lshlrev_b32_e32 v23, 2, v14
	ds_bpermute_b32 v16, v23, v0
	ds_bpermute_b32 v17, v23, v8
	;; [unrolled: 1-line block ×8, first 2 shown]
	s_and_b32 exec_lo, exec_lo, vcc_lo
	s_cbranch_execz .LBB82_19
; %bb.15:
	s_load_b64 s[2:3], s[0:1], 0x38
	v_cmp_eq_f32_e32 vcc_lo, 0, v4
	s_wait_xcnt 0x0
	v_cmp_eq_f32_e64 s0, 0, v5
	s_wait_dscnt 0x7
	v_add_f32_e32 v0, v0, v16
	s_wait_dscnt 0x5
	v_dual_add_f32 v20, v8, v17 :: v_dual_add_f32 v8, v10, v18
	s_wait_dscnt 0x3
	v_dual_add_f32 v18, v11, v19 :: v_dual_add_f32 v10, v12, v21
	s_wait_dscnt 0x2
	v_add_f32_e32 v16, v13, v22
	s_wait_dscnt 0x1
	v_add_f32_e32 v12, v1, v14
	;; [unrolled: 2-line block ×3, first 2 shown]
	s_and_b32 s0, vcc_lo, s0
	s_delay_alu instid0(SALU_CYCLE_1) | instskip(NEXT) | instid1(SALU_CYCLE_1)
	s_and_saveexec_b32 s1, s0
	s_xor_b32 s0, exec_lo, s1
	s_cbranch_execz .LBB82_17
; %bb.16:
	v_xor_b32_e32 v4, 0x80000000, v3
	v_dual_mov_b32 v5, v2 :: v_dual_lshlrev_b32 v6, 2, v6
	s_delay_alu instid0(VALU_DEP_1) | instskip(NEXT) | instid1(VALU_DEP_2)
	v_ashrrev_i32_e32 v7, 31, v6
	v_pk_mul_f32 v[20:21], v[20:21], v[4:5] op_sel_hi:[0,1]
	v_pk_mul_f32 v[18:19], v[18:19], v[4:5] op_sel_hi:[0,1]
	;; [unrolled: 1-line block ×4, first 2 shown]
	s_wait_kmcnt 0x0
	v_lshl_add_u64 v[22:23], v[6:7], 3, s[2:3]
	v_pk_fma_f32 v[4:5], v[2:3], v[0:1], v[20:21] op_sel_hi:[1,0,1]
	v_pk_fma_f32 v[6:7], v[2:3], v[8:9], v[18:19] op_sel_hi:[1,0,1]
	;; [unrolled: 1-line block ×4, first 2 shown]
	s_clause 0x1
	global_store_b128 v[22:23], v[4:7], off
	global_store_b128 v[22:23], v[0:3], off offset:16
                                        ; implicit-def: $vgpr6
                                        ; implicit-def: $vgpr0
                                        ; implicit-def: $vgpr20
                                        ; implicit-def: $vgpr8
                                        ; implicit-def: $vgpr18
                                        ; implicit-def: $vgpr10
                                        ; implicit-def: $vgpr16
                                        ; implicit-def: $vgpr12
                                        ; implicit-def: $vgpr14
                                        ; implicit-def: $vgpr2_vgpr3
                                        ; implicit-def: $vgpr4_vgpr5
.LBB82_17:
	s_wait_xcnt 0x0
	s_and_not1_saveexec_b32 s0, s0
	s_cbranch_execz .LBB82_19
; %bb.18:
	v_lshlrev_b32_e32 v6, 2, v6
	v_xor_b32_e32 v32, 0x80000000, v5
	s_delay_alu instid0(VALU_DEP_2) | instskip(SKIP_1) | instid1(VALU_DEP_1)
	v_dual_mov_b32 v33, v4 :: v_dual_ashrrev_i32 v7, 31, v6
	s_wait_kmcnt 0x0
	v_lshl_add_u64 v[30:31], v[6:7], 3, s[2:3]
	v_xor_b32_e32 v6, 0x80000000, v3
	v_mov_b32_e32 v7, v2
	s_clause 0x1
	global_load_b128 v[22:25], v[30:31], off
	global_load_b128 v[26:29], v[30:31], off offset:16
	v_pk_mul_f32 v[20:21], v[20:21], v[6:7] op_sel_hi:[0,1]
	v_pk_mul_f32 v[18:19], v[18:19], v[6:7] op_sel_hi:[0,1]
	;; [unrolled: 1-line block ×4, first 2 shown]
	s_delay_alu instid0(VALU_DEP_4) | instskip(NEXT) | instid1(VALU_DEP_4)
	v_pk_fma_f32 v[0:1], v[2:3], v[0:1], v[20:21] op_sel_hi:[1,0,1]
	v_pk_fma_f32 v[8:9], v[2:3], v[8:9], v[18:19] op_sel_hi:[1,0,1]
	s_delay_alu instid0(VALU_DEP_4) | instskip(NEXT) | instid1(VALU_DEP_4)
	v_pk_fma_f32 v[10:11], v[2:3], v[10:11], v[16:17] op_sel_hi:[1,0,1]
	v_pk_fma_f32 v[2:3], v[2:3], v[12:13], v[6:7] op_sel_hi:[1,0,1]
	s_wait_loadcnt 0x1
	v_pk_fma_f32 v[0:1], v[4:5], v[22:23], v[0:1] op_sel_hi:[1,0,1]
	v_pk_fma_f32 v[6:7], v[4:5], v[24:25], v[8:9] op_sel_hi:[1,0,1]
	s_wait_loadcnt 0x0
	v_dual_mov_b32 v8, v25 :: v_dual_mov_b32 v14, v29
	v_pk_fma_f32 v[10:11], v[4:5], v[26:27], v[10:11] op_sel_hi:[1,0,1]
	v_pk_fma_f32 v[12:13], v[4:5], v[28:29], v[2:3] op_sel_hi:[1,0,1]
	v_pk_fma_f32 v[0:1], v[32:33], v[22:23], v[0:1] op_sel:[0,1,0]
	s_delay_alu instid0(VALU_DEP_4) | instskip(NEXT) | instid1(VALU_DEP_4)
	v_pk_fma_f32 v[2:3], v[32:33], v[8:9], v[6:7] op_sel_hi:[1,0,1]
	v_pk_fma_f32 v[4:5], v[32:33], v[26:27], v[10:11] op_sel:[0,1,0]
	s_delay_alu instid0(VALU_DEP_4)
	v_pk_fma_f32 v[6:7], v[32:33], v[14:15], v[12:13] op_sel_hi:[1,0,1]
	s_clause 0x1
	global_store_b128 v[30:31], v[0:3], off
	global_store_b128 v[30:31], v[4:7], off offset:16
.LBB82_19:
	s_endpgm
	.section	.rodata,"a",@progbits
	.p2align	6, 0x0
	.amdhsa_kernel _ZN9rocsparseL19gebsrmvn_4xn_kernelILj128ELj2ELj32E21rocsparse_complex_numIfEEEvi20rocsparse_direction_NS_24const_host_device_scalarIT2_EEPKiS8_PKS5_SA_S6_PS5_21rocsparse_index_base_b
		.amdhsa_group_segment_fixed_size 0
		.amdhsa_private_segment_fixed_size 0
		.amdhsa_kernarg_size 72
		.amdhsa_user_sgpr_count 2
		.amdhsa_user_sgpr_dispatch_ptr 0
		.amdhsa_user_sgpr_queue_ptr 0
		.amdhsa_user_sgpr_kernarg_segment_ptr 1
		.amdhsa_user_sgpr_dispatch_id 0
		.amdhsa_user_sgpr_kernarg_preload_length 0
		.amdhsa_user_sgpr_kernarg_preload_offset 0
		.amdhsa_user_sgpr_private_segment_size 0
		.amdhsa_wavefront_size32 1
		.amdhsa_uses_dynamic_stack 0
		.amdhsa_enable_private_segment 0
		.amdhsa_system_sgpr_workgroup_id_x 1
		.amdhsa_system_sgpr_workgroup_id_y 0
		.amdhsa_system_sgpr_workgroup_id_z 0
		.amdhsa_system_sgpr_workgroup_info 0
		.amdhsa_system_vgpr_workitem_id 0
		.amdhsa_next_free_vgpr 48
		.amdhsa_next_free_sgpr 14
		.amdhsa_named_barrier_count 0
		.amdhsa_reserve_vcc 1
		.amdhsa_float_round_mode_32 0
		.amdhsa_float_round_mode_16_64 0
		.amdhsa_float_denorm_mode_32 3
		.amdhsa_float_denorm_mode_16_64 3
		.amdhsa_fp16_overflow 0
		.amdhsa_memory_ordered 1
		.amdhsa_forward_progress 1
		.amdhsa_inst_pref_size 20
		.amdhsa_round_robin_scheduling 0
		.amdhsa_exception_fp_ieee_invalid_op 0
		.amdhsa_exception_fp_denorm_src 0
		.amdhsa_exception_fp_ieee_div_zero 0
		.amdhsa_exception_fp_ieee_overflow 0
		.amdhsa_exception_fp_ieee_underflow 0
		.amdhsa_exception_fp_ieee_inexact 0
		.amdhsa_exception_int_div_zero 0
	.end_amdhsa_kernel
	.section	.text._ZN9rocsparseL19gebsrmvn_4xn_kernelILj128ELj2ELj32E21rocsparse_complex_numIfEEEvi20rocsparse_direction_NS_24const_host_device_scalarIT2_EEPKiS8_PKS5_SA_S6_PS5_21rocsparse_index_base_b,"axG",@progbits,_ZN9rocsparseL19gebsrmvn_4xn_kernelILj128ELj2ELj32E21rocsparse_complex_numIfEEEvi20rocsparse_direction_NS_24const_host_device_scalarIT2_EEPKiS8_PKS5_SA_S6_PS5_21rocsparse_index_base_b,comdat
.Lfunc_end82:
	.size	_ZN9rocsparseL19gebsrmvn_4xn_kernelILj128ELj2ELj32E21rocsparse_complex_numIfEEEvi20rocsparse_direction_NS_24const_host_device_scalarIT2_EEPKiS8_PKS5_SA_S6_PS5_21rocsparse_index_base_b, .Lfunc_end82-_ZN9rocsparseL19gebsrmvn_4xn_kernelILj128ELj2ELj32E21rocsparse_complex_numIfEEEvi20rocsparse_direction_NS_24const_host_device_scalarIT2_EEPKiS8_PKS5_SA_S6_PS5_21rocsparse_index_base_b
                                        ; -- End function
	.set _ZN9rocsparseL19gebsrmvn_4xn_kernelILj128ELj2ELj32E21rocsparse_complex_numIfEEEvi20rocsparse_direction_NS_24const_host_device_scalarIT2_EEPKiS8_PKS5_SA_S6_PS5_21rocsparse_index_base_b.num_vgpr, 48
	.set _ZN9rocsparseL19gebsrmvn_4xn_kernelILj128ELj2ELj32E21rocsparse_complex_numIfEEEvi20rocsparse_direction_NS_24const_host_device_scalarIT2_EEPKiS8_PKS5_SA_S6_PS5_21rocsparse_index_base_b.num_agpr, 0
	.set _ZN9rocsparseL19gebsrmvn_4xn_kernelILj128ELj2ELj32E21rocsparse_complex_numIfEEEvi20rocsparse_direction_NS_24const_host_device_scalarIT2_EEPKiS8_PKS5_SA_S6_PS5_21rocsparse_index_base_b.numbered_sgpr, 14
	.set _ZN9rocsparseL19gebsrmvn_4xn_kernelILj128ELj2ELj32E21rocsparse_complex_numIfEEEvi20rocsparse_direction_NS_24const_host_device_scalarIT2_EEPKiS8_PKS5_SA_S6_PS5_21rocsparse_index_base_b.num_named_barrier, 0
	.set _ZN9rocsparseL19gebsrmvn_4xn_kernelILj128ELj2ELj32E21rocsparse_complex_numIfEEEvi20rocsparse_direction_NS_24const_host_device_scalarIT2_EEPKiS8_PKS5_SA_S6_PS5_21rocsparse_index_base_b.private_seg_size, 0
	.set _ZN9rocsparseL19gebsrmvn_4xn_kernelILj128ELj2ELj32E21rocsparse_complex_numIfEEEvi20rocsparse_direction_NS_24const_host_device_scalarIT2_EEPKiS8_PKS5_SA_S6_PS5_21rocsparse_index_base_b.uses_vcc, 1
	.set _ZN9rocsparseL19gebsrmvn_4xn_kernelILj128ELj2ELj32E21rocsparse_complex_numIfEEEvi20rocsparse_direction_NS_24const_host_device_scalarIT2_EEPKiS8_PKS5_SA_S6_PS5_21rocsparse_index_base_b.uses_flat_scratch, 1
	.set _ZN9rocsparseL19gebsrmvn_4xn_kernelILj128ELj2ELj32E21rocsparse_complex_numIfEEEvi20rocsparse_direction_NS_24const_host_device_scalarIT2_EEPKiS8_PKS5_SA_S6_PS5_21rocsparse_index_base_b.has_dyn_sized_stack, 0
	.set _ZN9rocsparseL19gebsrmvn_4xn_kernelILj128ELj2ELj32E21rocsparse_complex_numIfEEEvi20rocsparse_direction_NS_24const_host_device_scalarIT2_EEPKiS8_PKS5_SA_S6_PS5_21rocsparse_index_base_b.has_recursion, 0
	.set _ZN9rocsparseL19gebsrmvn_4xn_kernelILj128ELj2ELj32E21rocsparse_complex_numIfEEEvi20rocsparse_direction_NS_24const_host_device_scalarIT2_EEPKiS8_PKS5_SA_S6_PS5_21rocsparse_index_base_b.has_indirect_call, 0
	.section	.AMDGPU.csdata,"",@progbits
; Kernel info:
; codeLenInByte = 2456
; TotalNumSgprs: 16
; NumVgprs: 48
; ScratchSize: 0
; MemoryBound: 0
; FloatMode: 240
; IeeeMode: 1
; LDSByteSize: 0 bytes/workgroup (compile time only)
; SGPRBlocks: 0
; VGPRBlocks: 2
; NumSGPRsForWavesPerEU: 16
; NumVGPRsForWavesPerEU: 48
; NamedBarCnt: 0
; Occupancy: 16
; WaveLimiterHint : 1
; COMPUTE_PGM_RSRC2:SCRATCH_EN: 0
; COMPUTE_PGM_RSRC2:USER_SGPR: 2
; COMPUTE_PGM_RSRC2:TRAP_HANDLER: 0
; COMPUTE_PGM_RSRC2:TGID_X_EN: 1
; COMPUTE_PGM_RSRC2:TGID_Y_EN: 0
; COMPUTE_PGM_RSRC2:TGID_Z_EN: 0
; COMPUTE_PGM_RSRC2:TIDIG_COMP_CNT: 0
	.section	.text._ZN9rocsparseL19gebsrmvn_4xn_kernelILj128ELj2ELj64E21rocsparse_complex_numIfEEEvi20rocsparse_direction_NS_24const_host_device_scalarIT2_EEPKiS8_PKS5_SA_S6_PS5_21rocsparse_index_base_b,"axG",@progbits,_ZN9rocsparseL19gebsrmvn_4xn_kernelILj128ELj2ELj64E21rocsparse_complex_numIfEEEvi20rocsparse_direction_NS_24const_host_device_scalarIT2_EEPKiS8_PKS5_SA_S6_PS5_21rocsparse_index_base_b,comdat
	.globl	_ZN9rocsparseL19gebsrmvn_4xn_kernelILj128ELj2ELj64E21rocsparse_complex_numIfEEEvi20rocsparse_direction_NS_24const_host_device_scalarIT2_EEPKiS8_PKS5_SA_S6_PS5_21rocsparse_index_base_b ; -- Begin function _ZN9rocsparseL19gebsrmvn_4xn_kernelILj128ELj2ELj64E21rocsparse_complex_numIfEEEvi20rocsparse_direction_NS_24const_host_device_scalarIT2_EEPKiS8_PKS5_SA_S6_PS5_21rocsparse_index_base_b
	.p2align	8
	.type	_ZN9rocsparseL19gebsrmvn_4xn_kernelILj128ELj2ELj64E21rocsparse_complex_numIfEEEvi20rocsparse_direction_NS_24const_host_device_scalarIT2_EEPKiS8_PKS5_SA_S6_PS5_21rocsparse_index_base_b,@function
_ZN9rocsparseL19gebsrmvn_4xn_kernelILj128ELj2ELj64E21rocsparse_complex_numIfEEEvi20rocsparse_direction_NS_24const_host_device_scalarIT2_EEPKiS8_PKS5_SA_S6_PS5_21rocsparse_index_base_b: ; @_ZN9rocsparseL19gebsrmvn_4xn_kernelILj128ELj2ELj64E21rocsparse_complex_numIfEEEvi20rocsparse_direction_NS_24const_host_device_scalarIT2_EEPKiS8_PKS5_SA_S6_PS5_21rocsparse_index_base_b
; %bb.0:
	s_clause 0x2
	s_load_b64 s[12:13], s[0:1], 0x40
	s_load_b64 s[2:3], s[0:1], 0x8
	;; [unrolled: 1-line block ×3, first 2 shown]
	v_mov_b32_e32 v1, 0
	s_add_nc_u64 s[6:7], s[0:1], 8
	s_add_nc_u64 s[8:9], s[0:1], 48
	s_wait_kmcnt 0x0
	s_bitcmp1_b32 s13, 0
	s_cselect_b32 s3, s7, s3
	s_cselect_b32 s2, s6, s2
	;; [unrolled: 1-line block ×4, first 2 shown]
	s_clause 0x1
	flat_load_b64 v[2:3], v1, s[2:3]
	flat_load_b64 v[4:5], v1, s[4:5]
	s_wait_loadcnt_dscnt 0x101
	v_cmp_eq_f32_e32 vcc_lo, 0, v2
	v_cmp_eq_f32_e64 s2, 0, v3
	s_wait_loadcnt_dscnt 0x0
	v_cmp_eq_f32_e64 s3, 1.0, v4
	v_cmp_eq_f32_e64 s4, 0, v5
	s_and_b32 s2, vcc_lo, s2
	s_and_b32 s3, s3, s4
	s_delay_alu instid0(SALU_CYCLE_1) | instskip(NEXT) | instid1(SALU_CYCLE_1)
	s_and_b32 s2, s2, s3
	s_xor_b32 s2, s2, -1
	s_delay_alu instid0(SALU_CYCLE_1)
	s_and_saveexec_b32 s3, s2
	s_cbranch_execz .LBB83_19
; %bb.1:
	s_load_b64 s[2:3], s[0:1], 0x0
	s_bfe_u32 s4, ttmp6, 0x4000c
	s_and_b32 s5, ttmp6, 15
	s_add_co_i32 s4, s4, 1
	s_getreg_b32 s6, hwreg(HW_REG_IB_STS2, 6, 4)
	s_mul_i32 s4, ttmp9, s4
	v_lshrrev_b32_e32 v1, 6, v0
	s_add_co_i32 s5, s5, s4
	s_cmp_eq_u32 s6, 0
	s_cselect_b32 s4, ttmp9, s5
	s_delay_alu instid0(VALU_DEP_1) | instid1(SALU_CYCLE_1)
	v_lshl_or_b32 v6, s4, 1, v1
	s_wait_kmcnt 0x0
	s_delay_alu instid0(VALU_DEP_1)
	v_cmp_gt_i32_e32 vcc_lo, s2, v6
	s_and_b32 exec_lo, exec_lo, vcc_lo
	s_cbranch_execz .LBB83_19
; %bb.2:
	s_load_b256 s[4:11], s[0:1], 0x10
	v_ashrrev_i32_e32 v7, 31, v6
	s_cmp_lg_u32 s3, 0
	s_wait_kmcnt 0x0
	s_delay_alu instid0(VALU_DEP_1)
	v_lshl_add_u64 v[8:9], v[6:7], 2, s[4:5]
	v_and_b32_e32 v7, 63, v0
	global_load_b64 v[8:9], v[8:9], off
	s_wait_loadcnt 0x0
	v_subrev_nc_u32_e32 v0, s12, v8
	v_subrev_nc_u32_e32 v16, s12, v9
	s_delay_alu instid0(VALU_DEP_2) | instskip(NEXT) | instid1(VALU_DEP_1)
	v_add_nc_u32_e32 v17, v0, v7
	v_cmp_lt_i32_e64 s2, v17, v16
	s_cbranch_scc0 .LBB83_8
; %bb.3:
	v_mov_b32_e32 v9, 0
	s_delay_alu instid0(VALU_DEP_1)
	v_dual_mov_b32 v8, v9 :: v_dual_mov_b32 v1, v9
	v_dual_mov_b32 v0, v9 :: v_dual_mov_b32 v11, v9
	;; [unrolled: 1-line block ×3, first 2 shown]
	v_mov_b32_e32 v12, v9
	s_and_saveexec_b32 s3, s2
	s_cbranch_execz .LBB83_7
; %bb.4:
	v_dual_mov_b32 v15, 0 :: v_dual_lshlrev_b32 v14, 3, v17
	v_mov_b32_e32 v18, v17
	s_mov_b32 s4, 0
	s_delay_alu instid0(VALU_DEP_2)
	v_dual_mov_b32 v12, v15 :: v_dual_mov_b32 v13, v15
	v_dual_mov_b32 v10, v15 :: v_dual_mov_b32 v11, v15
	;; [unrolled: 1-line block ×4, first 2 shown]
.LBB83_5:                               ; =>This Inner Loop Header: Depth=1
	global_load_b32 v19, v18, s[6:7] scale_offset
	v_lshl_add_u64 v[40:41], v[14:15], 3, s[8:9]
	s_clause 0x2
	global_load_b128 v[20:23], v[40:41], off offset:32
	global_load_b128 v[24:27], v[40:41], off offset:16
	global_load_b128 v[28:31], v[40:41], off
	s_wait_xcnt 0x3
	v_add_nc_u32_e32 v18, 64, v18
	v_add_nc_u32_e32 v14, 0x200, v14
	s_wait_loadcnt 0x3
	v_subrev_nc_u32_e32 v19, s12, v19
	s_delay_alu instid0(VALU_DEP_1) | instskip(SKIP_2) | instid1(VALU_DEP_2)
	v_dual_mov_b32 v33, v15 :: v_dual_lshlrev_b32 v32, 1, v19
	s_wait_loadcnt 0x1
	v_xor_b32_e32 v44, 0x80000000, v27
	v_lshl_add_u64 v[42:43], v[32:33], 3, s[10:11]
	global_load_b128 v[32:35], v[42:43], off
	global_load_b128 v[36:39], v[40:41], off offset:48
	s_wait_loadcnt 0x2
	s_wait_xcnt 0x0
	v_xor_b32_e32 v40, 0x80000000, v31
	v_dual_mov_b32 v41, v30 :: v_dual_mov_b32 v45, v26
	v_xor_b32_e32 v42, 0x80000000, v23
	v_mov_b32_e32 v43, v22
	v_cmp_ge_i32_e32 vcc_lo, v18, v16
	s_or_b32 s4, vcc_lo, s4
	s_wait_loadcnt 0x1
	v_pk_fma_f32 v[8:9], v[28:29], v[32:33], v[8:9] op_sel_hi:[1,0,1]
	v_pk_fma_f32 v[12:13], v[30:31], v[32:33], v[12:13] op_sel_hi:[1,0,1]
	;; [unrolled: 1-line block ×4, first 2 shown]
	s_wait_loadcnt 0x0
	v_mov_b32_e32 v47, v38
	v_pk_fma_f32 v[8:9], v[28:29], v[32:33], v[8:9] op_sel:[1,1,0] op_sel_hi:[0,1,1] neg_lo:[1,0,0]
	v_pk_fma_f32 v[12:13], v[40:41], v[32:33], v[12:13] op_sel:[0,1,0]
	v_pk_fma_f32 v[10:11], v[24:25], v[32:33], v[10:11] op_sel:[1,1,0] op_sel_hi:[0,1,1] neg_lo:[1,0,0]
	v_pk_fma_f32 v[0:1], v[44:45], v[32:33], v[0:1] op_sel:[0,1,0]
	v_xor_b32_e32 v46, 0x80000000, v39
	v_mov_b32_e32 v24, v35
	v_pk_fma_f32 v[8:9], v[20:21], v[34:35], v[8:9] op_sel_hi:[1,0,1]
	v_pk_fma_f32 v[12:13], v[22:23], v[34:35], v[12:13] op_sel_hi:[1,0,1]
	;; [unrolled: 1-line block ×4, first 2 shown]
	s_delay_alu instid0(VALU_DEP_4) | instskip(NEXT) | instid1(VALU_DEP_4)
	v_pk_fma_f32 v[8:9], v[20:21], v[24:25], v[8:9] op_sel:[1,0,0] op_sel_hi:[0,0,1] neg_lo:[1,0,0]
	v_pk_fma_f32 v[12:13], v[42:43], v[24:25], v[12:13] op_sel_hi:[1,0,1]
	s_delay_alu instid0(VALU_DEP_4) | instskip(NEXT) | instid1(VALU_DEP_4)
	v_pk_fma_f32 v[10:11], v[36:37], v[24:25], v[10:11] op_sel:[1,0,0] op_sel_hi:[0,0,1] neg_lo:[1,0,0]
	v_pk_fma_f32 v[0:1], v[46:47], v[24:25], v[0:1] op_sel_hi:[1,0,1]
	s_and_not1_b32 exec_lo, exec_lo, s4
	s_cbranch_execnz .LBB83_5
; %bb.6:
	s_or_b32 exec_lo, exec_lo, s4
.LBB83_7:
	s_delay_alu instid0(SALU_CYCLE_1)
	s_or_b32 exec_lo, exec_lo, s3
	s_cbranch_execz .LBB83_9
	s_branch .LBB83_14
.LBB83_8:
                                        ; implicit-def: $vgpr9
                                        ; implicit-def: $vgpr1
                                        ; implicit-def: $vgpr11
                                        ; implicit-def: $vgpr13
.LBB83_9:
	v_mov_b32_e32 v9, 0
	s_delay_alu instid0(VALU_DEP_1)
	v_dual_mov_b32 v8, v9 :: v_dual_mov_b32 v1, v9
	v_dual_mov_b32 v0, v9 :: v_dual_mov_b32 v11, v9
	v_dual_mov_b32 v10, v9 :: v_dual_mov_b32 v13, v9
	v_mov_b32_e32 v12, v9
	s_and_saveexec_b32 s3, s2
	s_cbranch_execz .LBB83_13
; %bb.10:
	v_dual_mov_b32 v15, 0 :: v_dual_lshlrev_b32 v14, 3, v17
	s_mov_b32 s2, 0
	s_delay_alu instid0(VALU_DEP_1)
	v_dual_mov_b32 v12, v15 :: v_dual_mov_b32 v13, v15
	v_dual_mov_b32 v10, v15 :: v_dual_mov_b32 v11, v15
	;; [unrolled: 1-line block ×4, first 2 shown]
.LBB83_11:                              ; =>This Inner Loop Header: Depth=1
	global_load_b32 v22, v17, s[6:7] scale_offset
	v_lshl_add_u64 v[38:39], v[14:15], 3, s[8:9]
	global_load_b128 v[18:21], v[38:39], off offset:16
	s_wait_loadcnt 0x1
	v_subrev_nc_u32_e32 v26, s12, v22
	v_mov_b32_e32 v31, v15
	global_load_b128 v[22:25], v[38:39], off
	v_add_nc_u32_e32 v17, 64, v17
	v_add_nc_u32_e32 v14, 0x200, v14
	v_lshlrev_b32_e32 v30, 1, v26
	global_load_b128 v[26:29], v[38:39], off offset:32
	v_lshl_add_u64 v[40:41], v[30:31], 3, s[10:11]
	global_load_b128 v[30:33], v[38:39], off offset:48
	global_load_b128 v[34:37], v[40:41], off
	s_wait_loadcnt 0x4
	s_wait_xcnt 0x0
	v_xor_b32_e32 v40, 0x80000000, v21
	v_mov_b32_e32 v41, v20
	s_wait_loadcnt 0x3
	v_xor_b32_e32 v38, 0x80000000, v25
	v_mov_b32_e32 v39, v24
	v_cmp_ge_i32_e32 vcc_lo, v17, v16
	s_wait_loadcnt 0x2
	v_xor_b32_e32 v42, 0x80000000, v29
	v_mov_b32_e32 v43, v28
	s_or_b32 s2, vcc_lo, s2
	s_wait_loadcnt 0x1
	v_xor_b32_e32 v44, 0x80000000, v33
	s_wait_loadcnt 0x0
	v_pk_fma_f32 v[8:9], v[22:23], v[34:35], v[8:9] op_sel_hi:[1,0,1]
	v_pk_fma_f32 v[12:13], v[18:19], v[34:35], v[12:13] op_sel_hi:[1,0,1]
	;; [unrolled: 1-line block ×4, first 2 shown]
	v_mov_b32_e32 v45, v32
	v_pk_fma_f32 v[8:9], v[22:23], v[34:35], v[8:9] op_sel:[1,1,0] op_sel_hi:[0,1,1] neg_lo:[1,0,0]
	v_pk_fma_f32 v[12:13], v[18:19], v[34:35], v[12:13] op_sel:[1,1,0] op_sel_hi:[0,1,1] neg_lo:[1,0,0]
	;; [unrolled: 1-line block ×4, first 2 shown]
	v_mov_b32_e32 v18, v37
	v_pk_fma_f32 v[8:9], v[24:25], v[36:37], v[8:9] op_sel_hi:[1,0,1]
	v_pk_fma_f32 v[12:13], v[20:21], v[36:37], v[12:13] op_sel_hi:[1,0,1]
	;; [unrolled: 1-line block ×4, first 2 shown]
	s_delay_alu instid0(VALU_DEP_4) | instskip(NEXT) | instid1(VALU_DEP_4)
	v_pk_fma_f32 v[8:9], v[38:39], v[18:19], v[8:9] op_sel_hi:[1,0,1]
	v_pk_fma_f32 v[12:13], v[40:41], v[18:19], v[12:13] op_sel_hi:[1,0,1]
	s_delay_alu instid0(VALU_DEP_4) | instskip(NEXT) | instid1(VALU_DEP_4)
	v_pk_fma_f32 v[10:11], v[42:43], v[18:19], v[10:11] op_sel_hi:[1,0,1]
	v_pk_fma_f32 v[0:1], v[44:45], v[18:19], v[0:1] op_sel_hi:[1,0,1]
	s_and_not1_b32 exec_lo, exec_lo, s2
	s_cbranch_execnz .LBB83_11
; %bb.12:
	s_or_b32 exec_lo, exec_lo, s2
.LBB83_13:
	s_delay_alu instid0(SALU_CYCLE_1)
	s_or_b32 exec_lo, exec_lo, s3
.LBB83_14:
	v_mbcnt_lo_u32_b32 v14, -1, 0
	s_delay_alu instid0(VALU_DEP_1) | instskip(SKIP_1) | instid1(VALU_DEP_1)
	v_xor_b32_e32 v23, 16, v14
	v_or_b32_e32 v15, 32, v14
	v_cmp_gt_i32_e32 vcc_lo, 32, v15
	v_cndmask_b32_e32 v15, v14, v15, vcc_lo
	s_delay_alu instid0(VALU_DEP_1)
	v_lshlrev_b32_e32 v15, 2, v15
	ds_bpermute_b32 v17, v15, v9
	s_wait_dscnt 0x0
	v_add_f32_e32 v9, v9, v17
	ds_bpermute_b32 v19, v15, v13
	ds_bpermute_b32 v16, v15, v8
	;; [unrolled: 1-line block ×7, first 2 shown]
	s_wait_dscnt 0x6
	v_add_f32_e32 v13, v13, v19
	v_cmp_gt_i32_e32 vcc_lo, 32, v23
	s_wait_dscnt 0x5
	v_add_f32_e32 v8, v8, v16
	s_wait_dscnt 0x2
	v_dual_add_f32 v10, v10, v20 :: v_dual_add_f32 v11, v11, v21
	s_wait_dscnt 0x0
	v_dual_add_f32 v0, v0, v22 :: v_dual_add_f32 v1, v1, v15
	v_dual_cndmask_b32 v23, v14, v23 :: v_dual_add_f32 v12, v12, v18
	s_delay_alu instid0(VALU_DEP_1)
	v_lshlrev_b32_e32 v23, 2, v23
	ds_bpermute_b32 v15, v23, v8
	ds_bpermute_b32 v16, v23, v9
	;; [unrolled: 1-line block ×8, first 2 shown]
	s_wait_dscnt 0x7
	v_dual_add_f32 v8, v8, v15 :: v_dual_bitop2_b32 v23, 8, v14 bitop3:0x14
	s_delay_alu instid0(VALU_DEP_1)
	v_cmp_gt_i32_e32 vcc_lo, 32, v23
	s_wait_dscnt 0x6
	v_add_f32_e32 v9, v9, v16
	s_wait_dscnt 0x3
	v_dual_add_f32 v13, v13, v18 :: v_dual_add_f32 v10, v10, v19
	s_wait_dscnt 0x1
	v_dual_add_f32 v11, v11, v20 :: v_dual_add_f32 v0, v0, v21
	v_dual_cndmask_b32 v23, v14, v23 :: v_dual_add_f32 v12, v12, v17
	s_wait_dscnt 0x0
	s_delay_alu instid0(VALU_DEP_1)
	v_dual_add_f32 v1, v1, v22 :: v_dual_lshlrev_b32 v23, 2, v23
	ds_bpermute_b32 v15, v23, v8
	ds_bpermute_b32 v16, v23, v9
	;; [unrolled: 1-line block ×8, first 2 shown]
	s_wait_dscnt 0x7
	v_dual_add_f32 v8, v8, v15 :: v_dual_bitop2_b32 v23, 4, v14 bitop3:0x14
	s_delay_alu instid0(VALU_DEP_1)
	v_cmp_gt_i32_e32 vcc_lo, 32, v23
	s_wait_dscnt 0x4
	v_dual_add_f32 v12, v12, v17 :: v_dual_add_f32 v13, v13, v18
	s_wait_dscnt 0x3
	v_dual_add_f32 v9, v9, v16 :: v_dual_add_f32 v10, v10, v19
	s_wait_dscnt 0x2
	v_dual_add_f32 v11, v11, v20 :: v_dual_cndmask_b32 v23, v14, v23, vcc_lo
	s_wait_dscnt 0x0
	v_dual_add_f32 v0, v0, v21 :: v_dual_add_f32 v1, v1, v22
	s_delay_alu instid0(VALU_DEP_2)
	v_lshlrev_b32_e32 v23, 2, v23
	ds_bpermute_b32 v15, v23, v8
	ds_bpermute_b32 v16, v23, v9
	;; [unrolled: 1-line block ×8, first 2 shown]
	s_wait_dscnt 0x7
	v_dual_add_f32 v8, v8, v15 :: v_dual_bitop2_b32 v23, 2, v14 bitop3:0x14
	s_delay_alu instid0(VALU_DEP_1)
	v_cmp_gt_i32_e32 vcc_lo, 32, v23
	s_wait_dscnt 0x5
	v_dual_add_f32 v9, v9, v16 :: v_dual_add_f32 v12, v12, v17
	s_wait_dscnt 0x3
	v_dual_add_f32 v13, v13, v18 :: v_dual_add_f32 v15, v10, v19
	s_wait_dscnt 0x2
	v_dual_cndmask_b32 v23, v14, v23 :: v_dual_add_f32 v16, v11, v20
	s_wait_dscnt 0x0
	v_dual_add_f32 v17, v0, v21 :: v_dual_add_f32 v18, v1, v22
	s_delay_alu instid0(VALU_DEP_2)
	v_lshlrev_b32_e32 v23, 2, v23
	ds_bpermute_b32 v0, v23, v8
	ds_bpermute_b32 v1, v23, v9
	;; [unrolled: 1-line block ×8, first 2 shown]
	s_wait_dscnt 0x7
	v_dual_add_f32 v0, v8, v0 :: v_dual_bitop2_b32 v23, 1, v14 bitop3:0x14
	s_delay_alu instid0(VALU_DEP_1)
	v_cmp_gt_i32_e32 vcc_lo, 32, v23
	s_wait_dscnt 0x5
	v_dual_add_f32 v8, v9, v1 :: v_dual_add_f32 v10, v12, v10
	s_wait_dscnt 0x4
	v_add_f32_e32 v11, v13, v11
	s_wait_dscnt 0x2
	v_dual_add_f32 v12, v15, v19 :: v_dual_add_f32 v13, v16, v20
	s_wait_dscnt 0x1
	v_dual_cndmask_b32 v14, v14, v23 :: v_dual_add_f32 v1, v17, v21
	s_wait_dscnt 0x0
	v_add_f32_e32 v9, v18, v22
	v_cmp_eq_u32_e32 vcc_lo, 63, v7
	s_delay_alu instid0(VALU_DEP_3)
	v_lshlrev_b32_e32 v23, 2, v14
	ds_bpermute_b32 v16, v23, v0
	ds_bpermute_b32 v17, v23, v8
	;; [unrolled: 1-line block ×8, first 2 shown]
	s_and_b32 exec_lo, exec_lo, vcc_lo
	s_cbranch_execz .LBB83_19
; %bb.15:
	s_load_b64 s[2:3], s[0:1], 0x38
	v_cmp_eq_f32_e32 vcc_lo, 0, v4
	s_wait_xcnt 0x0
	v_cmp_eq_f32_e64 s0, 0, v5
	s_wait_dscnt 0x7
	v_add_f32_e32 v0, v0, v16
	s_wait_dscnt 0x5
	v_dual_add_f32 v20, v8, v17 :: v_dual_add_f32 v8, v10, v18
	s_wait_dscnt 0x3
	v_dual_add_f32 v18, v11, v19 :: v_dual_add_f32 v10, v12, v21
	s_wait_dscnt 0x2
	v_add_f32_e32 v16, v13, v22
	s_wait_dscnt 0x1
	v_add_f32_e32 v12, v1, v14
	;; [unrolled: 2-line block ×3, first 2 shown]
	s_and_b32 s0, vcc_lo, s0
	s_delay_alu instid0(SALU_CYCLE_1) | instskip(NEXT) | instid1(SALU_CYCLE_1)
	s_and_saveexec_b32 s1, s0
	s_xor_b32 s0, exec_lo, s1
	s_cbranch_execz .LBB83_17
; %bb.16:
	v_xor_b32_e32 v4, 0x80000000, v3
	v_dual_mov_b32 v5, v2 :: v_dual_lshlrev_b32 v6, 2, v6
	s_delay_alu instid0(VALU_DEP_1) | instskip(NEXT) | instid1(VALU_DEP_2)
	v_ashrrev_i32_e32 v7, 31, v6
	v_pk_mul_f32 v[20:21], v[20:21], v[4:5] op_sel_hi:[0,1]
	v_pk_mul_f32 v[18:19], v[18:19], v[4:5] op_sel_hi:[0,1]
	;; [unrolled: 1-line block ×4, first 2 shown]
	s_wait_kmcnt 0x0
	v_lshl_add_u64 v[22:23], v[6:7], 3, s[2:3]
	v_pk_fma_f32 v[4:5], v[2:3], v[0:1], v[20:21] op_sel_hi:[1,0,1]
	v_pk_fma_f32 v[6:7], v[2:3], v[8:9], v[18:19] op_sel_hi:[1,0,1]
	;; [unrolled: 1-line block ×4, first 2 shown]
	s_clause 0x1
	global_store_b128 v[22:23], v[4:7], off
	global_store_b128 v[22:23], v[0:3], off offset:16
                                        ; implicit-def: $vgpr6
                                        ; implicit-def: $vgpr0
                                        ; implicit-def: $vgpr20
                                        ; implicit-def: $vgpr8
                                        ; implicit-def: $vgpr18
                                        ; implicit-def: $vgpr10
                                        ; implicit-def: $vgpr16
                                        ; implicit-def: $vgpr12
                                        ; implicit-def: $vgpr14
                                        ; implicit-def: $vgpr2_vgpr3
                                        ; implicit-def: $vgpr4_vgpr5
.LBB83_17:
	s_wait_xcnt 0x0
	s_and_not1_saveexec_b32 s0, s0
	s_cbranch_execz .LBB83_19
; %bb.18:
	v_lshlrev_b32_e32 v6, 2, v6
	v_xor_b32_e32 v32, 0x80000000, v5
	s_delay_alu instid0(VALU_DEP_2) | instskip(SKIP_1) | instid1(VALU_DEP_1)
	v_dual_mov_b32 v33, v4 :: v_dual_ashrrev_i32 v7, 31, v6
	s_wait_kmcnt 0x0
	v_lshl_add_u64 v[30:31], v[6:7], 3, s[2:3]
	v_xor_b32_e32 v6, 0x80000000, v3
	v_mov_b32_e32 v7, v2
	s_clause 0x1
	global_load_b128 v[22:25], v[30:31], off
	global_load_b128 v[26:29], v[30:31], off offset:16
	v_pk_mul_f32 v[20:21], v[20:21], v[6:7] op_sel_hi:[0,1]
	v_pk_mul_f32 v[18:19], v[18:19], v[6:7] op_sel_hi:[0,1]
	;; [unrolled: 1-line block ×4, first 2 shown]
	s_delay_alu instid0(VALU_DEP_4) | instskip(NEXT) | instid1(VALU_DEP_4)
	v_pk_fma_f32 v[0:1], v[2:3], v[0:1], v[20:21] op_sel_hi:[1,0,1]
	v_pk_fma_f32 v[8:9], v[2:3], v[8:9], v[18:19] op_sel_hi:[1,0,1]
	s_delay_alu instid0(VALU_DEP_4) | instskip(NEXT) | instid1(VALU_DEP_4)
	v_pk_fma_f32 v[10:11], v[2:3], v[10:11], v[16:17] op_sel_hi:[1,0,1]
	v_pk_fma_f32 v[2:3], v[2:3], v[12:13], v[6:7] op_sel_hi:[1,0,1]
	s_wait_loadcnt 0x1
	v_pk_fma_f32 v[0:1], v[4:5], v[22:23], v[0:1] op_sel_hi:[1,0,1]
	v_pk_fma_f32 v[6:7], v[4:5], v[24:25], v[8:9] op_sel_hi:[1,0,1]
	s_wait_loadcnt 0x0
	v_dual_mov_b32 v8, v25 :: v_dual_mov_b32 v14, v29
	v_pk_fma_f32 v[10:11], v[4:5], v[26:27], v[10:11] op_sel_hi:[1,0,1]
	v_pk_fma_f32 v[12:13], v[4:5], v[28:29], v[2:3] op_sel_hi:[1,0,1]
	v_pk_fma_f32 v[0:1], v[32:33], v[22:23], v[0:1] op_sel:[0,1,0]
	s_delay_alu instid0(VALU_DEP_4) | instskip(NEXT) | instid1(VALU_DEP_4)
	v_pk_fma_f32 v[2:3], v[32:33], v[8:9], v[6:7] op_sel_hi:[1,0,1]
	v_pk_fma_f32 v[4:5], v[32:33], v[26:27], v[10:11] op_sel:[0,1,0]
	s_delay_alu instid0(VALU_DEP_4)
	v_pk_fma_f32 v[6:7], v[32:33], v[14:15], v[12:13] op_sel_hi:[1,0,1]
	s_clause 0x1
	global_store_b128 v[30:31], v[0:3], off
	global_store_b128 v[30:31], v[4:7], off offset:16
.LBB83_19:
	s_endpgm
	.section	.rodata,"a",@progbits
	.p2align	6, 0x0
	.amdhsa_kernel _ZN9rocsparseL19gebsrmvn_4xn_kernelILj128ELj2ELj64E21rocsparse_complex_numIfEEEvi20rocsparse_direction_NS_24const_host_device_scalarIT2_EEPKiS8_PKS5_SA_S6_PS5_21rocsparse_index_base_b
		.amdhsa_group_segment_fixed_size 0
		.amdhsa_private_segment_fixed_size 0
		.amdhsa_kernarg_size 72
		.amdhsa_user_sgpr_count 2
		.amdhsa_user_sgpr_dispatch_ptr 0
		.amdhsa_user_sgpr_queue_ptr 0
		.amdhsa_user_sgpr_kernarg_segment_ptr 1
		.amdhsa_user_sgpr_dispatch_id 0
		.amdhsa_user_sgpr_kernarg_preload_length 0
		.amdhsa_user_sgpr_kernarg_preload_offset 0
		.amdhsa_user_sgpr_private_segment_size 0
		.amdhsa_wavefront_size32 1
		.amdhsa_uses_dynamic_stack 0
		.amdhsa_enable_private_segment 0
		.amdhsa_system_sgpr_workgroup_id_x 1
		.amdhsa_system_sgpr_workgroup_id_y 0
		.amdhsa_system_sgpr_workgroup_id_z 0
		.amdhsa_system_sgpr_workgroup_info 0
		.amdhsa_system_vgpr_workitem_id 0
		.amdhsa_next_free_vgpr 48
		.amdhsa_next_free_sgpr 14
		.amdhsa_named_barrier_count 0
		.amdhsa_reserve_vcc 1
		.amdhsa_float_round_mode_32 0
		.amdhsa_float_round_mode_16_64 0
		.amdhsa_float_denorm_mode_32 3
		.amdhsa_float_denorm_mode_16_64 3
		.amdhsa_fp16_overflow 0
		.amdhsa_memory_ordered 1
		.amdhsa_forward_progress 1
		.amdhsa_inst_pref_size 21
		.amdhsa_round_robin_scheduling 0
		.amdhsa_exception_fp_ieee_invalid_op 0
		.amdhsa_exception_fp_denorm_src 0
		.amdhsa_exception_fp_ieee_div_zero 0
		.amdhsa_exception_fp_ieee_overflow 0
		.amdhsa_exception_fp_ieee_underflow 0
		.amdhsa_exception_fp_ieee_inexact 0
		.amdhsa_exception_int_div_zero 0
	.end_amdhsa_kernel
	.section	.text._ZN9rocsparseL19gebsrmvn_4xn_kernelILj128ELj2ELj64E21rocsparse_complex_numIfEEEvi20rocsparse_direction_NS_24const_host_device_scalarIT2_EEPKiS8_PKS5_SA_S6_PS5_21rocsparse_index_base_b,"axG",@progbits,_ZN9rocsparseL19gebsrmvn_4xn_kernelILj128ELj2ELj64E21rocsparse_complex_numIfEEEvi20rocsparse_direction_NS_24const_host_device_scalarIT2_EEPKiS8_PKS5_SA_S6_PS5_21rocsparse_index_base_b,comdat
.Lfunc_end83:
	.size	_ZN9rocsparseL19gebsrmvn_4xn_kernelILj128ELj2ELj64E21rocsparse_complex_numIfEEEvi20rocsparse_direction_NS_24const_host_device_scalarIT2_EEPKiS8_PKS5_SA_S6_PS5_21rocsparse_index_base_b, .Lfunc_end83-_ZN9rocsparseL19gebsrmvn_4xn_kernelILj128ELj2ELj64E21rocsparse_complex_numIfEEEvi20rocsparse_direction_NS_24const_host_device_scalarIT2_EEPKiS8_PKS5_SA_S6_PS5_21rocsparse_index_base_b
                                        ; -- End function
	.set _ZN9rocsparseL19gebsrmvn_4xn_kernelILj128ELj2ELj64E21rocsparse_complex_numIfEEEvi20rocsparse_direction_NS_24const_host_device_scalarIT2_EEPKiS8_PKS5_SA_S6_PS5_21rocsparse_index_base_b.num_vgpr, 48
	.set _ZN9rocsparseL19gebsrmvn_4xn_kernelILj128ELj2ELj64E21rocsparse_complex_numIfEEEvi20rocsparse_direction_NS_24const_host_device_scalarIT2_EEPKiS8_PKS5_SA_S6_PS5_21rocsparse_index_base_b.num_agpr, 0
	.set _ZN9rocsparseL19gebsrmvn_4xn_kernelILj128ELj2ELj64E21rocsparse_complex_numIfEEEvi20rocsparse_direction_NS_24const_host_device_scalarIT2_EEPKiS8_PKS5_SA_S6_PS5_21rocsparse_index_base_b.numbered_sgpr, 14
	.set _ZN9rocsparseL19gebsrmvn_4xn_kernelILj128ELj2ELj64E21rocsparse_complex_numIfEEEvi20rocsparse_direction_NS_24const_host_device_scalarIT2_EEPKiS8_PKS5_SA_S6_PS5_21rocsparse_index_base_b.num_named_barrier, 0
	.set _ZN9rocsparseL19gebsrmvn_4xn_kernelILj128ELj2ELj64E21rocsparse_complex_numIfEEEvi20rocsparse_direction_NS_24const_host_device_scalarIT2_EEPKiS8_PKS5_SA_S6_PS5_21rocsparse_index_base_b.private_seg_size, 0
	.set _ZN9rocsparseL19gebsrmvn_4xn_kernelILj128ELj2ELj64E21rocsparse_complex_numIfEEEvi20rocsparse_direction_NS_24const_host_device_scalarIT2_EEPKiS8_PKS5_SA_S6_PS5_21rocsparse_index_base_b.uses_vcc, 1
	.set _ZN9rocsparseL19gebsrmvn_4xn_kernelILj128ELj2ELj64E21rocsparse_complex_numIfEEEvi20rocsparse_direction_NS_24const_host_device_scalarIT2_EEPKiS8_PKS5_SA_S6_PS5_21rocsparse_index_base_b.uses_flat_scratch, 1
	.set _ZN9rocsparseL19gebsrmvn_4xn_kernelILj128ELj2ELj64E21rocsparse_complex_numIfEEEvi20rocsparse_direction_NS_24const_host_device_scalarIT2_EEPKiS8_PKS5_SA_S6_PS5_21rocsparse_index_base_b.has_dyn_sized_stack, 0
	.set _ZN9rocsparseL19gebsrmvn_4xn_kernelILj128ELj2ELj64E21rocsparse_complex_numIfEEEvi20rocsparse_direction_NS_24const_host_device_scalarIT2_EEPKiS8_PKS5_SA_S6_PS5_21rocsparse_index_base_b.has_recursion, 0
	.set _ZN9rocsparseL19gebsrmvn_4xn_kernelILj128ELj2ELj64E21rocsparse_complex_numIfEEEvi20rocsparse_direction_NS_24const_host_device_scalarIT2_EEPKiS8_PKS5_SA_S6_PS5_21rocsparse_index_base_b.has_indirect_call, 0
	.section	.AMDGPU.csdata,"",@progbits
; Kernel info:
; codeLenInByte = 2604
; TotalNumSgprs: 16
; NumVgprs: 48
; ScratchSize: 0
; MemoryBound: 0
; FloatMode: 240
; IeeeMode: 1
; LDSByteSize: 0 bytes/workgroup (compile time only)
; SGPRBlocks: 0
; VGPRBlocks: 2
; NumSGPRsForWavesPerEU: 16
; NumVGPRsForWavesPerEU: 48
; NamedBarCnt: 0
; Occupancy: 16
; WaveLimiterHint : 1
; COMPUTE_PGM_RSRC2:SCRATCH_EN: 0
; COMPUTE_PGM_RSRC2:USER_SGPR: 2
; COMPUTE_PGM_RSRC2:TRAP_HANDLER: 0
; COMPUTE_PGM_RSRC2:TGID_X_EN: 1
; COMPUTE_PGM_RSRC2:TGID_Y_EN: 0
; COMPUTE_PGM_RSRC2:TGID_Z_EN: 0
; COMPUTE_PGM_RSRC2:TIDIG_COMP_CNT: 0
	.section	.text._ZN9rocsparseL19gebsrmvn_4xn_kernelILj128ELj3ELj4E21rocsparse_complex_numIfEEEvi20rocsparse_direction_NS_24const_host_device_scalarIT2_EEPKiS8_PKS5_SA_S6_PS5_21rocsparse_index_base_b,"axG",@progbits,_ZN9rocsparseL19gebsrmvn_4xn_kernelILj128ELj3ELj4E21rocsparse_complex_numIfEEEvi20rocsparse_direction_NS_24const_host_device_scalarIT2_EEPKiS8_PKS5_SA_S6_PS5_21rocsparse_index_base_b,comdat
	.globl	_ZN9rocsparseL19gebsrmvn_4xn_kernelILj128ELj3ELj4E21rocsparse_complex_numIfEEEvi20rocsparse_direction_NS_24const_host_device_scalarIT2_EEPKiS8_PKS5_SA_S6_PS5_21rocsparse_index_base_b ; -- Begin function _ZN9rocsparseL19gebsrmvn_4xn_kernelILj128ELj3ELj4E21rocsparse_complex_numIfEEEvi20rocsparse_direction_NS_24const_host_device_scalarIT2_EEPKiS8_PKS5_SA_S6_PS5_21rocsparse_index_base_b
	.p2align	8
	.type	_ZN9rocsparseL19gebsrmvn_4xn_kernelILj128ELj3ELj4E21rocsparse_complex_numIfEEEvi20rocsparse_direction_NS_24const_host_device_scalarIT2_EEPKiS8_PKS5_SA_S6_PS5_21rocsparse_index_base_b,@function
_ZN9rocsparseL19gebsrmvn_4xn_kernelILj128ELj3ELj4E21rocsparse_complex_numIfEEEvi20rocsparse_direction_NS_24const_host_device_scalarIT2_EEPKiS8_PKS5_SA_S6_PS5_21rocsparse_index_base_b: ; @_ZN9rocsparseL19gebsrmvn_4xn_kernelILj128ELj3ELj4E21rocsparse_complex_numIfEEEvi20rocsparse_direction_NS_24const_host_device_scalarIT2_EEPKiS8_PKS5_SA_S6_PS5_21rocsparse_index_base_b
; %bb.0:
	s_clause 0x2
	s_load_b64 s[12:13], s[0:1], 0x40
	s_load_b64 s[2:3], s[0:1], 0x8
	s_load_b64 s[4:5], s[0:1], 0x30
	v_mov_b32_e32 v1, 0
	s_add_nc_u64 s[6:7], s[0:1], 8
	s_add_nc_u64 s[8:9], s[0:1], 48
	s_wait_kmcnt 0x0
	s_bitcmp1_b32 s13, 0
	s_cselect_b32 s3, s7, s3
	s_cselect_b32 s2, s6, s2
	;; [unrolled: 1-line block ×4, first 2 shown]
	s_clause 0x1
	flat_load_b64 v[2:3], v1, s[2:3]
	flat_load_b64 v[4:5], v1, s[4:5]
	s_wait_loadcnt_dscnt 0x101
	v_cmp_eq_f32_e32 vcc_lo, 0, v2
	v_cmp_eq_f32_e64 s2, 0, v3
	s_wait_loadcnt_dscnt 0x0
	v_cmp_eq_f32_e64 s3, 1.0, v4
	v_cmp_eq_f32_e64 s4, 0, v5
	s_and_b32 s2, vcc_lo, s2
	s_and_b32 s3, s3, s4
	s_delay_alu instid0(SALU_CYCLE_1) | instskip(NEXT) | instid1(SALU_CYCLE_1)
	s_and_b32 s2, s2, s3
	s_xor_b32 s2, s2, -1
	s_delay_alu instid0(SALU_CYCLE_1)
	s_and_saveexec_b32 s3, s2
	s_cbranch_execz .LBB84_19
; %bb.1:
	s_load_b64 s[2:3], s[0:1], 0x0
	s_bfe_u32 s4, ttmp6, 0x4000c
	s_and_b32 s5, ttmp6, 15
	s_add_co_i32 s4, s4, 1
	s_getreg_b32 s6, hwreg(HW_REG_IB_STS2, 6, 4)
	s_mul_i32 s4, ttmp9, s4
	v_lshrrev_b32_e32 v1, 2, v0
	s_add_co_i32 s5, s5, s4
	s_cmp_eq_u32 s6, 0
	s_cselect_b32 s4, ttmp9, s5
	s_delay_alu instid0(VALU_DEP_1) | instid1(SALU_CYCLE_1)
	v_lshl_or_b32 v6, s4, 5, v1
	s_wait_kmcnt 0x0
	s_delay_alu instid0(VALU_DEP_1)
	v_cmp_gt_i32_e32 vcc_lo, s2, v6
	s_and_b32 exec_lo, exec_lo, vcc_lo
	s_cbranch_execz .LBB84_19
; %bb.2:
	s_load_b256 s[4:11], s[0:1], 0x10
	v_ashrrev_i32_e32 v7, 31, v6
	s_cmp_lg_u32 s3, 0
	s_wait_kmcnt 0x0
	s_delay_alu instid0(VALU_DEP_1)
	v_lshl_add_u64 v[8:9], v[6:7], 2, s[4:5]
	v_and_b32_e32 v7, 3, v0
	global_load_b64 v[8:9], v[8:9], off
	s_wait_loadcnt 0x0
	v_subrev_nc_u32_e32 v0, s12, v8
	v_subrev_nc_u32_e32 v16, s12, v9
	s_delay_alu instid0(VALU_DEP_2) | instskip(NEXT) | instid1(VALU_DEP_1)
	v_add_nc_u32_e32 v17, v0, v7
	v_cmp_lt_i32_e64 s2, v17, v16
	s_cbranch_scc0 .LBB84_8
; %bb.3:
	v_mov_b32_e32 v9, 0
	s_delay_alu instid0(VALU_DEP_1)
	v_dual_mov_b32 v8, v9 :: v_dual_mov_b32 v1, v9
	v_dual_mov_b32 v0, v9 :: v_dual_mov_b32 v11, v9
	;; [unrolled: 1-line block ×3, first 2 shown]
	v_mov_b32_e32 v12, v9
	s_and_saveexec_b32 s3, s2
	s_cbranch_execz .LBB84_7
; %bb.4:
	v_mul_lo_u32 v14, v17, 12
	v_dual_mov_b32 v15, 0 :: v_dual_mov_b32 v18, v17
	s_mov_b32 s4, 0
	s_delay_alu instid0(VALU_DEP_1)
	v_dual_mov_b32 v12, v15 :: v_dual_mov_b32 v13, v15
	v_dual_mov_b32 v10, v15 :: v_dual_mov_b32 v11, v15
	;; [unrolled: 1-line block ×4, first 2 shown]
.LBB84_5:                               ; =>This Inner Loop Header: Depth=1
	global_load_b32 v19, v18, s[6:7] scale_offset
	v_dual_mov_b32 v21, v15 :: v_dual_add_nc_u32 v20, 4, v14
	v_dual_mov_b32 v23, v15 :: v_dual_add_nc_u32 v22, 8, v14
	v_lshl_add_u64 v[28:29], v[14:15], 3, s[8:9]
	s_delay_alu instid0(VALU_DEP_3) | instskip(NEXT) | instid1(VALU_DEP_3)
	v_lshl_add_u64 v[40:41], v[20:21], 3, s[8:9]
	v_lshl_add_u64 v[44:45], v[22:23], 3, s[8:9]
	s_clause 0x1
	global_load_b128 v[20:23], v[28:29], off offset:16
	global_load_b128 v[24:27], v[28:29], off
	s_wait_xcnt 0x2
	v_add_nc_u32_e32 v18, 4, v18
	global_load_b128 v[28:31], v[40:41], off
	v_add_nc_u32_e32 v14, 48, v14
	s_wait_loadcnt 0x3
	v_subrev_nc_u32_e32 v19, s12, v19
	s_delay_alu instid0(VALU_DEP_1)
	v_lshl_add_u32 v19, v19, 1, v19
	global_load_b128 v[32:35], v[44:45], off
	global_load_b64 v[46:47], v19, s[10:11] scale_offset
	global_load_b128 v[36:39], v[40:41], off offset:16
	s_wait_xcnt 0x1
	v_dual_add_nc_u32 v52, 1, v19 :: v_dual_add_nc_u32 v19, 2, v19
	s_wait_loadcnt 0x5
	v_mov_b32_e32 v53, v22
	s_wait_loadcnt 0x3
	v_xor_b32_e32 v54, 0x80000000, v31
	v_mov_b32_e32 v55, v30
	global_load_b64 v[48:49], v52, s[10:11] scale_offset
	global_load_b128 v[40:43], v[44:45], off offset:16
	global_load_b64 v[50:51], v19, s[10:11] scale_offset
	s_wait_xcnt 0x1
	v_xor_b32_e32 v44, 0x80000000, v27
	v_mov_b32_e32 v45, v26
	v_xor_b32_e32 v52, 0x80000000, v23
	v_cmp_ge_i32_e32 vcc_lo, v18, v16
	s_or_b32 s4, vcc_lo, s4
	s_wait_loadcnt 0x5
	v_mov_b32_e32 v57, v34
	s_wait_loadcnt 0x4
	v_pk_fma_f32 v[8:9], v[24:25], v[46:47], v[8:9] op_sel_hi:[1,0,1]
	v_pk_fma_f32 v[12:13], v[26:27], v[46:47], v[12:13] op_sel_hi:[1,0,1]
	v_pk_fma_f32 v[10:11], v[20:21], v[46:47], v[10:11] op_sel_hi:[1,0,1]
	v_pk_fma_f32 v[0:1], v[22:23], v[46:47], v[0:1] op_sel_hi:[1,0,1]
	s_wait_loadcnt 0x3
	v_xor_b32_e32 v22, 0x80000000, v39
	v_pk_fma_f32 v[8:9], v[24:25], v[46:47], v[8:9] op_sel:[1,1,0] op_sel_hi:[0,1,1] neg_lo:[1,0,0]
	v_pk_fma_f32 v[12:13], v[44:45], v[46:47], v[12:13] op_sel:[0,1,0]
	v_pk_fma_f32 v[10:11], v[20:21], v[46:47], v[10:11] op_sel:[1,1,0] op_sel_hi:[0,1,1] neg_lo:[1,0,0]
	v_pk_fma_f32 v[0:1], v[52:53], v[46:47], v[0:1] op_sel:[0,1,0]
	s_wait_loadcnt 0x1
	v_dual_mov_b32 v23, v38 :: v_dual_mov_b32 v21, v42
	v_pk_fma_f32 v[8:9], v[28:29], v[48:49], v[8:9] op_sel_hi:[1,0,1]
	v_pk_fma_f32 v[12:13], v[30:31], v[48:49], v[12:13] op_sel_hi:[1,0,1]
	;; [unrolled: 1-line block ×4, first 2 shown]
	v_xor_b32_e32 v56, 0x80000000, v35
	v_pk_fma_f32 v[8:9], v[28:29], v[48:49], v[8:9] op_sel:[1,1,0] op_sel_hi:[0,1,1] neg_lo:[1,0,0]
	v_pk_fma_f32 v[12:13], v[54:55], v[48:49], v[12:13] op_sel:[0,1,0]
	v_pk_fma_f32 v[10:11], v[36:37], v[48:49], v[10:11] op_sel:[1,1,0] op_sel_hi:[0,1,1] neg_lo:[1,0,0]
	v_pk_fma_f32 v[0:1], v[22:23], v[48:49], v[0:1] op_sel:[0,1,0]
	v_xor_b32_e32 v20, 0x80000000, v43
	s_wait_loadcnt 0x0
	v_pk_fma_f32 v[8:9], v[32:33], v[50:51], v[8:9] op_sel_hi:[1,0,1]
	v_pk_fma_f32 v[12:13], v[34:35], v[50:51], v[12:13] op_sel_hi:[1,0,1]
	;; [unrolled: 1-line block ×4, first 2 shown]
	s_delay_alu instid0(VALU_DEP_4) | instskip(NEXT) | instid1(VALU_DEP_4)
	v_pk_fma_f32 v[8:9], v[32:33], v[50:51], v[8:9] op_sel:[1,1,0] op_sel_hi:[0,1,1] neg_lo:[1,0,0]
	v_pk_fma_f32 v[12:13], v[56:57], v[50:51], v[12:13] op_sel:[0,1,0]
	s_delay_alu instid0(VALU_DEP_4) | instskip(NEXT) | instid1(VALU_DEP_4)
	v_pk_fma_f32 v[10:11], v[40:41], v[50:51], v[10:11] op_sel:[1,1,0] op_sel_hi:[0,1,1] neg_lo:[1,0,0]
	v_pk_fma_f32 v[0:1], v[20:21], v[50:51], v[0:1] op_sel:[0,1,0]
	s_and_not1_b32 exec_lo, exec_lo, s4
	s_cbranch_execnz .LBB84_5
; %bb.6:
	s_or_b32 exec_lo, exec_lo, s4
.LBB84_7:
	s_delay_alu instid0(SALU_CYCLE_1)
	s_or_b32 exec_lo, exec_lo, s3
	s_cbranch_execz .LBB84_9
	s_branch .LBB84_14
.LBB84_8:
                                        ; implicit-def: $vgpr9
                                        ; implicit-def: $vgpr1
                                        ; implicit-def: $vgpr11
                                        ; implicit-def: $vgpr13
.LBB84_9:
	v_mov_b32_e32 v9, 0
	s_delay_alu instid0(VALU_DEP_1)
	v_dual_mov_b32 v8, v9 :: v_dual_mov_b32 v1, v9
	v_dual_mov_b32 v0, v9 :: v_dual_mov_b32 v11, v9
	;; [unrolled: 1-line block ×3, first 2 shown]
	v_mov_b32_e32 v12, v9
	s_and_saveexec_b32 s3, s2
	s_cbranch_execz .LBB84_13
; %bb.10:
	v_mad_u32 v18, v17, 12, 11
	v_mov_b32_e32 v15, 0
	s_mov_b32 s2, 0
	s_delay_alu instid0(VALU_DEP_1)
	v_dual_mov_b32 v12, v15 :: v_dual_mov_b32 v13, v15
	v_dual_mov_b32 v10, v15 :: v_dual_mov_b32 v11, v15
	;; [unrolled: 1-line block ×4, first 2 shown]
.LBB84_11:                              ; =>This Inner Loop Header: Depth=1
	global_load_b32 v19, v17, s[6:7] scale_offset
	v_dual_add_nc_u32 v14, -11, v18 :: v_dual_add_nc_u32 v20, -5, v18
	v_dual_add_nc_u32 v21, -2, v18 :: v_dual_add_nc_u32 v22, -7, v18
	;; [unrolled: 1-line block ×3, first 2 shown]
	s_delay_alu instid0(VALU_DEP_3)
	v_lshl_add_u64 v[28:29], v[14:15], 3, s[8:9]
	s_clause 0x3
	global_load_b64 v[30:31], v22, s[8:9] scale_offset
	global_load_b64 v[32:33], v23, s[8:9] scale_offset
	;; [unrolled: 1-line block ×4, first 2 shown]
	v_dual_add_nc_u32 v46, -1, v18 :: v_dual_add_nc_u32 v47, -3, v18
	global_load_b128 v[20:23], v[28:29], off offset:16
	v_add_nc_u32_e32 v17, 4, v17
	s_wait_loadcnt 0x5
	v_subrev_nc_u32_e32 v14, s12, v19
	s_delay_alu instid0(VALU_DEP_1)
	v_lshl_add_u32 v14, v14, 1, v14
	global_load_b128 v[24:27], v[28:29], off
	global_load_b64 v[38:39], v14, s[10:11] scale_offset
	global_load_b64 v[40:41], v42, s[8:9] scale_offset
	s_wait_xcnt 0x1
	v_dual_add_nc_u32 v19, 1, v14 :: v_dual_add_nc_u32 v14, 2, v14
	global_load_b64 v[28:29], v46, s[8:9] scale_offset
	global_load_b64 v[42:43], v19, s[10:11] scale_offset
	s_clause 0x1
	global_load_b64 v[44:45], v47, s[8:9] scale_offset
	global_load_b64 v[46:47], v18, s[8:9] scale_offset
	;; [unrolled: 1-line block ×3, first 2 shown]
	s_wait_loadcnt 0x8
	v_xor_b32_e32 v50, 0x80000000, v23
	s_wait_xcnt 0x1
	v_dual_mov_b32 v51, v22 :: v_dual_add_nc_u32 v18, 48, v18
	v_cmp_ge_i32_e32 vcc_lo, v17, v16
	s_or_b32 s2, vcc_lo, s2
	s_wait_loadcnt 0x6
	v_pk_fma_f32 v[8:9], v[24:25], v[38:39], v[8:9] op_sel_hi:[1,0,1]
	v_pk_fma_f32 v[12:13], v[22:23], v[38:39], v[12:13] op_sel_hi:[1,0,1]
	;; [unrolled: 1-line block ×4, first 2 shown]
	v_mov_b32_e32 v23, v26
	v_pk_fma_f32 v[8:9], v[24:25], v[38:39], v[8:9] op_sel:[1,1,0] op_sel_hi:[0,1,1] neg_lo:[1,0,0]
	v_pk_fma_f32 v[12:13], v[50:51], v[38:39], v[12:13] op_sel:[0,1,0]
	v_pk_fma_f32 v[10:11], v[34:35], v[38:39], v[10:11] op_sel:[1,1,0] op_sel_hi:[0,1,1] neg_lo:[1,0,0]
	v_pk_fma_f32 v[0:1], v[36:37], v[38:39], v[0:1] op_sel:[1,1,0] op_sel_hi:[0,1,1] neg_lo:[1,0,0]
	v_xor_b32_e32 v22, 0x80000000, v27
	s_wait_loadcnt 0x3
	v_pk_fma_f32 v[8:9], v[26:27], v[42:43], v[8:9] op_sel_hi:[1,0,1]
	v_pk_fma_f32 v[12:13], v[30:31], v[42:43], v[12:13] op_sel_hi:[1,0,1]
	;; [unrolled: 1-line block ×4, first 2 shown]
	s_delay_alu instid0(VALU_DEP_4) | instskip(NEXT) | instid1(VALU_DEP_4)
	v_pk_fma_f32 v[8:9], v[22:23], v[42:43], v[8:9] op_sel:[0,1,0]
	v_pk_fma_f32 v[12:13], v[30:31], v[42:43], v[12:13] op_sel:[1,1,0] op_sel_hi:[0,1,1] neg_lo:[1,0,0]
	s_delay_alu instid0(VALU_DEP_4) | instskip(NEXT) | instid1(VALU_DEP_4)
	v_pk_fma_f32 v[10:11], v[40:41], v[42:43], v[10:11] op_sel:[1,1,0] op_sel_hi:[0,1,1] neg_lo:[1,0,0]
	v_pk_fma_f32 v[0:1], v[28:29], v[42:43], v[0:1] op_sel:[1,1,0] op_sel_hi:[0,1,1] neg_lo:[1,0,0]
	s_wait_loadcnt 0x0
	v_pk_fma_f32 v[8:9], v[20:21], v[48:49], v[8:9] op_sel_hi:[1,0,1]
	v_pk_fma_f32 v[12:13], v[32:33], v[48:49], v[12:13] op_sel_hi:[1,0,1]
	;; [unrolled: 1-line block ×4, first 2 shown]
	s_delay_alu instid0(VALU_DEP_4) | instskip(NEXT) | instid1(VALU_DEP_4)
	v_pk_fma_f32 v[8:9], v[20:21], v[48:49], v[8:9] op_sel:[1,1,0] op_sel_hi:[0,1,1] neg_lo:[1,0,0]
	v_pk_fma_f32 v[12:13], v[32:33], v[48:49], v[12:13] op_sel:[1,1,0] op_sel_hi:[0,1,1] neg_lo:[1,0,0]
	s_delay_alu instid0(VALU_DEP_4) | instskip(NEXT) | instid1(VALU_DEP_4)
	v_pk_fma_f32 v[10:11], v[44:45], v[48:49], v[10:11] op_sel:[1,1,0] op_sel_hi:[0,1,1] neg_lo:[1,0,0]
	v_pk_fma_f32 v[0:1], v[46:47], v[48:49], v[0:1] op_sel:[1,1,0] op_sel_hi:[0,1,1] neg_lo:[1,0,0]
	s_and_not1_b32 exec_lo, exec_lo, s2
	s_cbranch_execnz .LBB84_11
; %bb.12:
	s_or_b32 exec_lo, exec_lo, s2
.LBB84_13:
	s_delay_alu instid0(SALU_CYCLE_1)
	s_or_b32 exec_lo, exec_lo, s3
.LBB84_14:
	v_mbcnt_lo_u32_b32 v14, -1, 0
	s_delay_alu instid0(VALU_DEP_1) | instskip(SKIP_1) | instid1(VALU_DEP_1)
	v_xor_b32_e32 v23, 1, v14
	v_xor_b32_e32 v15, 2, v14
	v_cmp_gt_i32_e32 vcc_lo, 32, v15
	v_cndmask_b32_e32 v15, v14, v15, vcc_lo
	s_delay_alu instid0(VALU_DEP_4) | instskip(SKIP_2) | instid1(VALU_DEP_2)
	v_cmp_gt_i32_e32 vcc_lo, 32, v23
	v_cndmask_b32_e32 v14, v14, v23, vcc_lo
	v_cmp_eq_u32_e32 vcc_lo, 3, v7
	v_dual_lshlrev_b32 v23, 2, v14 :: v_dual_lshlrev_b32 v15, 2, v15
	ds_bpermute_b32 v16, v15, v8
	s_wait_dscnt 0x0
	v_add_f32_e32 v8, v8, v16
	ds_bpermute_b32 v17, v15, v9
	ds_bpermute_b32 v18, v15, v12
	;; [unrolled: 1-line block ×7, first 2 shown]
	s_wait_dscnt 0x5
	v_dual_add_f32 v14, v9, v17 :: v_dual_add_f32 v12, v12, v18
	s_wait_dscnt 0x3
	v_dual_add_f32 v13, v13, v19 :: v_dual_add_f32 v10, v10, v20
	;; [unrolled: 2-line block ×3, first 2 shown]
	s_wait_dscnt 0x0
	v_add_f32_e32 v1, v1, v15
	ds_bpermute_b32 v0, v23, v8
	ds_bpermute_b32 v16, v23, v14
	;; [unrolled: 1-line block ×8, first 2 shown]
	s_and_b32 exec_lo, exec_lo, vcc_lo
	s_cbranch_execz .LBB84_19
; %bb.15:
	s_load_b64 s[2:3], s[0:1], 0x38
	v_cmp_eq_f32_e32 vcc_lo, 0, v4
	s_wait_xcnt 0x0
	v_cmp_eq_f32_e64 s0, 0, v5
	s_wait_dscnt 0x7
	v_add_f32_e32 v0, v8, v0
	s_wait_dscnt 0x5
	v_dual_add_f32 v20, v14, v16 :: v_dual_add_f32 v8, v12, v18
	s_wait_dscnt 0x3
	v_dual_add_f32 v18, v13, v19 :: v_dual_add_f32 v10, v10, v21
	;; [unrolled: 2-line block ×3, first 2 shown]
	s_wait_dscnt 0x0
	v_add_f32_e32 v14, v1, v17
	s_and_b32 s0, vcc_lo, s0
	s_delay_alu instid0(SALU_CYCLE_1) | instskip(NEXT) | instid1(SALU_CYCLE_1)
	s_and_saveexec_b32 s1, s0
	s_xor_b32 s0, exec_lo, s1
	s_cbranch_execz .LBB84_17
; %bb.16:
	v_xor_b32_e32 v4, 0x80000000, v3
	v_dual_mov_b32 v5, v2 :: v_dual_lshlrev_b32 v6, 2, v6
	s_delay_alu instid0(VALU_DEP_1) | instskip(NEXT) | instid1(VALU_DEP_2)
	v_ashrrev_i32_e32 v7, 31, v6
	v_pk_mul_f32 v[20:21], v[20:21], v[4:5] op_sel_hi:[0,1]
	v_pk_mul_f32 v[18:19], v[18:19], v[4:5] op_sel_hi:[0,1]
	;; [unrolled: 1-line block ×4, first 2 shown]
	s_wait_kmcnt 0x0
	v_lshl_add_u64 v[22:23], v[6:7], 3, s[2:3]
	v_pk_fma_f32 v[4:5], v[2:3], v[0:1], v[20:21] op_sel_hi:[1,0,1]
	v_pk_fma_f32 v[6:7], v[2:3], v[8:9], v[18:19] op_sel_hi:[1,0,1]
	;; [unrolled: 1-line block ×4, first 2 shown]
	s_clause 0x1
	global_store_b128 v[22:23], v[4:7], off
	global_store_b128 v[22:23], v[0:3], off offset:16
                                        ; implicit-def: $vgpr6
                                        ; implicit-def: $vgpr0
                                        ; implicit-def: $vgpr20
                                        ; implicit-def: $vgpr8
                                        ; implicit-def: $vgpr18
                                        ; implicit-def: $vgpr10
                                        ; implicit-def: $vgpr16
                                        ; implicit-def: $vgpr12
                                        ; implicit-def: $vgpr14
                                        ; implicit-def: $vgpr2_vgpr3
                                        ; implicit-def: $vgpr4_vgpr5
.LBB84_17:
	s_wait_xcnt 0x0
	s_and_not1_saveexec_b32 s0, s0
	s_cbranch_execz .LBB84_19
; %bb.18:
	v_lshlrev_b32_e32 v6, 2, v6
	v_xor_b32_e32 v32, 0x80000000, v5
	s_delay_alu instid0(VALU_DEP_2) | instskip(SKIP_1) | instid1(VALU_DEP_1)
	v_dual_mov_b32 v33, v4 :: v_dual_ashrrev_i32 v7, 31, v6
	s_wait_kmcnt 0x0
	v_lshl_add_u64 v[30:31], v[6:7], 3, s[2:3]
	v_xor_b32_e32 v6, 0x80000000, v3
	v_mov_b32_e32 v7, v2
	s_clause 0x1
	global_load_b128 v[22:25], v[30:31], off
	global_load_b128 v[26:29], v[30:31], off offset:16
	v_pk_mul_f32 v[20:21], v[20:21], v[6:7] op_sel_hi:[0,1]
	v_pk_mul_f32 v[18:19], v[18:19], v[6:7] op_sel_hi:[0,1]
	;; [unrolled: 1-line block ×4, first 2 shown]
	s_delay_alu instid0(VALU_DEP_4) | instskip(NEXT) | instid1(VALU_DEP_4)
	v_pk_fma_f32 v[0:1], v[2:3], v[0:1], v[20:21] op_sel_hi:[1,0,1]
	v_pk_fma_f32 v[8:9], v[2:3], v[8:9], v[18:19] op_sel_hi:[1,0,1]
	s_delay_alu instid0(VALU_DEP_4) | instskip(NEXT) | instid1(VALU_DEP_4)
	v_pk_fma_f32 v[10:11], v[2:3], v[10:11], v[16:17] op_sel_hi:[1,0,1]
	v_pk_fma_f32 v[2:3], v[2:3], v[12:13], v[6:7] op_sel_hi:[1,0,1]
	s_wait_loadcnt 0x1
	v_pk_fma_f32 v[0:1], v[4:5], v[22:23], v[0:1] op_sel_hi:[1,0,1]
	v_pk_fma_f32 v[6:7], v[4:5], v[24:25], v[8:9] op_sel_hi:[1,0,1]
	s_wait_loadcnt 0x0
	v_dual_mov_b32 v8, v25 :: v_dual_mov_b32 v14, v29
	v_pk_fma_f32 v[10:11], v[4:5], v[26:27], v[10:11] op_sel_hi:[1,0,1]
	v_pk_fma_f32 v[12:13], v[4:5], v[28:29], v[2:3] op_sel_hi:[1,0,1]
	v_pk_fma_f32 v[0:1], v[32:33], v[22:23], v[0:1] op_sel:[0,1,0]
	s_delay_alu instid0(VALU_DEP_4) | instskip(NEXT) | instid1(VALU_DEP_4)
	v_pk_fma_f32 v[2:3], v[32:33], v[8:9], v[6:7] op_sel_hi:[1,0,1]
	v_pk_fma_f32 v[4:5], v[32:33], v[26:27], v[10:11] op_sel:[0,1,0]
	s_delay_alu instid0(VALU_DEP_4)
	v_pk_fma_f32 v[6:7], v[32:33], v[14:15], v[12:13] op_sel_hi:[1,0,1]
	s_clause 0x1
	global_store_b128 v[30:31], v[0:3], off
	global_store_b128 v[30:31], v[4:7], off offset:16
.LBB84_19:
	s_endpgm
	.section	.rodata,"a",@progbits
	.p2align	6, 0x0
	.amdhsa_kernel _ZN9rocsparseL19gebsrmvn_4xn_kernelILj128ELj3ELj4E21rocsparse_complex_numIfEEEvi20rocsparse_direction_NS_24const_host_device_scalarIT2_EEPKiS8_PKS5_SA_S6_PS5_21rocsparse_index_base_b
		.amdhsa_group_segment_fixed_size 0
		.amdhsa_private_segment_fixed_size 0
		.amdhsa_kernarg_size 72
		.amdhsa_user_sgpr_count 2
		.amdhsa_user_sgpr_dispatch_ptr 0
		.amdhsa_user_sgpr_queue_ptr 0
		.amdhsa_user_sgpr_kernarg_segment_ptr 1
		.amdhsa_user_sgpr_dispatch_id 0
		.amdhsa_user_sgpr_kernarg_preload_length 0
		.amdhsa_user_sgpr_kernarg_preload_offset 0
		.amdhsa_user_sgpr_private_segment_size 0
		.amdhsa_wavefront_size32 1
		.amdhsa_uses_dynamic_stack 0
		.amdhsa_enable_private_segment 0
		.amdhsa_system_sgpr_workgroup_id_x 1
		.amdhsa_system_sgpr_workgroup_id_y 0
		.amdhsa_system_sgpr_workgroup_id_z 0
		.amdhsa_system_sgpr_workgroup_info 0
		.amdhsa_system_vgpr_workitem_id 0
		.amdhsa_next_free_vgpr 58
		.amdhsa_next_free_sgpr 14
		.amdhsa_named_barrier_count 0
		.amdhsa_reserve_vcc 1
		.amdhsa_float_round_mode_32 0
		.amdhsa_float_round_mode_16_64 0
		.amdhsa_float_denorm_mode_32 3
		.amdhsa_float_denorm_mode_16_64 3
		.amdhsa_fp16_overflow 0
		.amdhsa_memory_ordered 1
		.amdhsa_forward_progress 1
		.amdhsa_inst_pref_size 19
		.amdhsa_round_robin_scheduling 0
		.amdhsa_exception_fp_ieee_invalid_op 0
		.amdhsa_exception_fp_denorm_src 0
		.amdhsa_exception_fp_ieee_div_zero 0
		.amdhsa_exception_fp_ieee_overflow 0
		.amdhsa_exception_fp_ieee_underflow 0
		.amdhsa_exception_fp_ieee_inexact 0
		.amdhsa_exception_int_div_zero 0
	.end_amdhsa_kernel
	.section	.text._ZN9rocsparseL19gebsrmvn_4xn_kernelILj128ELj3ELj4E21rocsparse_complex_numIfEEEvi20rocsparse_direction_NS_24const_host_device_scalarIT2_EEPKiS8_PKS5_SA_S6_PS5_21rocsparse_index_base_b,"axG",@progbits,_ZN9rocsparseL19gebsrmvn_4xn_kernelILj128ELj3ELj4E21rocsparse_complex_numIfEEEvi20rocsparse_direction_NS_24const_host_device_scalarIT2_EEPKiS8_PKS5_SA_S6_PS5_21rocsparse_index_base_b,comdat
.Lfunc_end84:
	.size	_ZN9rocsparseL19gebsrmvn_4xn_kernelILj128ELj3ELj4E21rocsparse_complex_numIfEEEvi20rocsparse_direction_NS_24const_host_device_scalarIT2_EEPKiS8_PKS5_SA_S6_PS5_21rocsparse_index_base_b, .Lfunc_end84-_ZN9rocsparseL19gebsrmvn_4xn_kernelILj128ELj3ELj4E21rocsparse_complex_numIfEEEvi20rocsparse_direction_NS_24const_host_device_scalarIT2_EEPKiS8_PKS5_SA_S6_PS5_21rocsparse_index_base_b
                                        ; -- End function
	.set _ZN9rocsparseL19gebsrmvn_4xn_kernelILj128ELj3ELj4E21rocsparse_complex_numIfEEEvi20rocsparse_direction_NS_24const_host_device_scalarIT2_EEPKiS8_PKS5_SA_S6_PS5_21rocsparse_index_base_b.num_vgpr, 58
	.set _ZN9rocsparseL19gebsrmvn_4xn_kernelILj128ELj3ELj4E21rocsparse_complex_numIfEEEvi20rocsparse_direction_NS_24const_host_device_scalarIT2_EEPKiS8_PKS5_SA_S6_PS5_21rocsparse_index_base_b.num_agpr, 0
	.set _ZN9rocsparseL19gebsrmvn_4xn_kernelILj128ELj3ELj4E21rocsparse_complex_numIfEEEvi20rocsparse_direction_NS_24const_host_device_scalarIT2_EEPKiS8_PKS5_SA_S6_PS5_21rocsparse_index_base_b.numbered_sgpr, 14
	.set _ZN9rocsparseL19gebsrmvn_4xn_kernelILj128ELj3ELj4E21rocsparse_complex_numIfEEEvi20rocsparse_direction_NS_24const_host_device_scalarIT2_EEPKiS8_PKS5_SA_S6_PS5_21rocsparse_index_base_b.num_named_barrier, 0
	.set _ZN9rocsparseL19gebsrmvn_4xn_kernelILj128ELj3ELj4E21rocsparse_complex_numIfEEEvi20rocsparse_direction_NS_24const_host_device_scalarIT2_EEPKiS8_PKS5_SA_S6_PS5_21rocsparse_index_base_b.private_seg_size, 0
	.set _ZN9rocsparseL19gebsrmvn_4xn_kernelILj128ELj3ELj4E21rocsparse_complex_numIfEEEvi20rocsparse_direction_NS_24const_host_device_scalarIT2_EEPKiS8_PKS5_SA_S6_PS5_21rocsparse_index_base_b.uses_vcc, 1
	.set _ZN9rocsparseL19gebsrmvn_4xn_kernelILj128ELj3ELj4E21rocsparse_complex_numIfEEEvi20rocsparse_direction_NS_24const_host_device_scalarIT2_EEPKiS8_PKS5_SA_S6_PS5_21rocsparse_index_base_b.uses_flat_scratch, 1
	.set _ZN9rocsparseL19gebsrmvn_4xn_kernelILj128ELj3ELj4E21rocsparse_complex_numIfEEEvi20rocsparse_direction_NS_24const_host_device_scalarIT2_EEPKiS8_PKS5_SA_S6_PS5_21rocsparse_index_base_b.has_dyn_sized_stack, 0
	.set _ZN9rocsparseL19gebsrmvn_4xn_kernelILj128ELj3ELj4E21rocsparse_complex_numIfEEEvi20rocsparse_direction_NS_24const_host_device_scalarIT2_EEPKiS8_PKS5_SA_S6_PS5_21rocsparse_index_base_b.has_recursion, 0
	.set _ZN9rocsparseL19gebsrmvn_4xn_kernelILj128ELj3ELj4E21rocsparse_complex_numIfEEEvi20rocsparse_direction_NS_24const_host_device_scalarIT2_EEPKiS8_PKS5_SA_S6_PS5_21rocsparse_index_base_b.has_indirect_call, 0
	.section	.AMDGPU.csdata,"",@progbits
; Kernel info:
; codeLenInByte = 2412
; TotalNumSgprs: 16
; NumVgprs: 58
; ScratchSize: 0
; MemoryBound: 0
; FloatMode: 240
; IeeeMode: 1
; LDSByteSize: 0 bytes/workgroup (compile time only)
; SGPRBlocks: 0
; VGPRBlocks: 3
; NumSGPRsForWavesPerEU: 16
; NumVGPRsForWavesPerEU: 58
; NamedBarCnt: 0
; Occupancy: 16
; WaveLimiterHint : 1
; COMPUTE_PGM_RSRC2:SCRATCH_EN: 0
; COMPUTE_PGM_RSRC2:USER_SGPR: 2
; COMPUTE_PGM_RSRC2:TRAP_HANDLER: 0
; COMPUTE_PGM_RSRC2:TGID_X_EN: 1
; COMPUTE_PGM_RSRC2:TGID_Y_EN: 0
; COMPUTE_PGM_RSRC2:TGID_Z_EN: 0
; COMPUTE_PGM_RSRC2:TIDIG_COMP_CNT: 0
	.section	.text._ZN9rocsparseL19gebsrmvn_4xn_kernelILj128ELj3ELj8E21rocsparse_complex_numIfEEEvi20rocsparse_direction_NS_24const_host_device_scalarIT2_EEPKiS8_PKS5_SA_S6_PS5_21rocsparse_index_base_b,"axG",@progbits,_ZN9rocsparseL19gebsrmvn_4xn_kernelILj128ELj3ELj8E21rocsparse_complex_numIfEEEvi20rocsparse_direction_NS_24const_host_device_scalarIT2_EEPKiS8_PKS5_SA_S6_PS5_21rocsparse_index_base_b,comdat
	.globl	_ZN9rocsparseL19gebsrmvn_4xn_kernelILj128ELj3ELj8E21rocsparse_complex_numIfEEEvi20rocsparse_direction_NS_24const_host_device_scalarIT2_EEPKiS8_PKS5_SA_S6_PS5_21rocsparse_index_base_b ; -- Begin function _ZN9rocsparseL19gebsrmvn_4xn_kernelILj128ELj3ELj8E21rocsparse_complex_numIfEEEvi20rocsparse_direction_NS_24const_host_device_scalarIT2_EEPKiS8_PKS5_SA_S6_PS5_21rocsparse_index_base_b
	.p2align	8
	.type	_ZN9rocsparseL19gebsrmvn_4xn_kernelILj128ELj3ELj8E21rocsparse_complex_numIfEEEvi20rocsparse_direction_NS_24const_host_device_scalarIT2_EEPKiS8_PKS5_SA_S6_PS5_21rocsparse_index_base_b,@function
_ZN9rocsparseL19gebsrmvn_4xn_kernelILj128ELj3ELj8E21rocsparse_complex_numIfEEEvi20rocsparse_direction_NS_24const_host_device_scalarIT2_EEPKiS8_PKS5_SA_S6_PS5_21rocsparse_index_base_b: ; @_ZN9rocsparseL19gebsrmvn_4xn_kernelILj128ELj3ELj8E21rocsparse_complex_numIfEEEvi20rocsparse_direction_NS_24const_host_device_scalarIT2_EEPKiS8_PKS5_SA_S6_PS5_21rocsparse_index_base_b
; %bb.0:
	s_clause 0x2
	s_load_b64 s[12:13], s[0:1], 0x40
	s_load_b64 s[2:3], s[0:1], 0x8
	;; [unrolled: 1-line block ×3, first 2 shown]
	v_mov_b32_e32 v1, 0
	s_add_nc_u64 s[6:7], s[0:1], 8
	s_add_nc_u64 s[8:9], s[0:1], 48
	s_wait_kmcnt 0x0
	s_bitcmp1_b32 s13, 0
	s_cselect_b32 s3, s7, s3
	s_cselect_b32 s2, s6, s2
	;; [unrolled: 1-line block ×4, first 2 shown]
	s_clause 0x1
	flat_load_b64 v[2:3], v1, s[2:3]
	flat_load_b64 v[4:5], v1, s[4:5]
	s_wait_loadcnt_dscnt 0x101
	v_cmp_eq_f32_e32 vcc_lo, 0, v2
	v_cmp_eq_f32_e64 s2, 0, v3
	s_wait_loadcnt_dscnt 0x0
	v_cmp_eq_f32_e64 s3, 1.0, v4
	v_cmp_eq_f32_e64 s4, 0, v5
	s_and_b32 s2, vcc_lo, s2
	s_and_b32 s3, s3, s4
	s_delay_alu instid0(SALU_CYCLE_1) | instskip(NEXT) | instid1(SALU_CYCLE_1)
	s_and_b32 s2, s2, s3
	s_xor_b32 s2, s2, -1
	s_delay_alu instid0(SALU_CYCLE_1)
	s_and_saveexec_b32 s3, s2
	s_cbranch_execz .LBB85_19
; %bb.1:
	s_load_b64 s[2:3], s[0:1], 0x0
	s_bfe_u32 s4, ttmp6, 0x4000c
	s_and_b32 s5, ttmp6, 15
	s_add_co_i32 s4, s4, 1
	s_getreg_b32 s6, hwreg(HW_REG_IB_STS2, 6, 4)
	s_mul_i32 s4, ttmp9, s4
	v_lshrrev_b32_e32 v1, 3, v0
	s_add_co_i32 s5, s5, s4
	s_cmp_eq_u32 s6, 0
	s_cselect_b32 s4, ttmp9, s5
	s_delay_alu instid0(VALU_DEP_1) | instid1(SALU_CYCLE_1)
	v_lshl_or_b32 v6, s4, 4, v1
	s_wait_kmcnt 0x0
	s_delay_alu instid0(VALU_DEP_1)
	v_cmp_gt_i32_e32 vcc_lo, s2, v6
	s_and_b32 exec_lo, exec_lo, vcc_lo
	s_cbranch_execz .LBB85_19
; %bb.2:
	s_load_b256 s[4:11], s[0:1], 0x10
	v_ashrrev_i32_e32 v7, 31, v6
	s_cmp_lg_u32 s3, 0
	s_wait_kmcnt 0x0
	s_delay_alu instid0(VALU_DEP_1)
	v_lshl_add_u64 v[8:9], v[6:7], 2, s[4:5]
	v_and_b32_e32 v7, 7, v0
	global_load_b64 v[8:9], v[8:9], off
	s_wait_loadcnt 0x0
	v_subrev_nc_u32_e32 v0, s12, v8
	v_subrev_nc_u32_e32 v16, s12, v9
	s_delay_alu instid0(VALU_DEP_2) | instskip(NEXT) | instid1(VALU_DEP_1)
	v_add_nc_u32_e32 v17, v0, v7
	v_cmp_lt_i32_e64 s2, v17, v16
	s_cbranch_scc0 .LBB85_8
; %bb.3:
	v_mov_b32_e32 v9, 0
	s_delay_alu instid0(VALU_DEP_1)
	v_dual_mov_b32 v8, v9 :: v_dual_mov_b32 v1, v9
	v_dual_mov_b32 v0, v9 :: v_dual_mov_b32 v11, v9
	;; [unrolled: 1-line block ×3, first 2 shown]
	v_mov_b32_e32 v12, v9
	s_and_saveexec_b32 s3, s2
	s_cbranch_execz .LBB85_7
; %bb.4:
	v_mul_lo_u32 v14, v17, 12
	v_dual_mov_b32 v15, 0 :: v_dual_mov_b32 v18, v17
	s_mov_b32 s4, 0
	s_delay_alu instid0(VALU_DEP_1)
	v_dual_mov_b32 v12, v15 :: v_dual_mov_b32 v13, v15
	v_dual_mov_b32 v10, v15 :: v_dual_mov_b32 v11, v15
	;; [unrolled: 1-line block ×4, first 2 shown]
.LBB85_5:                               ; =>This Inner Loop Header: Depth=1
	global_load_b32 v19, v18, s[6:7] scale_offset
	v_dual_mov_b32 v21, v15 :: v_dual_add_nc_u32 v20, 4, v14
	v_dual_mov_b32 v23, v15 :: v_dual_add_nc_u32 v22, 8, v14
	v_lshl_add_u64 v[28:29], v[14:15], 3, s[8:9]
	s_delay_alu instid0(VALU_DEP_3) | instskip(NEXT) | instid1(VALU_DEP_3)
	v_lshl_add_u64 v[40:41], v[20:21], 3, s[8:9]
	v_lshl_add_u64 v[44:45], v[22:23], 3, s[8:9]
	s_clause 0x1
	global_load_b128 v[20:23], v[28:29], off offset:16
	global_load_b128 v[24:27], v[28:29], off
	s_wait_xcnt 0x2
	v_add_nc_u32_e32 v18, 8, v18
	global_load_b128 v[28:31], v[40:41], off
	v_add_nc_u32_e32 v14, 0x60, v14
	s_wait_loadcnt 0x3
	v_subrev_nc_u32_e32 v19, s12, v19
	s_delay_alu instid0(VALU_DEP_1)
	v_lshl_add_u32 v19, v19, 1, v19
	global_load_b128 v[32:35], v[44:45], off
	global_load_b64 v[46:47], v19, s[10:11] scale_offset
	global_load_b128 v[36:39], v[40:41], off offset:16
	s_wait_xcnt 0x1
	v_dual_add_nc_u32 v52, 1, v19 :: v_dual_add_nc_u32 v19, 2, v19
	s_wait_loadcnt 0x5
	v_mov_b32_e32 v53, v22
	s_wait_loadcnt 0x3
	v_xor_b32_e32 v54, 0x80000000, v31
	v_mov_b32_e32 v55, v30
	global_load_b64 v[48:49], v52, s[10:11] scale_offset
	global_load_b128 v[40:43], v[44:45], off offset:16
	global_load_b64 v[50:51], v19, s[10:11] scale_offset
	s_wait_xcnt 0x1
	v_xor_b32_e32 v44, 0x80000000, v27
	v_mov_b32_e32 v45, v26
	v_xor_b32_e32 v52, 0x80000000, v23
	v_cmp_ge_i32_e32 vcc_lo, v18, v16
	s_or_b32 s4, vcc_lo, s4
	s_wait_loadcnt 0x5
	v_mov_b32_e32 v57, v34
	s_wait_loadcnt 0x4
	v_pk_fma_f32 v[8:9], v[24:25], v[46:47], v[8:9] op_sel_hi:[1,0,1]
	v_pk_fma_f32 v[12:13], v[26:27], v[46:47], v[12:13] op_sel_hi:[1,0,1]
	;; [unrolled: 1-line block ×4, first 2 shown]
	s_wait_loadcnt 0x3
	v_xor_b32_e32 v22, 0x80000000, v39
	v_pk_fma_f32 v[8:9], v[24:25], v[46:47], v[8:9] op_sel:[1,1,0] op_sel_hi:[0,1,1] neg_lo:[1,0,0]
	v_pk_fma_f32 v[12:13], v[44:45], v[46:47], v[12:13] op_sel:[0,1,0]
	v_pk_fma_f32 v[10:11], v[20:21], v[46:47], v[10:11] op_sel:[1,1,0] op_sel_hi:[0,1,1] neg_lo:[1,0,0]
	v_pk_fma_f32 v[0:1], v[52:53], v[46:47], v[0:1] op_sel:[0,1,0]
	s_wait_loadcnt 0x1
	v_dual_mov_b32 v23, v38 :: v_dual_mov_b32 v21, v42
	v_pk_fma_f32 v[8:9], v[28:29], v[48:49], v[8:9] op_sel_hi:[1,0,1]
	v_pk_fma_f32 v[12:13], v[30:31], v[48:49], v[12:13] op_sel_hi:[1,0,1]
	;; [unrolled: 1-line block ×4, first 2 shown]
	v_xor_b32_e32 v56, 0x80000000, v35
	v_pk_fma_f32 v[8:9], v[28:29], v[48:49], v[8:9] op_sel:[1,1,0] op_sel_hi:[0,1,1] neg_lo:[1,0,0]
	v_pk_fma_f32 v[12:13], v[54:55], v[48:49], v[12:13] op_sel:[0,1,0]
	v_pk_fma_f32 v[10:11], v[36:37], v[48:49], v[10:11] op_sel:[1,1,0] op_sel_hi:[0,1,1] neg_lo:[1,0,0]
	v_pk_fma_f32 v[0:1], v[22:23], v[48:49], v[0:1] op_sel:[0,1,0]
	v_xor_b32_e32 v20, 0x80000000, v43
	s_wait_loadcnt 0x0
	v_pk_fma_f32 v[8:9], v[32:33], v[50:51], v[8:9] op_sel_hi:[1,0,1]
	v_pk_fma_f32 v[12:13], v[34:35], v[50:51], v[12:13] op_sel_hi:[1,0,1]
	;; [unrolled: 1-line block ×4, first 2 shown]
	s_delay_alu instid0(VALU_DEP_4) | instskip(NEXT) | instid1(VALU_DEP_4)
	v_pk_fma_f32 v[8:9], v[32:33], v[50:51], v[8:9] op_sel:[1,1,0] op_sel_hi:[0,1,1] neg_lo:[1,0,0]
	v_pk_fma_f32 v[12:13], v[56:57], v[50:51], v[12:13] op_sel:[0,1,0]
	s_delay_alu instid0(VALU_DEP_4) | instskip(NEXT) | instid1(VALU_DEP_4)
	v_pk_fma_f32 v[10:11], v[40:41], v[50:51], v[10:11] op_sel:[1,1,0] op_sel_hi:[0,1,1] neg_lo:[1,0,0]
	v_pk_fma_f32 v[0:1], v[20:21], v[50:51], v[0:1] op_sel:[0,1,0]
	s_and_not1_b32 exec_lo, exec_lo, s4
	s_cbranch_execnz .LBB85_5
; %bb.6:
	s_or_b32 exec_lo, exec_lo, s4
.LBB85_7:
	s_delay_alu instid0(SALU_CYCLE_1)
	s_or_b32 exec_lo, exec_lo, s3
	s_cbranch_execz .LBB85_9
	s_branch .LBB85_14
.LBB85_8:
                                        ; implicit-def: $vgpr9
                                        ; implicit-def: $vgpr1
                                        ; implicit-def: $vgpr11
                                        ; implicit-def: $vgpr13
.LBB85_9:
	v_mov_b32_e32 v9, 0
	s_delay_alu instid0(VALU_DEP_1)
	v_dual_mov_b32 v8, v9 :: v_dual_mov_b32 v1, v9
	v_dual_mov_b32 v0, v9 :: v_dual_mov_b32 v11, v9
	;; [unrolled: 1-line block ×3, first 2 shown]
	v_mov_b32_e32 v12, v9
	s_and_saveexec_b32 s3, s2
	s_cbranch_execz .LBB85_13
; %bb.10:
	v_mad_u32 v18, v17, 12, 11
	v_mov_b32_e32 v15, 0
	s_mov_b32 s2, 0
	s_delay_alu instid0(VALU_DEP_1)
	v_dual_mov_b32 v12, v15 :: v_dual_mov_b32 v13, v15
	v_dual_mov_b32 v10, v15 :: v_dual_mov_b32 v11, v15
	;; [unrolled: 1-line block ×4, first 2 shown]
.LBB85_11:                              ; =>This Inner Loop Header: Depth=1
	global_load_b32 v19, v17, s[6:7] scale_offset
	v_dual_add_nc_u32 v14, -11, v18 :: v_dual_add_nc_u32 v20, -5, v18
	v_dual_add_nc_u32 v21, -2, v18 :: v_dual_add_nc_u32 v22, -7, v18
	v_dual_add_nc_u32 v42, -4, v18 :: v_dual_add_nc_u32 v23, -6, v18
	s_delay_alu instid0(VALU_DEP_3)
	v_lshl_add_u64 v[28:29], v[14:15], 3, s[8:9]
	s_clause 0x3
	global_load_b64 v[30:31], v22, s[8:9] scale_offset
	global_load_b64 v[32:33], v23, s[8:9] scale_offset
	;; [unrolled: 1-line block ×4, first 2 shown]
	v_dual_add_nc_u32 v46, -1, v18 :: v_dual_add_nc_u32 v47, -3, v18
	global_load_b128 v[20:23], v[28:29], off offset:16
	v_add_nc_u32_e32 v17, 8, v17
	s_delay_alu instid0(VALU_DEP_1) | instskip(SKIP_3) | instid1(VALU_DEP_1)
	v_cmp_ge_i32_e32 vcc_lo, v17, v16
	s_or_b32 s2, vcc_lo, s2
	s_wait_loadcnt 0x5
	v_subrev_nc_u32_e32 v14, s12, v19
	v_lshl_add_u32 v14, v14, 1, v14
	global_load_b128 v[24:27], v[28:29], off
	global_load_b64 v[38:39], v14, s[10:11] scale_offset
	global_load_b64 v[40:41], v42, s[8:9] scale_offset
	s_wait_xcnt 0x1
	v_dual_add_nc_u32 v19, 1, v14 :: v_dual_add_nc_u32 v14, 2, v14
	global_load_b64 v[28:29], v46, s[8:9] scale_offset
	global_load_b64 v[42:43], v19, s[10:11] scale_offset
	s_clause 0x1
	global_load_b64 v[44:45], v47, s[8:9] scale_offset
	global_load_b64 v[46:47], v18, s[8:9] scale_offset
	;; [unrolled: 1-line block ×3, first 2 shown]
	s_wait_loadcnt 0x8
	v_xor_b32_e32 v50, 0x80000000, v23
	s_wait_xcnt 0x1
	v_dual_mov_b32 v51, v22 :: v_dual_add_nc_u32 v18, 0x60, v18
	s_wait_loadcnt 0x6
	v_pk_fma_f32 v[8:9], v[24:25], v[38:39], v[8:9] op_sel_hi:[1,0,1]
	v_pk_fma_f32 v[12:13], v[22:23], v[38:39], v[12:13] op_sel_hi:[1,0,1]
	;; [unrolled: 1-line block ×4, first 2 shown]
	v_mov_b32_e32 v23, v26
	v_pk_fma_f32 v[8:9], v[24:25], v[38:39], v[8:9] op_sel:[1,1,0] op_sel_hi:[0,1,1] neg_lo:[1,0,0]
	v_pk_fma_f32 v[12:13], v[50:51], v[38:39], v[12:13] op_sel:[0,1,0]
	v_pk_fma_f32 v[10:11], v[34:35], v[38:39], v[10:11] op_sel:[1,1,0] op_sel_hi:[0,1,1] neg_lo:[1,0,0]
	v_pk_fma_f32 v[0:1], v[36:37], v[38:39], v[0:1] op_sel:[1,1,0] op_sel_hi:[0,1,1] neg_lo:[1,0,0]
	v_xor_b32_e32 v22, 0x80000000, v27
	s_wait_loadcnt 0x3
	v_pk_fma_f32 v[8:9], v[26:27], v[42:43], v[8:9] op_sel_hi:[1,0,1]
	v_pk_fma_f32 v[12:13], v[30:31], v[42:43], v[12:13] op_sel_hi:[1,0,1]
	;; [unrolled: 1-line block ×4, first 2 shown]
	s_delay_alu instid0(VALU_DEP_4) | instskip(NEXT) | instid1(VALU_DEP_4)
	v_pk_fma_f32 v[8:9], v[22:23], v[42:43], v[8:9] op_sel:[0,1,0]
	v_pk_fma_f32 v[12:13], v[30:31], v[42:43], v[12:13] op_sel:[1,1,0] op_sel_hi:[0,1,1] neg_lo:[1,0,0]
	s_delay_alu instid0(VALU_DEP_4) | instskip(NEXT) | instid1(VALU_DEP_4)
	v_pk_fma_f32 v[10:11], v[40:41], v[42:43], v[10:11] op_sel:[1,1,0] op_sel_hi:[0,1,1] neg_lo:[1,0,0]
	v_pk_fma_f32 v[0:1], v[28:29], v[42:43], v[0:1] op_sel:[1,1,0] op_sel_hi:[0,1,1] neg_lo:[1,0,0]
	s_wait_loadcnt 0x0
	v_pk_fma_f32 v[8:9], v[20:21], v[48:49], v[8:9] op_sel_hi:[1,0,1]
	v_pk_fma_f32 v[12:13], v[32:33], v[48:49], v[12:13] op_sel_hi:[1,0,1]
	;; [unrolled: 1-line block ×4, first 2 shown]
	s_delay_alu instid0(VALU_DEP_4) | instskip(NEXT) | instid1(VALU_DEP_4)
	v_pk_fma_f32 v[8:9], v[20:21], v[48:49], v[8:9] op_sel:[1,1,0] op_sel_hi:[0,1,1] neg_lo:[1,0,0]
	v_pk_fma_f32 v[12:13], v[32:33], v[48:49], v[12:13] op_sel:[1,1,0] op_sel_hi:[0,1,1] neg_lo:[1,0,0]
	s_delay_alu instid0(VALU_DEP_4) | instskip(NEXT) | instid1(VALU_DEP_4)
	v_pk_fma_f32 v[10:11], v[44:45], v[48:49], v[10:11] op_sel:[1,1,0] op_sel_hi:[0,1,1] neg_lo:[1,0,0]
	v_pk_fma_f32 v[0:1], v[46:47], v[48:49], v[0:1] op_sel:[1,1,0] op_sel_hi:[0,1,1] neg_lo:[1,0,0]
	s_and_not1_b32 exec_lo, exec_lo, s2
	s_cbranch_execnz .LBB85_11
; %bb.12:
	s_or_b32 exec_lo, exec_lo, s2
.LBB85_13:
	s_delay_alu instid0(SALU_CYCLE_1)
	s_or_b32 exec_lo, exec_lo, s3
.LBB85_14:
	v_mbcnt_lo_u32_b32 v14, -1, 0
	s_delay_alu instid0(VALU_DEP_1) | instskip(SKIP_1) | instid1(VALU_DEP_1)
	v_xor_b32_e32 v23, 2, v14
	v_xor_b32_e32 v15, 4, v14
	v_cmp_gt_i32_e32 vcc_lo, 32, v15
	v_cndmask_b32_e32 v15, v14, v15, vcc_lo
	s_delay_alu instid0(VALU_DEP_1)
	v_lshlrev_b32_e32 v15, 2, v15
	ds_bpermute_b32 v17, v15, v9
	s_wait_dscnt 0x0
	v_add_f32_e32 v9, v9, v17
	ds_bpermute_b32 v19, v15, v13
	ds_bpermute_b32 v16, v15, v8
	;; [unrolled: 1-line block ×7, first 2 shown]
	s_wait_dscnt 0x6
	v_add_f32_e32 v13, v13, v19
	v_cmp_gt_i32_e32 vcc_lo, 32, v23
	s_wait_dscnt 0x5
	v_add_f32_e32 v8, v8, v16
	s_wait_dscnt 0x4
	v_add_f32_e32 v12, v12, v18
	s_wait_dscnt 0x2
	v_dual_add_f32 v18, v0, v22 :: v_dual_add_f32 v16, v10, v20
	s_wait_dscnt 0x1
	v_dual_add_f32 v17, v11, v21 :: v_dual_cndmask_b32 v23, v14, v23, vcc_lo
	s_wait_dscnt 0x0
	v_add_f32_e32 v15, v1, v15
	s_delay_alu instid0(VALU_DEP_2)
	v_lshlrev_b32_e32 v23, 2, v23
	ds_bpermute_b32 v0, v23, v8
	ds_bpermute_b32 v1, v23, v9
	;; [unrolled: 1-line block ×8, first 2 shown]
	s_wait_dscnt 0x7
	v_dual_add_f32 v0, v8, v0 :: v_dual_bitop2_b32 v23, 1, v14 bitop3:0x14
	s_delay_alu instid0(VALU_DEP_1)
	v_cmp_gt_i32_e32 vcc_lo, 32, v23
	s_wait_dscnt 0x5
	v_dual_add_f32 v8, v9, v1 :: v_dual_add_f32 v10, v12, v10
	s_wait_dscnt 0x3
	v_add_f32_e32 v12, v16, v19
	v_add_f32_e32 v11, v13, v11
	s_wait_dscnt 0x2
	v_dual_cndmask_b32 v14, v14, v23 :: v_dual_add_f32 v13, v17, v20
	s_wait_dscnt 0x0
	v_dual_add_f32 v1, v18, v21 :: v_dual_add_f32 v9, v15, v22
	v_cmp_eq_u32_e32 vcc_lo, 7, v7
	s_delay_alu instid0(VALU_DEP_3)
	v_lshlrev_b32_e32 v23, 2, v14
	ds_bpermute_b32 v16, v23, v0
	ds_bpermute_b32 v17, v23, v8
	;; [unrolled: 1-line block ×8, first 2 shown]
	s_and_b32 exec_lo, exec_lo, vcc_lo
	s_cbranch_execz .LBB85_19
; %bb.15:
	s_load_b64 s[2:3], s[0:1], 0x38
	v_cmp_eq_f32_e32 vcc_lo, 0, v4
	s_wait_xcnt 0x0
	v_cmp_eq_f32_e64 s0, 0, v5
	s_wait_dscnt 0x7
	v_add_f32_e32 v0, v0, v16
	s_wait_dscnt 0x5
	v_dual_add_f32 v20, v8, v17 :: v_dual_add_f32 v8, v10, v18
	s_wait_dscnt 0x3
	v_dual_add_f32 v18, v11, v19 :: v_dual_add_f32 v10, v12, v21
	s_wait_dscnt 0x2
	v_add_f32_e32 v16, v13, v22
	s_wait_dscnt 0x1
	v_add_f32_e32 v12, v1, v14
	;; [unrolled: 2-line block ×3, first 2 shown]
	s_and_b32 s0, vcc_lo, s0
	s_delay_alu instid0(SALU_CYCLE_1) | instskip(NEXT) | instid1(SALU_CYCLE_1)
	s_and_saveexec_b32 s1, s0
	s_xor_b32 s0, exec_lo, s1
	s_cbranch_execz .LBB85_17
; %bb.16:
	v_xor_b32_e32 v4, 0x80000000, v3
	v_dual_mov_b32 v5, v2 :: v_dual_lshlrev_b32 v6, 2, v6
	s_delay_alu instid0(VALU_DEP_1) | instskip(NEXT) | instid1(VALU_DEP_2)
	v_ashrrev_i32_e32 v7, 31, v6
	v_pk_mul_f32 v[20:21], v[20:21], v[4:5] op_sel_hi:[0,1]
	v_pk_mul_f32 v[18:19], v[18:19], v[4:5] op_sel_hi:[0,1]
	;; [unrolled: 1-line block ×4, first 2 shown]
	s_wait_kmcnt 0x0
	v_lshl_add_u64 v[22:23], v[6:7], 3, s[2:3]
	v_pk_fma_f32 v[4:5], v[2:3], v[0:1], v[20:21] op_sel_hi:[1,0,1]
	v_pk_fma_f32 v[6:7], v[2:3], v[8:9], v[18:19] op_sel_hi:[1,0,1]
	;; [unrolled: 1-line block ×4, first 2 shown]
	s_clause 0x1
	global_store_b128 v[22:23], v[4:7], off
	global_store_b128 v[22:23], v[0:3], off offset:16
                                        ; implicit-def: $vgpr6
                                        ; implicit-def: $vgpr0
                                        ; implicit-def: $vgpr20
                                        ; implicit-def: $vgpr8
                                        ; implicit-def: $vgpr18
                                        ; implicit-def: $vgpr10
                                        ; implicit-def: $vgpr16
                                        ; implicit-def: $vgpr12
                                        ; implicit-def: $vgpr14
                                        ; implicit-def: $vgpr2_vgpr3
                                        ; implicit-def: $vgpr4_vgpr5
.LBB85_17:
	s_wait_xcnt 0x0
	s_and_not1_saveexec_b32 s0, s0
	s_cbranch_execz .LBB85_19
; %bb.18:
	v_lshlrev_b32_e32 v6, 2, v6
	v_xor_b32_e32 v32, 0x80000000, v5
	s_delay_alu instid0(VALU_DEP_2) | instskip(SKIP_1) | instid1(VALU_DEP_1)
	v_dual_mov_b32 v33, v4 :: v_dual_ashrrev_i32 v7, 31, v6
	s_wait_kmcnt 0x0
	v_lshl_add_u64 v[30:31], v[6:7], 3, s[2:3]
	v_xor_b32_e32 v6, 0x80000000, v3
	v_mov_b32_e32 v7, v2
	s_clause 0x1
	global_load_b128 v[22:25], v[30:31], off
	global_load_b128 v[26:29], v[30:31], off offset:16
	v_pk_mul_f32 v[20:21], v[20:21], v[6:7] op_sel_hi:[0,1]
	v_pk_mul_f32 v[18:19], v[18:19], v[6:7] op_sel_hi:[0,1]
	;; [unrolled: 1-line block ×4, first 2 shown]
	s_delay_alu instid0(VALU_DEP_4) | instskip(NEXT) | instid1(VALU_DEP_4)
	v_pk_fma_f32 v[0:1], v[2:3], v[0:1], v[20:21] op_sel_hi:[1,0,1]
	v_pk_fma_f32 v[8:9], v[2:3], v[8:9], v[18:19] op_sel_hi:[1,0,1]
	s_delay_alu instid0(VALU_DEP_4) | instskip(NEXT) | instid1(VALU_DEP_4)
	v_pk_fma_f32 v[10:11], v[2:3], v[10:11], v[16:17] op_sel_hi:[1,0,1]
	v_pk_fma_f32 v[2:3], v[2:3], v[12:13], v[6:7] op_sel_hi:[1,0,1]
	s_wait_loadcnt 0x1
	v_pk_fma_f32 v[0:1], v[4:5], v[22:23], v[0:1] op_sel_hi:[1,0,1]
	v_pk_fma_f32 v[6:7], v[4:5], v[24:25], v[8:9] op_sel_hi:[1,0,1]
	s_wait_loadcnt 0x0
	v_dual_mov_b32 v8, v25 :: v_dual_mov_b32 v14, v29
	v_pk_fma_f32 v[10:11], v[4:5], v[26:27], v[10:11] op_sel_hi:[1,0,1]
	v_pk_fma_f32 v[12:13], v[4:5], v[28:29], v[2:3] op_sel_hi:[1,0,1]
	v_pk_fma_f32 v[0:1], v[32:33], v[22:23], v[0:1] op_sel:[0,1,0]
	s_delay_alu instid0(VALU_DEP_4) | instskip(NEXT) | instid1(VALU_DEP_4)
	v_pk_fma_f32 v[2:3], v[32:33], v[8:9], v[6:7] op_sel_hi:[1,0,1]
	v_pk_fma_f32 v[4:5], v[32:33], v[26:27], v[10:11] op_sel:[0,1,0]
	s_delay_alu instid0(VALU_DEP_4)
	v_pk_fma_f32 v[6:7], v[32:33], v[14:15], v[12:13] op_sel_hi:[1,0,1]
	s_clause 0x1
	global_store_b128 v[30:31], v[0:3], off
	global_store_b128 v[30:31], v[4:7], off offset:16
.LBB85_19:
	s_endpgm
	.section	.rodata,"a",@progbits
	.p2align	6, 0x0
	.amdhsa_kernel _ZN9rocsparseL19gebsrmvn_4xn_kernelILj128ELj3ELj8E21rocsparse_complex_numIfEEEvi20rocsparse_direction_NS_24const_host_device_scalarIT2_EEPKiS8_PKS5_SA_S6_PS5_21rocsparse_index_base_b
		.amdhsa_group_segment_fixed_size 0
		.amdhsa_private_segment_fixed_size 0
		.amdhsa_kernarg_size 72
		.amdhsa_user_sgpr_count 2
		.amdhsa_user_sgpr_dispatch_ptr 0
		.amdhsa_user_sgpr_queue_ptr 0
		.amdhsa_user_sgpr_kernarg_segment_ptr 1
		.amdhsa_user_sgpr_dispatch_id 0
		.amdhsa_user_sgpr_kernarg_preload_length 0
		.amdhsa_user_sgpr_kernarg_preload_offset 0
		.amdhsa_user_sgpr_private_segment_size 0
		.amdhsa_wavefront_size32 1
		.amdhsa_uses_dynamic_stack 0
		.amdhsa_enable_private_segment 0
		.amdhsa_system_sgpr_workgroup_id_x 1
		.amdhsa_system_sgpr_workgroup_id_y 0
		.amdhsa_system_sgpr_workgroup_id_z 0
		.amdhsa_system_sgpr_workgroup_info 0
		.amdhsa_system_vgpr_workitem_id 0
		.amdhsa_next_free_vgpr 58
		.amdhsa_next_free_sgpr 14
		.amdhsa_named_barrier_count 0
		.amdhsa_reserve_vcc 1
		.amdhsa_float_round_mode_32 0
		.amdhsa_float_round_mode_16_64 0
		.amdhsa_float_denorm_mode_32 3
		.amdhsa_float_denorm_mode_16_64 3
		.amdhsa_fp16_overflow 0
		.amdhsa_memory_ordered 1
		.amdhsa_forward_progress 1
		.amdhsa_inst_pref_size 21
		.amdhsa_round_robin_scheduling 0
		.amdhsa_exception_fp_ieee_invalid_op 0
		.amdhsa_exception_fp_denorm_src 0
		.amdhsa_exception_fp_ieee_div_zero 0
		.amdhsa_exception_fp_ieee_overflow 0
		.amdhsa_exception_fp_ieee_underflow 0
		.amdhsa_exception_fp_ieee_inexact 0
		.amdhsa_exception_int_div_zero 0
	.end_amdhsa_kernel
	.section	.text._ZN9rocsparseL19gebsrmvn_4xn_kernelILj128ELj3ELj8E21rocsparse_complex_numIfEEEvi20rocsparse_direction_NS_24const_host_device_scalarIT2_EEPKiS8_PKS5_SA_S6_PS5_21rocsparse_index_base_b,"axG",@progbits,_ZN9rocsparseL19gebsrmvn_4xn_kernelILj128ELj3ELj8E21rocsparse_complex_numIfEEEvi20rocsparse_direction_NS_24const_host_device_scalarIT2_EEPKiS8_PKS5_SA_S6_PS5_21rocsparse_index_base_b,comdat
.Lfunc_end85:
	.size	_ZN9rocsparseL19gebsrmvn_4xn_kernelILj128ELj3ELj8E21rocsparse_complex_numIfEEEvi20rocsparse_direction_NS_24const_host_device_scalarIT2_EEPKiS8_PKS5_SA_S6_PS5_21rocsparse_index_base_b, .Lfunc_end85-_ZN9rocsparseL19gebsrmvn_4xn_kernelILj128ELj3ELj8E21rocsparse_complex_numIfEEEvi20rocsparse_direction_NS_24const_host_device_scalarIT2_EEPKiS8_PKS5_SA_S6_PS5_21rocsparse_index_base_b
                                        ; -- End function
	.set _ZN9rocsparseL19gebsrmvn_4xn_kernelILj128ELj3ELj8E21rocsparse_complex_numIfEEEvi20rocsparse_direction_NS_24const_host_device_scalarIT2_EEPKiS8_PKS5_SA_S6_PS5_21rocsparse_index_base_b.num_vgpr, 58
	.set _ZN9rocsparseL19gebsrmvn_4xn_kernelILj128ELj3ELj8E21rocsparse_complex_numIfEEEvi20rocsparse_direction_NS_24const_host_device_scalarIT2_EEPKiS8_PKS5_SA_S6_PS5_21rocsparse_index_base_b.num_agpr, 0
	.set _ZN9rocsparseL19gebsrmvn_4xn_kernelILj128ELj3ELj8E21rocsparse_complex_numIfEEEvi20rocsparse_direction_NS_24const_host_device_scalarIT2_EEPKiS8_PKS5_SA_S6_PS5_21rocsparse_index_base_b.numbered_sgpr, 14
	.set _ZN9rocsparseL19gebsrmvn_4xn_kernelILj128ELj3ELj8E21rocsparse_complex_numIfEEEvi20rocsparse_direction_NS_24const_host_device_scalarIT2_EEPKiS8_PKS5_SA_S6_PS5_21rocsparse_index_base_b.num_named_barrier, 0
	.set _ZN9rocsparseL19gebsrmvn_4xn_kernelILj128ELj3ELj8E21rocsparse_complex_numIfEEEvi20rocsparse_direction_NS_24const_host_device_scalarIT2_EEPKiS8_PKS5_SA_S6_PS5_21rocsparse_index_base_b.private_seg_size, 0
	.set _ZN9rocsparseL19gebsrmvn_4xn_kernelILj128ELj3ELj8E21rocsparse_complex_numIfEEEvi20rocsparse_direction_NS_24const_host_device_scalarIT2_EEPKiS8_PKS5_SA_S6_PS5_21rocsparse_index_base_b.uses_vcc, 1
	.set _ZN9rocsparseL19gebsrmvn_4xn_kernelILj128ELj3ELj8E21rocsparse_complex_numIfEEEvi20rocsparse_direction_NS_24const_host_device_scalarIT2_EEPKiS8_PKS5_SA_S6_PS5_21rocsparse_index_base_b.uses_flat_scratch, 1
	.set _ZN9rocsparseL19gebsrmvn_4xn_kernelILj128ELj3ELj8E21rocsparse_complex_numIfEEEvi20rocsparse_direction_NS_24const_host_device_scalarIT2_EEPKiS8_PKS5_SA_S6_PS5_21rocsparse_index_base_b.has_dyn_sized_stack, 0
	.set _ZN9rocsparseL19gebsrmvn_4xn_kernelILj128ELj3ELj8E21rocsparse_complex_numIfEEEvi20rocsparse_direction_NS_24const_host_device_scalarIT2_EEPKiS8_PKS5_SA_S6_PS5_21rocsparse_index_base_b.has_recursion, 0
	.set _ZN9rocsparseL19gebsrmvn_4xn_kernelILj128ELj3ELj8E21rocsparse_complex_numIfEEEvi20rocsparse_direction_NS_24const_host_device_scalarIT2_EEPKiS8_PKS5_SA_S6_PS5_21rocsparse_index_base_b.has_indirect_call, 0
	.section	.AMDGPU.csdata,"",@progbits
; Kernel info:
; codeLenInByte = 2580
; TotalNumSgprs: 16
; NumVgprs: 58
; ScratchSize: 0
; MemoryBound: 0
; FloatMode: 240
; IeeeMode: 1
; LDSByteSize: 0 bytes/workgroup (compile time only)
; SGPRBlocks: 0
; VGPRBlocks: 3
; NumSGPRsForWavesPerEU: 16
; NumVGPRsForWavesPerEU: 58
; NamedBarCnt: 0
; Occupancy: 16
; WaveLimiterHint : 1
; COMPUTE_PGM_RSRC2:SCRATCH_EN: 0
; COMPUTE_PGM_RSRC2:USER_SGPR: 2
; COMPUTE_PGM_RSRC2:TRAP_HANDLER: 0
; COMPUTE_PGM_RSRC2:TGID_X_EN: 1
; COMPUTE_PGM_RSRC2:TGID_Y_EN: 0
; COMPUTE_PGM_RSRC2:TGID_Z_EN: 0
; COMPUTE_PGM_RSRC2:TIDIG_COMP_CNT: 0
	.section	.text._ZN9rocsparseL19gebsrmvn_4xn_kernelILj128ELj3ELj16E21rocsparse_complex_numIfEEEvi20rocsparse_direction_NS_24const_host_device_scalarIT2_EEPKiS8_PKS5_SA_S6_PS5_21rocsparse_index_base_b,"axG",@progbits,_ZN9rocsparseL19gebsrmvn_4xn_kernelILj128ELj3ELj16E21rocsparse_complex_numIfEEEvi20rocsparse_direction_NS_24const_host_device_scalarIT2_EEPKiS8_PKS5_SA_S6_PS5_21rocsparse_index_base_b,comdat
	.globl	_ZN9rocsparseL19gebsrmvn_4xn_kernelILj128ELj3ELj16E21rocsparse_complex_numIfEEEvi20rocsparse_direction_NS_24const_host_device_scalarIT2_EEPKiS8_PKS5_SA_S6_PS5_21rocsparse_index_base_b ; -- Begin function _ZN9rocsparseL19gebsrmvn_4xn_kernelILj128ELj3ELj16E21rocsparse_complex_numIfEEEvi20rocsparse_direction_NS_24const_host_device_scalarIT2_EEPKiS8_PKS5_SA_S6_PS5_21rocsparse_index_base_b
	.p2align	8
	.type	_ZN9rocsparseL19gebsrmvn_4xn_kernelILj128ELj3ELj16E21rocsparse_complex_numIfEEEvi20rocsparse_direction_NS_24const_host_device_scalarIT2_EEPKiS8_PKS5_SA_S6_PS5_21rocsparse_index_base_b,@function
_ZN9rocsparseL19gebsrmvn_4xn_kernelILj128ELj3ELj16E21rocsparse_complex_numIfEEEvi20rocsparse_direction_NS_24const_host_device_scalarIT2_EEPKiS8_PKS5_SA_S6_PS5_21rocsparse_index_base_b: ; @_ZN9rocsparseL19gebsrmvn_4xn_kernelILj128ELj3ELj16E21rocsparse_complex_numIfEEEvi20rocsparse_direction_NS_24const_host_device_scalarIT2_EEPKiS8_PKS5_SA_S6_PS5_21rocsparse_index_base_b
; %bb.0:
	s_clause 0x2
	s_load_b64 s[12:13], s[0:1], 0x40
	s_load_b64 s[2:3], s[0:1], 0x8
	;; [unrolled: 1-line block ×3, first 2 shown]
	v_mov_b32_e32 v1, 0
	s_add_nc_u64 s[6:7], s[0:1], 8
	s_add_nc_u64 s[8:9], s[0:1], 48
	s_wait_kmcnt 0x0
	s_bitcmp1_b32 s13, 0
	s_cselect_b32 s3, s7, s3
	s_cselect_b32 s2, s6, s2
	;; [unrolled: 1-line block ×4, first 2 shown]
	s_clause 0x1
	flat_load_b64 v[2:3], v1, s[2:3]
	flat_load_b64 v[4:5], v1, s[4:5]
	s_wait_loadcnt_dscnt 0x101
	v_cmp_eq_f32_e32 vcc_lo, 0, v2
	v_cmp_eq_f32_e64 s2, 0, v3
	s_wait_loadcnt_dscnt 0x0
	v_cmp_eq_f32_e64 s3, 1.0, v4
	v_cmp_eq_f32_e64 s4, 0, v5
	s_and_b32 s2, vcc_lo, s2
	s_and_b32 s3, s3, s4
	s_delay_alu instid0(SALU_CYCLE_1) | instskip(NEXT) | instid1(SALU_CYCLE_1)
	s_and_b32 s2, s2, s3
	s_xor_b32 s2, s2, -1
	s_delay_alu instid0(SALU_CYCLE_1)
	s_and_saveexec_b32 s3, s2
	s_cbranch_execz .LBB86_19
; %bb.1:
	s_load_b64 s[2:3], s[0:1], 0x0
	s_bfe_u32 s4, ttmp6, 0x4000c
	s_and_b32 s5, ttmp6, 15
	s_add_co_i32 s4, s4, 1
	s_getreg_b32 s6, hwreg(HW_REG_IB_STS2, 6, 4)
	s_mul_i32 s4, ttmp9, s4
	v_lshrrev_b32_e32 v1, 4, v0
	s_add_co_i32 s5, s5, s4
	s_cmp_eq_u32 s6, 0
	s_cselect_b32 s4, ttmp9, s5
	s_delay_alu instid0(VALU_DEP_1) | instid1(SALU_CYCLE_1)
	v_lshl_or_b32 v6, s4, 3, v1
	s_wait_kmcnt 0x0
	s_delay_alu instid0(VALU_DEP_1)
	v_cmp_gt_i32_e32 vcc_lo, s2, v6
	s_and_b32 exec_lo, exec_lo, vcc_lo
	s_cbranch_execz .LBB86_19
; %bb.2:
	s_load_b256 s[4:11], s[0:1], 0x10
	v_ashrrev_i32_e32 v7, 31, v6
	s_cmp_lg_u32 s3, 0
	s_wait_kmcnt 0x0
	s_delay_alu instid0(VALU_DEP_1)
	v_lshl_add_u64 v[8:9], v[6:7], 2, s[4:5]
	v_and_b32_e32 v7, 15, v0
	global_load_b64 v[8:9], v[8:9], off
	s_wait_loadcnt 0x0
	v_subrev_nc_u32_e32 v0, s12, v8
	v_subrev_nc_u32_e32 v16, s12, v9
	s_delay_alu instid0(VALU_DEP_2) | instskip(NEXT) | instid1(VALU_DEP_1)
	v_add_nc_u32_e32 v17, v0, v7
	v_cmp_lt_i32_e64 s2, v17, v16
	s_cbranch_scc0 .LBB86_8
; %bb.3:
	v_mov_b32_e32 v9, 0
	s_delay_alu instid0(VALU_DEP_1)
	v_dual_mov_b32 v8, v9 :: v_dual_mov_b32 v1, v9
	v_dual_mov_b32 v0, v9 :: v_dual_mov_b32 v11, v9
	v_dual_mov_b32 v10, v9 :: v_dual_mov_b32 v13, v9
	v_mov_b32_e32 v12, v9
	s_and_saveexec_b32 s3, s2
	s_cbranch_execz .LBB86_7
; %bb.4:
	v_mul_lo_u32 v14, v17, 12
	v_dual_mov_b32 v15, 0 :: v_dual_mov_b32 v18, v17
	s_mov_b32 s4, 0
	s_delay_alu instid0(VALU_DEP_1)
	v_dual_mov_b32 v12, v15 :: v_dual_mov_b32 v13, v15
	v_dual_mov_b32 v10, v15 :: v_dual_mov_b32 v11, v15
	;; [unrolled: 1-line block ×4, first 2 shown]
.LBB86_5:                               ; =>This Inner Loop Header: Depth=1
	global_load_b32 v19, v18, s[6:7] scale_offset
	v_dual_mov_b32 v21, v15 :: v_dual_add_nc_u32 v20, 4, v14
	v_dual_mov_b32 v23, v15 :: v_dual_add_nc_u32 v22, 8, v14
	v_lshl_add_u64 v[28:29], v[14:15], 3, s[8:9]
	s_delay_alu instid0(VALU_DEP_3) | instskip(NEXT) | instid1(VALU_DEP_3)
	v_lshl_add_u64 v[40:41], v[20:21], 3, s[8:9]
	v_lshl_add_u64 v[44:45], v[22:23], 3, s[8:9]
	s_clause 0x1
	global_load_b128 v[20:23], v[28:29], off offset:16
	global_load_b128 v[24:27], v[28:29], off
	s_wait_xcnt 0x2
	v_add_nc_u32_e32 v18, 16, v18
	global_load_b128 v[28:31], v[40:41], off
	v_add_nc_u32_e32 v14, 0xc0, v14
	s_wait_loadcnt 0x3
	v_subrev_nc_u32_e32 v19, s12, v19
	s_delay_alu instid0(VALU_DEP_1)
	v_lshl_add_u32 v19, v19, 1, v19
	global_load_b128 v[32:35], v[44:45], off
	global_load_b64 v[46:47], v19, s[10:11] scale_offset
	global_load_b128 v[36:39], v[40:41], off offset:16
	s_wait_xcnt 0x1
	v_dual_add_nc_u32 v52, 1, v19 :: v_dual_add_nc_u32 v19, 2, v19
	s_wait_loadcnt 0x5
	v_mov_b32_e32 v53, v22
	s_wait_loadcnt 0x3
	v_xor_b32_e32 v54, 0x80000000, v31
	v_mov_b32_e32 v55, v30
	global_load_b64 v[48:49], v52, s[10:11] scale_offset
	global_load_b128 v[40:43], v[44:45], off offset:16
	global_load_b64 v[50:51], v19, s[10:11] scale_offset
	s_wait_xcnt 0x1
	v_xor_b32_e32 v44, 0x80000000, v27
	v_mov_b32_e32 v45, v26
	v_xor_b32_e32 v52, 0x80000000, v23
	v_cmp_ge_i32_e32 vcc_lo, v18, v16
	s_or_b32 s4, vcc_lo, s4
	s_wait_loadcnt 0x5
	v_mov_b32_e32 v57, v34
	s_wait_loadcnt 0x4
	v_pk_fma_f32 v[8:9], v[24:25], v[46:47], v[8:9] op_sel_hi:[1,0,1]
	v_pk_fma_f32 v[12:13], v[26:27], v[46:47], v[12:13] op_sel_hi:[1,0,1]
	;; [unrolled: 1-line block ×4, first 2 shown]
	s_wait_loadcnt 0x3
	v_xor_b32_e32 v22, 0x80000000, v39
	v_pk_fma_f32 v[8:9], v[24:25], v[46:47], v[8:9] op_sel:[1,1,0] op_sel_hi:[0,1,1] neg_lo:[1,0,0]
	v_pk_fma_f32 v[12:13], v[44:45], v[46:47], v[12:13] op_sel:[0,1,0]
	v_pk_fma_f32 v[10:11], v[20:21], v[46:47], v[10:11] op_sel:[1,1,0] op_sel_hi:[0,1,1] neg_lo:[1,0,0]
	v_pk_fma_f32 v[0:1], v[52:53], v[46:47], v[0:1] op_sel:[0,1,0]
	s_wait_loadcnt 0x1
	v_dual_mov_b32 v23, v38 :: v_dual_mov_b32 v21, v42
	v_pk_fma_f32 v[8:9], v[28:29], v[48:49], v[8:9] op_sel_hi:[1,0,1]
	v_pk_fma_f32 v[12:13], v[30:31], v[48:49], v[12:13] op_sel_hi:[1,0,1]
	;; [unrolled: 1-line block ×4, first 2 shown]
	v_xor_b32_e32 v56, 0x80000000, v35
	v_pk_fma_f32 v[8:9], v[28:29], v[48:49], v[8:9] op_sel:[1,1,0] op_sel_hi:[0,1,1] neg_lo:[1,0,0]
	v_pk_fma_f32 v[12:13], v[54:55], v[48:49], v[12:13] op_sel:[0,1,0]
	v_pk_fma_f32 v[10:11], v[36:37], v[48:49], v[10:11] op_sel:[1,1,0] op_sel_hi:[0,1,1] neg_lo:[1,0,0]
	v_pk_fma_f32 v[0:1], v[22:23], v[48:49], v[0:1] op_sel:[0,1,0]
	v_xor_b32_e32 v20, 0x80000000, v43
	s_wait_loadcnt 0x0
	v_pk_fma_f32 v[8:9], v[32:33], v[50:51], v[8:9] op_sel_hi:[1,0,1]
	v_pk_fma_f32 v[12:13], v[34:35], v[50:51], v[12:13] op_sel_hi:[1,0,1]
	;; [unrolled: 1-line block ×4, first 2 shown]
	s_delay_alu instid0(VALU_DEP_4) | instskip(NEXT) | instid1(VALU_DEP_4)
	v_pk_fma_f32 v[8:9], v[32:33], v[50:51], v[8:9] op_sel:[1,1,0] op_sel_hi:[0,1,1] neg_lo:[1,0,0]
	v_pk_fma_f32 v[12:13], v[56:57], v[50:51], v[12:13] op_sel:[0,1,0]
	s_delay_alu instid0(VALU_DEP_4) | instskip(NEXT) | instid1(VALU_DEP_4)
	v_pk_fma_f32 v[10:11], v[40:41], v[50:51], v[10:11] op_sel:[1,1,0] op_sel_hi:[0,1,1] neg_lo:[1,0,0]
	v_pk_fma_f32 v[0:1], v[20:21], v[50:51], v[0:1] op_sel:[0,1,0]
	s_and_not1_b32 exec_lo, exec_lo, s4
	s_cbranch_execnz .LBB86_5
; %bb.6:
	s_or_b32 exec_lo, exec_lo, s4
.LBB86_7:
	s_delay_alu instid0(SALU_CYCLE_1)
	s_or_b32 exec_lo, exec_lo, s3
	s_cbranch_execz .LBB86_9
	s_branch .LBB86_14
.LBB86_8:
                                        ; implicit-def: $vgpr9
                                        ; implicit-def: $vgpr1
                                        ; implicit-def: $vgpr11
                                        ; implicit-def: $vgpr13
.LBB86_9:
	v_mov_b32_e32 v9, 0
	s_delay_alu instid0(VALU_DEP_1)
	v_dual_mov_b32 v8, v9 :: v_dual_mov_b32 v1, v9
	v_dual_mov_b32 v0, v9 :: v_dual_mov_b32 v11, v9
	;; [unrolled: 1-line block ×3, first 2 shown]
	v_mov_b32_e32 v12, v9
	s_and_saveexec_b32 s3, s2
	s_cbranch_execz .LBB86_13
; %bb.10:
	v_mad_u32 v18, v17, 12, 11
	v_mov_b32_e32 v15, 0
	s_mov_b32 s2, 0
	s_delay_alu instid0(VALU_DEP_1)
	v_dual_mov_b32 v12, v15 :: v_dual_mov_b32 v13, v15
	v_dual_mov_b32 v10, v15 :: v_dual_mov_b32 v11, v15
	;; [unrolled: 1-line block ×4, first 2 shown]
.LBB86_11:                              ; =>This Inner Loop Header: Depth=1
	global_load_b32 v19, v17, s[6:7] scale_offset
	v_dual_add_nc_u32 v14, -11, v18 :: v_dual_add_nc_u32 v20, -5, v18
	v_dual_add_nc_u32 v21, -2, v18 :: v_dual_add_nc_u32 v22, -7, v18
	;; [unrolled: 1-line block ×3, first 2 shown]
	s_delay_alu instid0(VALU_DEP_3)
	v_lshl_add_u64 v[28:29], v[14:15], 3, s[8:9]
	s_clause 0x3
	global_load_b64 v[30:31], v22, s[8:9] scale_offset
	global_load_b64 v[32:33], v23, s[8:9] scale_offset
	global_load_b64 v[34:35], v20, s[8:9] scale_offset
	global_load_b64 v[36:37], v21, s[8:9] scale_offset
	v_dual_add_nc_u32 v46, -1, v18 :: v_dual_add_nc_u32 v47, -3, v18
	global_load_b128 v[20:23], v[28:29], off offset:16
	v_add_nc_u32_e32 v17, 16, v17
	s_delay_alu instid0(VALU_DEP_1) | instskip(SKIP_3) | instid1(VALU_DEP_1)
	v_cmp_ge_i32_e32 vcc_lo, v17, v16
	s_or_b32 s2, vcc_lo, s2
	s_wait_loadcnt 0x5
	v_subrev_nc_u32_e32 v14, s12, v19
	v_lshl_add_u32 v14, v14, 1, v14
	global_load_b128 v[24:27], v[28:29], off
	global_load_b64 v[38:39], v14, s[10:11] scale_offset
	global_load_b64 v[40:41], v42, s[8:9] scale_offset
	s_wait_xcnt 0x1
	v_dual_add_nc_u32 v19, 1, v14 :: v_dual_add_nc_u32 v14, 2, v14
	global_load_b64 v[28:29], v46, s[8:9] scale_offset
	global_load_b64 v[42:43], v19, s[10:11] scale_offset
	s_clause 0x1
	global_load_b64 v[44:45], v47, s[8:9] scale_offset
	global_load_b64 v[46:47], v18, s[8:9] scale_offset
	;; [unrolled: 1-line block ×3, first 2 shown]
	s_wait_loadcnt 0x8
	v_xor_b32_e32 v50, 0x80000000, v23
	s_wait_xcnt 0x1
	v_dual_mov_b32 v51, v22 :: v_dual_add_nc_u32 v18, 0xc0, v18
	s_wait_loadcnt 0x6
	v_pk_fma_f32 v[8:9], v[24:25], v[38:39], v[8:9] op_sel_hi:[1,0,1]
	v_pk_fma_f32 v[12:13], v[22:23], v[38:39], v[12:13] op_sel_hi:[1,0,1]
	;; [unrolled: 1-line block ×4, first 2 shown]
	v_mov_b32_e32 v23, v26
	v_pk_fma_f32 v[8:9], v[24:25], v[38:39], v[8:9] op_sel:[1,1,0] op_sel_hi:[0,1,1] neg_lo:[1,0,0]
	v_pk_fma_f32 v[12:13], v[50:51], v[38:39], v[12:13] op_sel:[0,1,0]
	v_pk_fma_f32 v[10:11], v[34:35], v[38:39], v[10:11] op_sel:[1,1,0] op_sel_hi:[0,1,1] neg_lo:[1,0,0]
	v_pk_fma_f32 v[0:1], v[36:37], v[38:39], v[0:1] op_sel:[1,1,0] op_sel_hi:[0,1,1] neg_lo:[1,0,0]
	v_xor_b32_e32 v22, 0x80000000, v27
	s_wait_loadcnt 0x3
	v_pk_fma_f32 v[8:9], v[26:27], v[42:43], v[8:9] op_sel_hi:[1,0,1]
	v_pk_fma_f32 v[12:13], v[30:31], v[42:43], v[12:13] op_sel_hi:[1,0,1]
	;; [unrolled: 1-line block ×4, first 2 shown]
	s_delay_alu instid0(VALU_DEP_4) | instskip(NEXT) | instid1(VALU_DEP_4)
	v_pk_fma_f32 v[8:9], v[22:23], v[42:43], v[8:9] op_sel:[0,1,0]
	v_pk_fma_f32 v[12:13], v[30:31], v[42:43], v[12:13] op_sel:[1,1,0] op_sel_hi:[0,1,1] neg_lo:[1,0,0]
	s_delay_alu instid0(VALU_DEP_4) | instskip(NEXT) | instid1(VALU_DEP_4)
	v_pk_fma_f32 v[10:11], v[40:41], v[42:43], v[10:11] op_sel:[1,1,0] op_sel_hi:[0,1,1] neg_lo:[1,0,0]
	v_pk_fma_f32 v[0:1], v[28:29], v[42:43], v[0:1] op_sel:[1,1,0] op_sel_hi:[0,1,1] neg_lo:[1,0,0]
	s_wait_loadcnt 0x0
	v_pk_fma_f32 v[8:9], v[20:21], v[48:49], v[8:9] op_sel_hi:[1,0,1]
	v_pk_fma_f32 v[12:13], v[32:33], v[48:49], v[12:13] op_sel_hi:[1,0,1]
	;; [unrolled: 1-line block ×4, first 2 shown]
	s_delay_alu instid0(VALU_DEP_4) | instskip(NEXT) | instid1(VALU_DEP_4)
	v_pk_fma_f32 v[8:9], v[20:21], v[48:49], v[8:9] op_sel:[1,1,0] op_sel_hi:[0,1,1] neg_lo:[1,0,0]
	v_pk_fma_f32 v[12:13], v[32:33], v[48:49], v[12:13] op_sel:[1,1,0] op_sel_hi:[0,1,1] neg_lo:[1,0,0]
	s_delay_alu instid0(VALU_DEP_4) | instskip(NEXT) | instid1(VALU_DEP_4)
	v_pk_fma_f32 v[10:11], v[44:45], v[48:49], v[10:11] op_sel:[1,1,0] op_sel_hi:[0,1,1] neg_lo:[1,0,0]
	v_pk_fma_f32 v[0:1], v[46:47], v[48:49], v[0:1] op_sel:[1,1,0] op_sel_hi:[0,1,1] neg_lo:[1,0,0]
	s_and_not1_b32 exec_lo, exec_lo, s2
	s_cbranch_execnz .LBB86_11
; %bb.12:
	s_or_b32 exec_lo, exec_lo, s2
.LBB86_13:
	s_delay_alu instid0(SALU_CYCLE_1)
	s_or_b32 exec_lo, exec_lo, s3
.LBB86_14:
	v_mbcnt_lo_u32_b32 v14, -1, 0
	s_delay_alu instid0(VALU_DEP_1) | instskip(SKIP_1) | instid1(VALU_DEP_1)
	v_xor_b32_e32 v23, 4, v14
	v_xor_b32_e32 v15, 8, v14
	v_cmp_gt_i32_e32 vcc_lo, 32, v15
	v_cndmask_b32_e32 v15, v14, v15, vcc_lo
	s_delay_alu instid0(VALU_DEP_1)
	v_lshlrev_b32_e32 v15, 2, v15
	ds_bpermute_b32 v17, v15, v9
	s_wait_dscnt 0x0
	v_add_f32_e32 v9, v9, v17
	ds_bpermute_b32 v19, v15, v13
	ds_bpermute_b32 v16, v15, v8
	;; [unrolled: 1-line block ×7, first 2 shown]
	s_wait_dscnt 0x6
	v_add_f32_e32 v13, v13, v19
	v_cmp_gt_i32_e32 vcc_lo, 32, v23
	s_wait_dscnt 0x5
	v_add_f32_e32 v8, v8, v16
	s_wait_dscnt 0x2
	v_dual_add_f32 v10, v10, v20 :: v_dual_add_f32 v11, v11, v21
	s_wait_dscnt 0x0
	v_dual_add_f32 v0, v0, v22 :: v_dual_add_f32 v1, v1, v15
	v_dual_cndmask_b32 v23, v14, v23 :: v_dual_add_f32 v12, v12, v18
	s_delay_alu instid0(VALU_DEP_1)
	v_lshlrev_b32_e32 v23, 2, v23
	ds_bpermute_b32 v15, v23, v8
	ds_bpermute_b32 v16, v23, v9
	;; [unrolled: 1-line block ×8, first 2 shown]
	s_wait_dscnt 0x7
	v_dual_add_f32 v8, v8, v15 :: v_dual_bitop2_b32 v23, 2, v14 bitop3:0x14
	s_delay_alu instid0(VALU_DEP_1)
	v_cmp_gt_i32_e32 vcc_lo, 32, v23
	s_wait_dscnt 0x6
	v_add_f32_e32 v9, v9, v16
	s_wait_dscnt 0x3
	v_dual_add_f32 v13, v13, v18 :: v_dual_add_f32 v15, v10, v19
	s_wait_dscnt 0x2
	v_dual_add_f32 v16, v11, v20 :: v_dual_cndmask_b32 v23, v14, v23
	v_add_f32_e32 v12, v12, v17
	s_wait_dscnt 0x0
	v_dual_add_f32 v17, v0, v21 :: v_dual_add_f32 v18, v1, v22
	s_delay_alu instid0(VALU_DEP_3)
	v_lshlrev_b32_e32 v23, 2, v23
	ds_bpermute_b32 v0, v23, v8
	ds_bpermute_b32 v1, v23, v9
	;; [unrolled: 1-line block ×8, first 2 shown]
	s_wait_dscnt 0x7
	v_dual_add_f32 v0, v8, v0 :: v_dual_bitop2_b32 v23, 1, v14 bitop3:0x14
	s_delay_alu instid0(VALU_DEP_1)
	v_cmp_gt_i32_e32 vcc_lo, 32, v23
	s_wait_dscnt 0x4
	v_dual_add_f32 v10, v12, v10 :: v_dual_add_f32 v11, v13, v11
	s_wait_dscnt 0x2
	v_dual_add_f32 v12, v15, v19 :: v_dual_add_f32 v13, v16, v20
	v_dual_cndmask_b32 v14, v14, v23, vcc_lo :: v_dual_add_f32 v8, v9, v1
	s_wait_dscnt 0x0
	v_dual_add_f32 v1, v17, v21 :: v_dual_add_f32 v9, v18, v22
	v_cmp_eq_u32_e32 vcc_lo, 15, v7
	s_delay_alu instid0(VALU_DEP_3)
	v_lshlrev_b32_e32 v23, 2, v14
	ds_bpermute_b32 v16, v23, v0
	ds_bpermute_b32 v17, v23, v8
	;; [unrolled: 1-line block ×8, first 2 shown]
	s_and_b32 exec_lo, exec_lo, vcc_lo
	s_cbranch_execz .LBB86_19
; %bb.15:
	s_load_b64 s[2:3], s[0:1], 0x38
	v_cmp_eq_f32_e32 vcc_lo, 0, v4
	s_wait_xcnt 0x0
	v_cmp_eq_f32_e64 s0, 0, v5
	s_wait_dscnt 0x7
	v_add_f32_e32 v0, v0, v16
	s_wait_dscnt 0x5
	v_dual_add_f32 v20, v8, v17 :: v_dual_add_f32 v8, v10, v18
	s_wait_dscnt 0x3
	v_dual_add_f32 v18, v11, v19 :: v_dual_add_f32 v10, v12, v21
	s_wait_dscnt 0x2
	v_add_f32_e32 v16, v13, v22
	s_wait_dscnt 0x1
	v_add_f32_e32 v12, v1, v14
	;; [unrolled: 2-line block ×3, first 2 shown]
	s_and_b32 s0, vcc_lo, s0
	s_delay_alu instid0(SALU_CYCLE_1) | instskip(NEXT) | instid1(SALU_CYCLE_1)
	s_and_saveexec_b32 s1, s0
	s_xor_b32 s0, exec_lo, s1
	s_cbranch_execz .LBB86_17
; %bb.16:
	v_xor_b32_e32 v4, 0x80000000, v3
	v_dual_mov_b32 v5, v2 :: v_dual_lshlrev_b32 v6, 2, v6
	s_delay_alu instid0(VALU_DEP_1) | instskip(NEXT) | instid1(VALU_DEP_2)
	v_ashrrev_i32_e32 v7, 31, v6
	v_pk_mul_f32 v[20:21], v[20:21], v[4:5] op_sel_hi:[0,1]
	v_pk_mul_f32 v[18:19], v[18:19], v[4:5] op_sel_hi:[0,1]
	v_pk_mul_f32 v[16:17], v[16:17], v[4:5] op_sel_hi:[0,1]
	v_pk_mul_f32 v[14:15], v[14:15], v[4:5] op_sel_hi:[0,1]
	s_wait_kmcnt 0x0
	v_lshl_add_u64 v[22:23], v[6:7], 3, s[2:3]
	v_pk_fma_f32 v[4:5], v[2:3], v[0:1], v[20:21] op_sel_hi:[1,0,1]
	v_pk_fma_f32 v[6:7], v[2:3], v[8:9], v[18:19] op_sel_hi:[1,0,1]
	;; [unrolled: 1-line block ×4, first 2 shown]
	s_clause 0x1
	global_store_b128 v[22:23], v[4:7], off
	global_store_b128 v[22:23], v[0:3], off offset:16
                                        ; implicit-def: $vgpr6
                                        ; implicit-def: $vgpr0
                                        ; implicit-def: $vgpr20
                                        ; implicit-def: $vgpr8
                                        ; implicit-def: $vgpr18
                                        ; implicit-def: $vgpr10
                                        ; implicit-def: $vgpr16
                                        ; implicit-def: $vgpr12
                                        ; implicit-def: $vgpr14
                                        ; implicit-def: $vgpr2_vgpr3
                                        ; implicit-def: $vgpr4_vgpr5
.LBB86_17:
	s_wait_xcnt 0x0
	s_and_not1_saveexec_b32 s0, s0
	s_cbranch_execz .LBB86_19
; %bb.18:
	v_lshlrev_b32_e32 v6, 2, v6
	v_xor_b32_e32 v32, 0x80000000, v5
	s_delay_alu instid0(VALU_DEP_2) | instskip(SKIP_1) | instid1(VALU_DEP_1)
	v_dual_mov_b32 v33, v4 :: v_dual_ashrrev_i32 v7, 31, v6
	s_wait_kmcnt 0x0
	v_lshl_add_u64 v[30:31], v[6:7], 3, s[2:3]
	v_xor_b32_e32 v6, 0x80000000, v3
	v_mov_b32_e32 v7, v2
	s_clause 0x1
	global_load_b128 v[22:25], v[30:31], off
	global_load_b128 v[26:29], v[30:31], off offset:16
	v_pk_mul_f32 v[20:21], v[20:21], v[6:7] op_sel_hi:[0,1]
	v_pk_mul_f32 v[18:19], v[18:19], v[6:7] op_sel_hi:[0,1]
	;; [unrolled: 1-line block ×4, first 2 shown]
	s_delay_alu instid0(VALU_DEP_4) | instskip(NEXT) | instid1(VALU_DEP_4)
	v_pk_fma_f32 v[0:1], v[2:3], v[0:1], v[20:21] op_sel_hi:[1,0,1]
	v_pk_fma_f32 v[8:9], v[2:3], v[8:9], v[18:19] op_sel_hi:[1,0,1]
	s_delay_alu instid0(VALU_DEP_4) | instskip(NEXT) | instid1(VALU_DEP_4)
	v_pk_fma_f32 v[10:11], v[2:3], v[10:11], v[16:17] op_sel_hi:[1,0,1]
	v_pk_fma_f32 v[2:3], v[2:3], v[12:13], v[6:7] op_sel_hi:[1,0,1]
	s_wait_loadcnt 0x1
	v_pk_fma_f32 v[0:1], v[4:5], v[22:23], v[0:1] op_sel_hi:[1,0,1]
	v_pk_fma_f32 v[6:7], v[4:5], v[24:25], v[8:9] op_sel_hi:[1,0,1]
	s_wait_loadcnt 0x0
	v_dual_mov_b32 v8, v25 :: v_dual_mov_b32 v14, v29
	v_pk_fma_f32 v[10:11], v[4:5], v[26:27], v[10:11] op_sel_hi:[1,0,1]
	v_pk_fma_f32 v[12:13], v[4:5], v[28:29], v[2:3] op_sel_hi:[1,0,1]
	v_pk_fma_f32 v[0:1], v[32:33], v[22:23], v[0:1] op_sel:[0,1,0]
	s_delay_alu instid0(VALU_DEP_4) | instskip(NEXT) | instid1(VALU_DEP_4)
	v_pk_fma_f32 v[2:3], v[32:33], v[8:9], v[6:7] op_sel_hi:[1,0,1]
	v_pk_fma_f32 v[4:5], v[32:33], v[26:27], v[10:11] op_sel:[0,1,0]
	s_delay_alu instid0(VALU_DEP_4)
	v_pk_fma_f32 v[6:7], v[32:33], v[14:15], v[12:13] op_sel_hi:[1,0,1]
	s_clause 0x1
	global_store_b128 v[30:31], v[0:3], off
	global_store_b128 v[30:31], v[4:7], off offset:16
.LBB86_19:
	s_endpgm
	.section	.rodata,"a",@progbits
	.p2align	6, 0x0
	.amdhsa_kernel _ZN9rocsparseL19gebsrmvn_4xn_kernelILj128ELj3ELj16E21rocsparse_complex_numIfEEEvi20rocsparse_direction_NS_24const_host_device_scalarIT2_EEPKiS8_PKS5_SA_S6_PS5_21rocsparse_index_base_b
		.amdhsa_group_segment_fixed_size 0
		.amdhsa_private_segment_fixed_size 0
		.amdhsa_kernarg_size 72
		.amdhsa_user_sgpr_count 2
		.amdhsa_user_sgpr_dispatch_ptr 0
		.amdhsa_user_sgpr_queue_ptr 0
		.amdhsa_user_sgpr_kernarg_segment_ptr 1
		.amdhsa_user_sgpr_dispatch_id 0
		.amdhsa_user_sgpr_kernarg_preload_length 0
		.amdhsa_user_sgpr_kernarg_preload_offset 0
		.amdhsa_user_sgpr_private_segment_size 0
		.amdhsa_wavefront_size32 1
		.amdhsa_uses_dynamic_stack 0
		.amdhsa_enable_private_segment 0
		.amdhsa_system_sgpr_workgroup_id_x 1
		.amdhsa_system_sgpr_workgroup_id_y 0
		.amdhsa_system_sgpr_workgroup_id_z 0
		.amdhsa_system_sgpr_workgroup_info 0
		.amdhsa_system_vgpr_workitem_id 0
		.amdhsa_next_free_vgpr 58
		.amdhsa_next_free_sgpr 14
		.amdhsa_named_barrier_count 0
		.amdhsa_reserve_vcc 1
		.amdhsa_float_round_mode_32 0
		.amdhsa_float_round_mode_16_64 0
		.amdhsa_float_denorm_mode_32 3
		.amdhsa_float_denorm_mode_16_64 3
		.amdhsa_fp16_overflow 0
		.amdhsa_memory_ordered 1
		.amdhsa_forward_progress 1
		.amdhsa_inst_pref_size 22
		.amdhsa_round_robin_scheduling 0
		.amdhsa_exception_fp_ieee_invalid_op 0
		.amdhsa_exception_fp_denorm_src 0
		.amdhsa_exception_fp_ieee_div_zero 0
		.amdhsa_exception_fp_ieee_overflow 0
		.amdhsa_exception_fp_ieee_underflow 0
		.amdhsa_exception_fp_ieee_inexact 0
		.amdhsa_exception_int_div_zero 0
	.end_amdhsa_kernel
	.section	.text._ZN9rocsparseL19gebsrmvn_4xn_kernelILj128ELj3ELj16E21rocsparse_complex_numIfEEEvi20rocsparse_direction_NS_24const_host_device_scalarIT2_EEPKiS8_PKS5_SA_S6_PS5_21rocsparse_index_base_b,"axG",@progbits,_ZN9rocsparseL19gebsrmvn_4xn_kernelILj128ELj3ELj16E21rocsparse_complex_numIfEEEvi20rocsparse_direction_NS_24const_host_device_scalarIT2_EEPKiS8_PKS5_SA_S6_PS5_21rocsparse_index_base_b,comdat
.Lfunc_end86:
	.size	_ZN9rocsparseL19gebsrmvn_4xn_kernelILj128ELj3ELj16E21rocsparse_complex_numIfEEEvi20rocsparse_direction_NS_24const_host_device_scalarIT2_EEPKiS8_PKS5_SA_S6_PS5_21rocsparse_index_base_b, .Lfunc_end86-_ZN9rocsparseL19gebsrmvn_4xn_kernelILj128ELj3ELj16E21rocsparse_complex_numIfEEEvi20rocsparse_direction_NS_24const_host_device_scalarIT2_EEPKiS8_PKS5_SA_S6_PS5_21rocsparse_index_base_b
                                        ; -- End function
	.set _ZN9rocsparseL19gebsrmvn_4xn_kernelILj128ELj3ELj16E21rocsparse_complex_numIfEEEvi20rocsparse_direction_NS_24const_host_device_scalarIT2_EEPKiS8_PKS5_SA_S6_PS5_21rocsparse_index_base_b.num_vgpr, 58
	.set _ZN9rocsparseL19gebsrmvn_4xn_kernelILj128ELj3ELj16E21rocsparse_complex_numIfEEEvi20rocsparse_direction_NS_24const_host_device_scalarIT2_EEPKiS8_PKS5_SA_S6_PS5_21rocsparse_index_base_b.num_agpr, 0
	.set _ZN9rocsparseL19gebsrmvn_4xn_kernelILj128ELj3ELj16E21rocsparse_complex_numIfEEEvi20rocsparse_direction_NS_24const_host_device_scalarIT2_EEPKiS8_PKS5_SA_S6_PS5_21rocsparse_index_base_b.numbered_sgpr, 14
	.set _ZN9rocsparseL19gebsrmvn_4xn_kernelILj128ELj3ELj16E21rocsparse_complex_numIfEEEvi20rocsparse_direction_NS_24const_host_device_scalarIT2_EEPKiS8_PKS5_SA_S6_PS5_21rocsparse_index_base_b.num_named_barrier, 0
	.set _ZN9rocsparseL19gebsrmvn_4xn_kernelILj128ELj3ELj16E21rocsparse_complex_numIfEEEvi20rocsparse_direction_NS_24const_host_device_scalarIT2_EEPKiS8_PKS5_SA_S6_PS5_21rocsparse_index_base_b.private_seg_size, 0
	.set _ZN9rocsparseL19gebsrmvn_4xn_kernelILj128ELj3ELj16E21rocsparse_complex_numIfEEEvi20rocsparse_direction_NS_24const_host_device_scalarIT2_EEPKiS8_PKS5_SA_S6_PS5_21rocsparse_index_base_b.uses_vcc, 1
	.set _ZN9rocsparseL19gebsrmvn_4xn_kernelILj128ELj3ELj16E21rocsparse_complex_numIfEEEvi20rocsparse_direction_NS_24const_host_device_scalarIT2_EEPKiS8_PKS5_SA_S6_PS5_21rocsparse_index_base_b.uses_flat_scratch, 1
	.set _ZN9rocsparseL19gebsrmvn_4xn_kernelILj128ELj3ELj16E21rocsparse_complex_numIfEEEvi20rocsparse_direction_NS_24const_host_device_scalarIT2_EEPKiS8_PKS5_SA_S6_PS5_21rocsparse_index_base_b.has_dyn_sized_stack, 0
	.set _ZN9rocsparseL19gebsrmvn_4xn_kernelILj128ELj3ELj16E21rocsparse_complex_numIfEEEvi20rocsparse_direction_NS_24const_host_device_scalarIT2_EEPKiS8_PKS5_SA_S6_PS5_21rocsparse_index_base_b.has_recursion, 0
	.set _ZN9rocsparseL19gebsrmvn_4xn_kernelILj128ELj3ELj16E21rocsparse_complex_numIfEEEvi20rocsparse_direction_NS_24const_host_device_scalarIT2_EEPKiS8_PKS5_SA_S6_PS5_21rocsparse_index_base_b.has_indirect_call, 0
	.section	.AMDGPU.csdata,"",@progbits
; Kernel info:
; codeLenInByte = 2708
; TotalNumSgprs: 16
; NumVgprs: 58
; ScratchSize: 0
; MemoryBound: 0
; FloatMode: 240
; IeeeMode: 1
; LDSByteSize: 0 bytes/workgroup (compile time only)
; SGPRBlocks: 0
; VGPRBlocks: 3
; NumSGPRsForWavesPerEU: 16
; NumVGPRsForWavesPerEU: 58
; NamedBarCnt: 0
; Occupancy: 16
; WaveLimiterHint : 1
; COMPUTE_PGM_RSRC2:SCRATCH_EN: 0
; COMPUTE_PGM_RSRC2:USER_SGPR: 2
; COMPUTE_PGM_RSRC2:TRAP_HANDLER: 0
; COMPUTE_PGM_RSRC2:TGID_X_EN: 1
; COMPUTE_PGM_RSRC2:TGID_Y_EN: 0
; COMPUTE_PGM_RSRC2:TGID_Z_EN: 0
; COMPUTE_PGM_RSRC2:TIDIG_COMP_CNT: 0
	.section	.text._ZN9rocsparseL19gebsrmvn_4xn_kernelILj128ELj3ELj32E21rocsparse_complex_numIfEEEvi20rocsparse_direction_NS_24const_host_device_scalarIT2_EEPKiS8_PKS5_SA_S6_PS5_21rocsparse_index_base_b,"axG",@progbits,_ZN9rocsparseL19gebsrmvn_4xn_kernelILj128ELj3ELj32E21rocsparse_complex_numIfEEEvi20rocsparse_direction_NS_24const_host_device_scalarIT2_EEPKiS8_PKS5_SA_S6_PS5_21rocsparse_index_base_b,comdat
	.globl	_ZN9rocsparseL19gebsrmvn_4xn_kernelILj128ELj3ELj32E21rocsparse_complex_numIfEEEvi20rocsparse_direction_NS_24const_host_device_scalarIT2_EEPKiS8_PKS5_SA_S6_PS5_21rocsparse_index_base_b ; -- Begin function _ZN9rocsparseL19gebsrmvn_4xn_kernelILj128ELj3ELj32E21rocsparse_complex_numIfEEEvi20rocsparse_direction_NS_24const_host_device_scalarIT2_EEPKiS8_PKS5_SA_S6_PS5_21rocsparse_index_base_b
	.p2align	8
	.type	_ZN9rocsparseL19gebsrmvn_4xn_kernelILj128ELj3ELj32E21rocsparse_complex_numIfEEEvi20rocsparse_direction_NS_24const_host_device_scalarIT2_EEPKiS8_PKS5_SA_S6_PS5_21rocsparse_index_base_b,@function
_ZN9rocsparseL19gebsrmvn_4xn_kernelILj128ELj3ELj32E21rocsparse_complex_numIfEEEvi20rocsparse_direction_NS_24const_host_device_scalarIT2_EEPKiS8_PKS5_SA_S6_PS5_21rocsparse_index_base_b: ; @_ZN9rocsparseL19gebsrmvn_4xn_kernelILj128ELj3ELj32E21rocsparse_complex_numIfEEEvi20rocsparse_direction_NS_24const_host_device_scalarIT2_EEPKiS8_PKS5_SA_S6_PS5_21rocsparse_index_base_b
; %bb.0:
	s_clause 0x2
	s_load_b64 s[12:13], s[0:1], 0x40
	s_load_b64 s[2:3], s[0:1], 0x8
	;; [unrolled: 1-line block ×3, first 2 shown]
	v_mov_b32_e32 v1, 0
	s_add_nc_u64 s[6:7], s[0:1], 8
	s_add_nc_u64 s[8:9], s[0:1], 48
	s_wait_kmcnt 0x0
	s_bitcmp1_b32 s13, 0
	s_cselect_b32 s3, s7, s3
	s_cselect_b32 s2, s6, s2
	;; [unrolled: 1-line block ×4, first 2 shown]
	s_clause 0x1
	flat_load_b64 v[2:3], v1, s[2:3]
	flat_load_b64 v[4:5], v1, s[4:5]
	s_wait_loadcnt_dscnt 0x101
	v_cmp_eq_f32_e32 vcc_lo, 0, v2
	v_cmp_eq_f32_e64 s2, 0, v3
	s_wait_loadcnt_dscnt 0x0
	v_cmp_eq_f32_e64 s3, 1.0, v4
	v_cmp_eq_f32_e64 s4, 0, v5
	s_and_b32 s2, vcc_lo, s2
	s_and_b32 s3, s3, s4
	s_delay_alu instid0(SALU_CYCLE_1) | instskip(NEXT) | instid1(SALU_CYCLE_1)
	s_and_b32 s2, s2, s3
	s_xor_b32 s2, s2, -1
	s_delay_alu instid0(SALU_CYCLE_1)
	s_and_saveexec_b32 s3, s2
	s_cbranch_execz .LBB87_19
; %bb.1:
	s_load_b64 s[2:3], s[0:1], 0x0
	s_bfe_u32 s4, ttmp6, 0x4000c
	s_and_b32 s5, ttmp6, 15
	s_add_co_i32 s4, s4, 1
	s_getreg_b32 s6, hwreg(HW_REG_IB_STS2, 6, 4)
	s_mul_i32 s4, ttmp9, s4
	v_lshrrev_b32_e32 v1, 5, v0
	s_add_co_i32 s5, s5, s4
	s_cmp_eq_u32 s6, 0
	s_cselect_b32 s4, ttmp9, s5
	s_delay_alu instid0(VALU_DEP_1) | instid1(SALU_CYCLE_1)
	v_lshl_or_b32 v6, s4, 2, v1
	s_wait_kmcnt 0x0
	s_delay_alu instid0(VALU_DEP_1)
	v_cmp_gt_i32_e32 vcc_lo, s2, v6
	s_and_b32 exec_lo, exec_lo, vcc_lo
	s_cbranch_execz .LBB87_19
; %bb.2:
	s_load_b256 s[4:11], s[0:1], 0x10
	v_ashrrev_i32_e32 v7, 31, v6
	s_cmp_lg_u32 s3, 0
	s_wait_kmcnt 0x0
	s_delay_alu instid0(VALU_DEP_1)
	v_lshl_add_u64 v[8:9], v[6:7], 2, s[4:5]
	v_and_b32_e32 v7, 31, v0
	global_load_b64 v[8:9], v[8:9], off
	s_wait_loadcnt 0x0
	v_subrev_nc_u32_e32 v0, s12, v8
	v_subrev_nc_u32_e32 v16, s12, v9
	s_delay_alu instid0(VALU_DEP_2) | instskip(NEXT) | instid1(VALU_DEP_1)
	v_add_nc_u32_e32 v17, v0, v7
	v_cmp_lt_i32_e64 s2, v17, v16
	s_cbranch_scc0 .LBB87_8
; %bb.3:
	v_mov_b32_e32 v9, 0
	s_delay_alu instid0(VALU_DEP_1)
	v_dual_mov_b32 v8, v9 :: v_dual_mov_b32 v1, v9
	v_dual_mov_b32 v0, v9 :: v_dual_mov_b32 v11, v9
	;; [unrolled: 1-line block ×3, first 2 shown]
	v_mov_b32_e32 v12, v9
	s_and_saveexec_b32 s3, s2
	s_cbranch_execz .LBB87_7
; %bb.4:
	v_mul_lo_u32 v14, v17, 12
	v_dual_mov_b32 v15, 0 :: v_dual_mov_b32 v18, v17
	s_mov_b32 s4, 0
	s_delay_alu instid0(VALU_DEP_1)
	v_dual_mov_b32 v12, v15 :: v_dual_mov_b32 v13, v15
	v_dual_mov_b32 v10, v15 :: v_dual_mov_b32 v11, v15
	;; [unrolled: 1-line block ×4, first 2 shown]
.LBB87_5:                               ; =>This Inner Loop Header: Depth=1
	global_load_b32 v19, v18, s[6:7] scale_offset
	v_dual_mov_b32 v21, v15 :: v_dual_add_nc_u32 v20, 4, v14
	v_dual_mov_b32 v23, v15 :: v_dual_add_nc_u32 v22, 8, v14
	v_lshl_add_u64 v[28:29], v[14:15], 3, s[8:9]
	s_delay_alu instid0(VALU_DEP_3) | instskip(NEXT) | instid1(VALU_DEP_3)
	v_lshl_add_u64 v[40:41], v[20:21], 3, s[8:9]
	v_lshl_add_u64 v[44:45], v[22:23], 3, s[8:9]
	s_clause 0x1
	global_load_b128 v[20:23], v[28:29], off offset:16
	global_load_b128 v[24:27], v[28:29], off
	s_wait_xcnt 0x2
	v_add_nc_u32_e32 v18, 32, v18
	global_load_b128 v[28:31], v[40:41], off
	v_add_nc_u32_e32 v14, 0x180, v14
	s_wait_loadcnt 0x3
	v_subrev_nc_u32_e32 v19, s12, v19
	s_delay_alu instid0(VALU_DEP_1)
	v_lshl_add_u32 v19, v19, 1, v19
	global_load_b128 v[32:35], v[44:45], off
	global_load_b64 v[46:47], v19, s[10:11] scale_offset
	global_load_b128 v[36:39], v[40:41], off offset:16
	s_wait_xcnt 0x1
	v_dual_add_nc_u32 v52, 1, v19 :: v_dual_add_nc_u32 v19, 2, v19
	s_wait_loadcnt 0x5
	v_mov_b32_e32 v53, v22
	s_wait_loadcnt 0x3
	v_xor_b32_e32 v54, 0x80000000, v31
	v_mov_b32_e32 v55, v30
	global_load_b64 v[48:49], v52, s[10:11] scale_offset
	global_load_b128 v[40:43], v[44:45], off offset:16
	global_load_b64 v[50:51], v19, s[10:11] scale_offset
	s_wait_xcnt 0x1
	v_xor_b32_e32 v44, 0x80000000, v27
	v_mov_b32_e32 v45, v26
	v_xor_b32_e32 v52, 0x80000000, v23
	v_cmp_ge_i32_e32 vcc_lo, v18, v16
	s_or_b32 s4, vcc_lo, s4
	s_wait_loadcnt 0x5
	v_mov_b32_e32 v57, v34
	s_wait_loadcnt 0x4
	v_pk_fma_f32 v[8:9], v[24:25], v[46:47], v[8:9] op_sel_hi:[1,0,1]
	v_pk_fma_f32 v[12:13], v[26:27], v[46:47], v[12:13] op_sel_hi:[1,0,1]
	;; [unrolled: 1-line block ×4, first 2 shown]
	s_wait_loadcnt 0x3
	v_xor_b32_e32 v22, 0x80000000, v39
	v_pk_fma_f32 v[8:9], v[24:25], v[46:47], v[8:9] op_sel:[1,1,0] op_sel_hi:[0,1,1] neg_lo:[1,0,0]
	v_pk_fma_f32 v[12:13], v[44:45], v[46:47], v[12:13] op_sel:[0,1,0]
	v_pk_fma_f32 v[10:11], v[20:21], v[46:47], v[10:11] op_sel:[1,1,0] op_sel_hi:[0,1,1] neg_lo:[1,0,0]
	v_pk_fma_f32 v[0:1], v[52:53], v[46:47], v[0:1] op_sel:[0,1,0]
	s_wait_loadcnt 0x1
	v_dual_mov_b32 v23, v38 :: v_dual_mov_b32 v21, v42
	v_pk_fma_f32 v[8:9], v[28:29], v[48:49], v[8:9] op_sel_hi:[1,0,1]
	v_pk_fma_f32 v[12:13], v[30:31], v[48:49], v[12:13] op_sel_hi:[1,0,1]
	v_pk_fma_f32 v[10:11], v[36:37], v[48:49], v[10:11] op_sel_hi:[1,0,1]
	v_pk_fma_f32 v[0:1], v[38:39], v[48:49], v[0:1] op_sel_hi:[1,0,1]
	v_xor_b32_e32 v56, 0x80000000, v35
	v_pk_fma_f32 v[8:9], v[28:29], v[48:49], v[8:9] op_sel:[1,1,0] op_sel_hi:[0,1,1] neg_lo:[1,0,0]
	v_pk_fma_f32 v[12:13], v[54:55], v[48:49], v[12:13] op_sel:[0,1,0]
	v_pk_fma_f32 v[10:11], v[36:37], v[48:49], v[10:11] op_sel:[1,1,0] op_sel_hi:[0,1,1] neg_lo:[1,0,0]
	v_pk_fma_f32 v[0:1], v[22:23], v[48:49], v[0:1] op_sel:[0,1,0]
	v_xor_b32_e32 v20, 0x80000000, v43
	s_wait_loadcnt 0x0
	v_pk_fma_f32 v[8:9], v[32:33], v[50:51], v[8:9] op_sel_hi:[1,0,1]
	v_pk_fma_f32 v[12:13], v[34:35], v[50:51], v[12:13] op_sel_hi:[1,0,1]
	;; [unrolled: 1-line block ×4, first 2 shown]
	s_delay_alu instid0(VALU_DEP_4) | instskip(NEXT) | instid1(VALU_DEP_4)
	v_pk_fma_f32 v[8:9], v[32:33], v[50:51], v[8:9] op_sel:[1,1,0] op_sel_hi:[0,1,1] neg_lo:[1,0,0]
	v_pk_fma_f32 v[12:13], v[56:57], v[50:51], v[12:13] op_sel:[0,1,0]
	s_delay_alu instid0(VALU_DEP_4) | instskip(NEXT) | instid1(VALU_DEP_4)
	v_pk_fma_f32 v[10:11], v[40:41], v[50:51], v[10:11] op_sel:[1,1,0] op_sel_hi:[0,1,1] neg_lo:[1,0,0]
	v_pk_fma_f32 v[0:1], v[20:21], v[50:51], v[0:1] op_sel:[0,1,0]
	s_and_not1_b32 exec_lo, exec_lo, s4
	s_cbranch_execnz .LBB87_5
; %bb.6:
	s_or_b32 exec_lo, exec_lo, s4
.LBB87_7:
	s_delay_alu instid0(SALU_CYCLE_1)
	s_or_b32 exec_lo, exec_lo, s3
	s_cbranch_execz .LBB87_9
	s_branch .LBB87_14
.LBB87_8:
                                        ; implicit-def: $vgpr9
                                        ; implicit-def: $vgpr1
                                        ; implicit-def: $vgpr11
                                        ; implicit-def: $vgpr13
.LBB87_9:
	v_mov_b32_e32 v9, 0
	s_delay_alu instid0(VALU_DEP_1)
	v_dual_mov_b32 v8, v9 :: v_dual_mov_b32 v1, v9
	v_dual_mov_b32 v0, v9 :: v_dual_mov_b32 v11, v9
	;; [unrolled: 1-line block ×3, first 2 shown]
	v_mov_b32_e32 v12, v9
	s_and_saveexec_b32 s3, s2
	s_cbranch_execz .LBB87_13
; %bb.10:
	v_mad_u32 v18, v17, 12, 11
	v_mov_b32_e32 v15, 0
	s_mov_b32 s2, 0
	s_delay_alu instid0(VALU_DEP_1)
	v_dual_mov_b32 v12, v15 :: v_dual_mov_b32 v13, v15
	v_dual_mov_b32 v10, v15 :: v_dual_mov_b32 v11, v15
	;; [unrolled: 1-line block ×4, first 2 shown]
.LBB87_11:                              ; =>This Inner Loop Header: Depth=1
	global_load_b32 v19, v17, s[6:7] scale_offset
	v_dual_add_nc_u32 v14, -11, v18 :: v_dual_add_nc_u32 v20, -5, v18
	v_dual_add_nc_u32 v21, -2, v18 :: v_dual_add_nc_u32 v22, -7, v18
	;; [unrolled: 1-line block ×3, first 2 shown]
	s_delay_alu instid0(VALU_DEP_3)
	v_lshl_add_u64 v[28:29], v[14:15], 3, s[8:9]
	s_clause 0x3
	global_load_b64 v[30:31], v22, s[8:9] scale_offset
	global_load_b64 v[32:33], v23, s[8:9] scale_offset
	;; [unrolled: 1-line block ×4, first 2 shown]
	v_dual_add_nc_u32 v46, -1, v18 :: v_dual_add_nc_u32 v47, -3, v18
	global_load_b128 v[20:23], v[28:29], off offset:16
	v_add_nc_u32_e32 v17, 32, v17
	s_delay_alu instid0(VALU_DEP_1) | instskip(SKIP_3) | instid1(VALU_DEP_1)
	v_cmp_ge_i32_e32 vcc_lo, v17, v16
	s_or_b32 s2, vcc_lo, s2
	s_wait_loadcnt 0x5
	v_subrev_nc_u32_e32 v14, s12, v19
	v_lshl_add_u32 v14, v14, 1, v14
	global_load_b128 v[24:27], v[28:29], off
	global_load_b64 v[38:39], v14, s[10:11] scale_offset
	global_load_b64 v[40:41], v42, s[8:9] scale_offset
	s_wait_xcnt 0x1
	v_dual_add_nc_u32 v19, 1, v14 :: v_dual_add_nc_u32 v14, 2, v14
	global_load_b64 v[28:29], v46, s[8:9] scale_offset
	global_load_b64 v[42:43], v19, s[10:11] scale_offset
	s_clause 0x1
	global_load_b64 v[44:45], v47, s[8:9] scale_offset
	global_load_b64 v[46:47], v18, s[8:9] scale_offset
	;; [unrolled: 1-line block ×3, first 2 shown]
	s_wait_loadcnt 0x8
	v_xor_b32_e32 v50, 0x80000000, v23
	s_wait_xcnt 0x1
	v_dual_mov_b32 v51, v22 :: v_dual_add_nc_u32 v18, 0x180, v18
	s_wait_loadcnt 0x6
	v_pk_fma_f32 v[8:9], v[24:25], v[38:39], v[8:9] op_sel_hi:[1,0,1]
	v_pk_fma_f32 v[12:13], v[22:23], v[38:39], v[12:13] op_sel_hi:[1,0,1]
	;; [unrolled: 1-line block ×4, first 2 shown]
	v_mov_b32_e32 v23, v26
	v_pk_fma_f32 v[8:9], v[24:25], v[38:39], v[8:9] op_sel:[1,1,0] op_sel_hi:[0,1,1] neg_lo:[1,0,0]
	v_pk_fma_f32 v[12:13], v[50:51], v[38:39], v[12:13] op_sel:[0,1,0]
	v_pk_fma_f32 v[10:11], v[34:35], v[38:39], v[10:11] op_sel:[1,1,0] op_sel_hi:[0,1,1] neg_lo:[1,0,0]
	v_pk_fma_f32 v[0:1], v[36:37], v[38:39], v[0:1] op_sel:[1,1,0] op_sel_hi:[0,1,1] neg_lo:[1,0,0]
	v_xor_b32_e32 v22, 0x80000000, v27
	s_wait_loadcnt 0x3
	v_pk_fma_f32 v[8:9], v[26:27], v[42:43], v[8:9] op_sel_hi:[1,0,1]
	v_pk_fma_f32 v[12:13], v[30:31], v[42:43], v[12:13] op_sel_hi:[1,0,1]
	;; [unrolled: 1-line block ×4, first 2 shown]
	s_delay_alu instid0(VALU_DEP_4) | instskip(NEXT) | instid1(VALU_DEP_4)
	v_pk_fma_f32 v[8:9], v[22:23], v[42:43], v[8:9] op_sel:[0,1,0]
	v_pk_fma_f32 v[12:13], v[30:31], v[42:43], v[12:13] op_sel:[1,1,0] op_sel_hi:[0,1,1] neg_lo:[1,0,0]
	s_delay_alu instid0(VALU_DEP_4) | instskip(NEXT) | instid1(VALU_DEP_4)
	v_pk_fma_f32 v[10:11], v[40:41], v[42:43], v[10:11] op_sel:[1,1,0] op_sel_hi:[0,1,1] neg_lo:[1,0,0]
	v_pk_fma_f32 v[0:1], v[28:29], v[42:43], v[0:1] op_sel:[1,1,0] op_sel_hi:[0,1,1] neg_lo:[1,0,0]
	s_wait_loadcnt 0x0
	v_pk_fma_f32 v[8:9], v[20:21], v[48:49], v[8:9] op_sel_hi:[1,0,1]
	v_pk_fma_f32 v[12:13], v[32:33], v[48:49], v[12:13] op_sel_hi:[1,0,1]
	;; [unrolled: 1-line block ×4, first 2 shown]
	s_delay_alu instid0(VALU_DEP_4) | instskip(NEXT) | instid1(VALU_DEP_4)
	v_pk_fma_f32 v[8:9], v[20:21], v[48:49], v[8:9] op_sel:[1,1,0] op_sel_hi:[0,1,1] neg_lo:[1,0,0]
	v_pk_fma_f32 v[12:13], v[32:33], v[48:49], v[12:13] op_sel:[1,1,0] op_sel_hi:[0,1,1] neg_lo:[1,0,0]
	s_delay_alu instid0(VALU_DEP_4) | instskip(NEXT) | instid1(VALU_DEP_4)
	v_pk_fma_f32 v[10:11], v[44:45], v[48:49], v[10:11] op_sel:[1,1,0] op_sel_hi:[0,1,1] neg_lo:[1,0,0]
	v_pk_fma_f32 v[0:1], v[46:47], v[48:49], v[0:1] op_sel:[1,1,0] op_sel_hi:[0,1,1] neg_lo:[1,0,0]
	s_and_not1_b32 exec_lo, exec_lo, s2
	s_cbranch_execnz .LBB87_11
; %bb.12:
	s_or_b32 exec_lo, exec_lo, s2
.LBB87_13:
	s_delay_alu instid0(SALU_CYCLE_1)
	s_or_b32 exec_lo, exec_lo, s3
.LBB87_14:
	v_mbcnt_lo_u32_b32 v14, -1, 0
	s_delay_alu instid0(VALU_DEP_1) | instskip(SKIP_1) | instid1(VALU_DEP_1)
	v_xor_b32_e32 v23, 8, v14
	v_xor_b32_e32 v15, 16, v14
	v_cmp_gt_i32_e32 vcc_lo, 32, v15
	v_cndmask_b32_e32 v15, v14, v15, vcc_lo
	s_delay_alu instid0(VALU_DEP_1)
	v_lshlrev_b32_e32 v15, 2, v15
	ds_bpermute_b32 v17, v15, v9
	s_wait_dscnt 0x0
	v_add_f32_e32 v9, v9, v17
	ds_bpermute_b32 v19, v15, v13
	ds_bpermute_b32 v16, v15, v8
	;; [unrolled: 1-line block ×7, first 2 shown]
	s_wait_dscnt 0x6
	v_add_f32_e32 v13, v13, v19
	v_cmp_gt_i32_e32 vcc_lo, 32, v23
	s_wait_dscnt 0x5
	v_add_f32_e32 v8, v8, v16
	s_wait_dscnt 0x2
	v_dual_add_f32 v10, v10, v20 :: v_dual_add_f32 v11, v11, v21
	s_wait_dscnt 0x0
	v_dual_add_f32 v0, v0, v22 :: v_dual_add_f32 v1, v1, v15
	v_dual_cndmask_b32 v23, v14, v23 :: v_dual_add_f32 v12, v12, v18
	s_delay_alu instid0(VALU_DEP_1)
	v_lshlrev_b32_e32 v23, 2, v23
	ds_bpermute_b32 v15, v23, v8
	ds_bpermute_b32 v16, v23, v9
	ds_bpermute_b32 v17, v23, v12
	ds_bpermute_b32 v18, v23, v13
	ds_bpermute_b32 v19, v23, v10
	ds_bpermute_b32 v20, v23, v11
	ds_bpermute_b32 v21, v23, v0
	ds_bpermute_b32 v22, v23, v1
	s_wait_dscnt 0x7
	v_dual_add_f32 v8, v8, v15 :: v_dual_bitop2_b32 v23, 4, v14 bitop3:0x14
	s_delay_alu instid0(VALU_DEP_1)
	v_cmp_gt_i32_e32 vcc_lo, 32, v23
	s_wait_dscnt 0x6
	v_add_f32_e32 v9, v9, v16
	s_wait_dscnt 0x3
	v_dual_add_f32 v13, v13, v18 :: v_dual_add_f32 v10, v10, v19
	s_wait_dscnt 0x1
	v_dual_add_f32 v11, v11, v20 :: v_dual_add_f32 v0, v0, v21
	v_dual_cndmask_b32 v23, v14, v23 :: v_dual_add_f32 v12, v12, v17
	s_wait_dscnt 0x0
	s_delay_alu instid0(VALU_DEP_1)
	v_dual_add_f32 v1, v1, v22 :: v_dual_lshlrev_b32 v23, 2, v23
	ds_bpermute_b32 v15, v23, v8
	ds_bpermute_b32 v16, v23, v9
	;; [unrolled: 1-line block ×8, first 2 shown]
	s_wait_dscnt 0x7
	v_dual_add_f32 v8, v8, v15 :: v_dual_bitop2_b32 v23, 2, v14 bitop3:0x14
	s_delay_alu instid0(VALU_DEP_1)
	v_cmp_gt_i32_e32 vcc_lo, 32, v23
	s_wait_dscnt 0x4
	v_dual_add_f32 v12, v12, v17 :: v_dual_add_f32 v13, v13, v18
	s_wait_dscnt 0x3
	v_dual_add_f32 v9, v9, v16 :: v_dual_add_f32 v15, v10, v19
	s_wait_dscnt 0x2
	v_dual_add_f32 v16, v11, v20 :: v_dual_cndmask_b32 v23, v14, v23
	s_wait_dscnt 0x0
	v_dual_add_f32 v17, v0, v21 :: v_dual_add_f32 v18, v1, v22
	s_delay_alu instid0(VALU_DEP_2)
	v_lshlrev_b32_e32 v23, 2, v23
	ds_bpermute_b32 v0, v23, v8
	ds_bpermute_b32 v1, v23, v9
	;; [unrolled: 1-line block ×8, first 2 shown]
	s_wait_dscnt 0x7
	v_dual_add_f32 v0, v8, v0 :: v_dual_bitop2_b32 v23, 1, v14 bitop3:0x14
	s_delay_alu instid0(VALU_DEP_1)
	v_cmp_gt_i32_e32 vcc_lo, 32, v23
	s_wait_dscnt 0x5
	v_dual_add_f32 v8, v9, v1 :: v_dual_add_f32 v10, v12, v10
	s_wait_dscnt 0x3
	v_add_f32_e32 v12, v15, v19
	v_add_f32_e32 v11, v13, v11
	s_wait_dscnt 0x2
	v_dual_cndmask_b32 v14, v14, v23 :: v_dual_add_f32 v13, v16, v20
	s_wait_dscnt 0x0
	v_dual_add_f32 v1, v17, v21 :: v_dual_add_f32 v9, v18, v22
	v_cmp_eq_u32_e32 vcc_lo, 31, v7
	s_delay_alu instid0(VALU_DEP_3)
	v_lshlrev_b32_e32 v23, 2, v14
	ds_bpermute_b32 v16, v23, v0
	ds_bpermute_b32 v17, v23, v8
	;; [unrolled: 1-line block ×8, first 2 shown]
	s_and_b32 exec_lo, exec_lo, vcc_lo
	s_cbranch_execz .LBB87_19
; %bb.15:
	s_load_b64 s[2:3], s[0:1], 0x38
	v_cmp_eq_f32_e32 vcc_lo, 0, v4
	s_wait_xcnt 0x0
	v_cmp_eq_f32_e64 s0, 0, v5
	s_wait_dscnt 0x7
	v_add_f32_e32 v0, v0, v16
	s_wait_dscnt 0x5
	v_dual_add_f32 v20, v8, v17 :: v_dual_add_f32 v8, v10, v18
	s_wait_dscnt 0x3
	v_dual_add_f32 v18, v11, v19 :: v_dual_add_f32 v10, v12, v21
	s_wait_dscnt 0x2
	v_add_f32_e32 v16, v13, v22
	s_wait_dscnt 0x1
	v_add_f32_e32 v12, v1, v14
	;; [unrolled: 2-line block ×3, first 2 shown]
	s_and_b32 s0, vcc_lo, s0
	s_delay_alu instid0(SALU_CYCLE_1) | instskip(NEXT) | instid1(SALU_CYCLE_1)
	s_and_saveexec_b32 s1, s0
	s_xor_b32 s0, exec_lo, s1
	s_cbranch_execz .LBB87_17
; %bb.16:
	v_xor_b32_e32 v4, 0x80000000, v3
	v_dual_mov_b32 v5, v2 :: v_dual_lshlrev_b32 v6, 2, v6
	s_delay_alu instid0(VALU_DEP_1) | instskip(NEXT) | instid1(VALU_DEP_2)
	v_ashrrev_i32_e32 v7, 31, v6
	v_pk_mul_f32 v[20:21], v[20:21], v[4:5] op_sel_hi:[0,1]
	v_pk_mul_f32 v[18:19], v[18:19], v[4:5] op_sel_hi:[0,1]
	;; [unrolled: 1-line block ×4, first 2 shown]
	s_wait_kmcnt 0x0
	v_lshl_add_u64 v[22:23], v[6:7], 3, s[2:3]
	v_pk_fma_f32 v[4:5], v[2:3], v[0:1], v[20:21] op_sel_hi:[1,0,1]
	v_pk_fma_f32 v[6:7], v[2:3], v[8:9], v[18:19] op_sel_hi:[1,0,1]
	;; [unrolled: 1-line block ×4, first 2 shown]
	s_clause 0x1
	global_store_b128 v[22:23], v[4:7], off
	global_store_b128 v[22:23], v[0:3], off offset:16
                                        ; implicit-def: $vgpr6
                                        ; implicit-def: $vgpr0
                                        ; implicit-def: $vgpr20
                                        ; implicit-def: $vgpr8
                                        ; implicit-def: $vgpr18
                                        ; implicit-def: $vgpr10
                                        ; implicit-def: $vgpr16
                                        ; implicit-def: $vgpr12
                                        ; implicit-def: $vgpr14
                                        ; implicit-def: $vgpr2_vgpr3
                                        ; implicit-def: $vgpr4_vgpr5
.LBB87_17:
	s_wait_xcnt 0x0
	s_and_not1_saveexec_b32 s0, s0
	s_cbranch_execz .LBB87_19
; %bb.18:
	v_lshlrev_b32_e32 v6, 2, v6
	v_xor_b32_e32 v32, 0x80000000, v5
	s_delay_alu instid0(VALU_DEP_2) | instskip(SKIP_1) | instid1(VALU_DEP_1)
	v_dual_mov_b32 v33, v4 :: v_dual_ashrrev_i32 v7, 31, v6
	s_wait_kmcnt 0x0
	v_lshl_add_u64 v[30:31], v[6:7], 3, s[2:3]
	v_xor_b32_e32 v6, 0x80000000, v3
	v_mov_b32_e32 v7, v2
	s_clause 0x1
	global_load_b128 v[22:25], v[30:31], off
	global_load_b128 v[26:29], v[30:31], off offset:16
	v_pk_mul_f32 v[20:21], v[20:21], v[6:7] op_sel_hi:[0,1]
	v_pk_mul_f32 v[18:19], v[18:19], v[6:7] op_sel_hi:[0,1]
	;; [unrolled: 1-line block ×4, first 2 shown]
	s_delay_alu instid0(VALU_DEP_4) | instskip(NEXT) | instid1(VALU_DEP_4)
	v_pk_fma_f32 v[0:1], v[2:3], v[0:1], v[20:21] op_sel_hi:[1,0,1]
	v_pk_fma_f32 v[8:9], v[2:3], v[8:9], v[18:19] op_sel_hi:[1,0,1]
	s_delay_alu instid0(VALU_DEP_4) | instskip(NEXT) | instid1(VALU_DEP_4)
	v_pk_fma_f32 v[10:11], v[2:3], v[10:11], v[16:17] op_sel_hi:[1,0,1]
	v_pk_fma_f32 v[2:3], v[2:3], v[12:13], v[6:7] op_sel_hi:[1,0,1]
	s_wait_loadcnt 0x1
	v_pk_fma_f32 v[0:1], v[4:5], v[22:23], v[0:1] op_sel_hi:[1,0,1]
	v_pk_fma_f32 v[6:7], v[4:5], v[24:25], v[8:9] op_sel_hi:[1,0,1]
	s_wait_loadcnt 0x0
	v_dual_mov_b32 v8, v25 :: v_dual_mov_b32 v14, v29
	v_pk_fma_f32 v[10:11], v[4:5], v[26:27], v[10:11] op_sel_hi:[1,0,1]
	v_pk_fma_f32 v[12:13], v[4:5], v[28:29], v[2:3] op_sel_hi:[1,0,1]
	v_pk_fma_f32 v[0:1], v[32:33], v[22:23], v[0:1] op_sel:[0,1,0]
	s_delay_alu instid0(VALU_DEP_4) | instskip(NEXT) | instid1(VALU_DEP_4)
	v_pk_fma_f32 v[2:3], v[32:33], v[8:9], v[6:7] op_sel_hi:[1,0,1]
	v_pk_fma_f32 v[4:5], v[32:33], v[26:27], v[10:11] op_sel:[0,1,0]
	s_delay_alu instid0(VALU_DEP_4)
	v_pk_fma_f32 v[6:7], v[32:33], v[14:15], v[12:13] op_sel_hi:[1,0,1]
	s_clause 0x1
	global_store_b128 v[30:31], v[0:3], off
	global_store_b128 v[30:31], v[4:7], off offset:16
.LBB87_19:
	s_endpgm
	.section	.rodata,"a",@progbits
	.p2align	6, 0x0
	.amdhsa_kernel _ZN9rocsparseL19gebsrmvn_4xn_kernelILj128ELj3ELj32E21rocsparse_complex_numIfEEEvi20rocsparse_direction_NS_24const_host_device_scalarIT2_EEPKiS8_PKS5_SA_S6_PS5_21rocsparse_index_base_b
		.amdhsa_group_segment_fixed_size 0
		.amdhsa_private_segment_fixed_size 0
		.amdhsa_kernarg_size 72
		.amdhsa_user_sgpr_count 2
		.amdhsa_user_sgpr_dispatch_ptr 0
		.amdhsa_user_sgpr_queue_ptr 0
		.amdhsa_user_sgpr_kernarg_segment_ptr 1
		.amdhsa_user_sgpr_dispatch_id 0
		.amdhsa_user_sgpr_kernarg_preload_length 0
		.amdhsa_user_sgpr_kernarg_preload_offset 0
		.amdhsa_user_sgpr_private_segment_size 0
		.amdhsa_wavefront_size32 1
		.amdhsa_uses_dynamic_stack 0
		.amdhsa_enable_private_segment 0
		.amdhsa_system_sgpr_workgroup_id_x 1
		.amdhsa_system_sgpr_workgroup_id_y 0
		.amdhsa_system_sgpr_workgroup_id_z 0
		.amdhsa_system_sgpr_workgroup_info 0
		.amdhsa_system_vgpr_workitem_id 0
		.amdhsa_next_free_vgpr 58
		.amdhsa_next_free_sgpr 14
		.amdhsa_named_barrier_count 0
		.amdhsa_reserve_vcc 1
		.amdhsa_float_round_mode_32 0
		.amdhsa_float_round_mode_16_64 0
		.amdhsa_float_denorm_mode_32 3
		.amdhsa_float_denorm_mode_16_64 3
		.amdhsa_fp16_overflow 0
		.amdhsa_memory_ordered 1
		.amdhsa_forward_progress 1
		.amdhsa_inst_pref_size 23
		.amdhsa_round_robin_scheduling 0
		.amdhsa_exception_fp_ieee_invalid_op 0
		.amdhsa_exception_fp_denorm_src 0
		.amdhsa_exception_fp_ieee_div_zero 0
		.amdhsa_exception_fp_ieee_overflow 0
		.amdhsa_exception_fp_ieee_underflow 0
		.amdhsa_exception_fp_ieee_inexact 0
		.amdhsa_exception_int_div_zero 0
	.end_amdhsa_kernel
	.section	.text._ZN9rocsparseL19gebsrmvn_4xn_kernelILj128ELj3ELj32E21rocsparse_complex_numIfEEEvi20rocsparse_direction_NS_24const_host_device_scalarIT2_EEPKiS8_PKS5_SA_S6_PS5_21rocsparse_index_base_b,"axG",@progbits,_ZN9rocsparseL19gebsrmvn_4xn_kernelILj128ELj3ELj32E21rocsparse_complex_numIfEEEvi20rocsparse_direction_NS_24const_host_device_scalarIT2_EEPKiS8_PKS5_SA_S6_PS5_21rocsparse_index_base_b,comdat
.Lfunc_end87:
	.size	_ZN9rocsparseL19gebsrmvn_4xn_kernelILj128ELj3ELj32E21rocsparse_complex_numIfEEEvi20rocsparse_direction_NS_24const_host_device_scalarIT2_EEPKiS8_PKS5_SA_S6_PS5_21rocsparse_index_base_b, .Lfunc_end87-_ZN9rocsparseL19gebsrmvn_4xn_kernelILj128ELj3ELj32E21rocsparse_complex_numIfEEEvi20rocsparse_direction_NS_24const_host_device_scalarIT2_EEPKiS8_PKS5_SA_S6_PS5_21rocsparse_index_base_b
                                        ; -- End function
	.set _ZN9rocsparseL19gebsrmvn_4xn_kernelILj128ELj3ELj32E21rocsparse_complex_numIfEEEvi20rocsparse_direction_NS_24const_host_device_scalarIT2_EEPKiS8_PKS5_SA_S6_PS5_21rocsparse_index_base_b.num_vgpr, 58
	.set _ZN9rocsparseL19gebsrmvn_4xn_kernelILj128ELj3ELj32E21rocsparse_complex_numIfEEEvi20rocsparse_direction_NS_24const_host_device_scalarIT2_EEPKiS8_PKS5_SA_S6_PS5_21rocsparse_index_base_b.num_agpr, 0
	.set _ZN9rocsparseL19gebsrmvn_4xn_kernelILj128ELj3ELj32E21rocsparse_complex_numIfEEEvi20rocsparse_direction_NS_24const_host_device_scalarIT2_EEPKiS8_PKS5_SA_S6_PS5_21rocsparse_index_base_b.numbered_sgpr, 14
	.set _ZN9rocsparseL19gebsrmvn_4xn_kernelILj128ELj3ELj32E21rocsparse_complex_numIfEEEvi20rocsparse_direction_NS_24const_host_device_scalarIT2_EEPKiS8_PKS5_SA_S6_PS5_21rocsparse_index_base_b.num_named_barrier, 0
	.set _ZN9rocsparseL19gebsrmvn_4xn_kernelILj128ELj3ELj32E21rocsparse_complex_numIfEEEvi20rocsparse_direction_NS_24const_host_device_scalarIT2_EEPKiS8_PKS5_SA_S6_PS5_21rocsparse_index_base_b.private_seg_size, 0
	.set _ZN9rocsparseL19gebsrmvn_4xn_kernelILj128ELj3ELj32E21rocsparse_complex_numIfEEEvi20rocsparse_direction_NS_24const_host_device_scalarIT2_EEPKiS8_PKS5_SA_S6_PS5_21rocsparse_index_base_b.uses_vcc, 1
	.set _ZN9rocsparseL19gebsrmvn_4xn_kernelILj128ELj3ELj32E21rocsparse_complex_numIfEEEvi20rocsparse_direction_NS_24const_host_device_scalarIT2_EEPKiS8_PKS5_SA_S6_PS5_21rocsparse_index_base_b.uses_flat_scratch, 1
	.set _ZN9rocsparseL19gebsrmvn_4xn_kernelILj128ELj3ELj32E21rocsparse_complex_numIfEEEvi20rocsparse_direction_NS_24const_host_device_scalarIT2_EEPKiS8_PKS5_SA_S6_PS5_21rocsparse_index_base_b.has_dyn_sized_stack, 0
	.set _ZN9rocsparseL19gebsrmvn_4xn_kernelILj128ELj3ELj32E21rocsparse_complex_numIfEEEvi20rocsparse_direction_NS_24const_host_device_scalarIT2_EEPKiS8_PKS5_SA_S6_PS5_21rocsparse_index_base_b.has_recursion, 0
	.set _ZN9rocsparseL19gebsrmvn_4xn_kernelILj128ELj3ELj32E21rocsparse_complex_numIfEEEvi20rocsparse_direction_NS_24const_host_device_scalarIT2_EEPKiS8_PKS5_SA_S6_PS5_21rocsparse_index_base_b.has_indirect_call, 0
	.section	.AMDGPU.csdata,"",@progbits
; Kernel info:
; codeLenInByte = 2860
; TotalNumSgprs: 16
; NumVgprs: 58
; ScratchSize: 0
; MemoryBound: 0
; FloatMode: 240
; IeeeMode: 1
; LDSByteSize: 0 bytes/workgroup (compile time only)
; SGPRBlocks: 0
; VGPRBlocks: 3
; NumSGPRsForWavesPerEU: 16
; NumVGPRsForWavesPerEU: 58
; NamedBarCnt: 0
; Occupancy: 16
; WaveLimiterHint : 1
; COMPUTE_PGM_RSRC2:SCRATCH_EN: 0
; COMPUTE_PGM_RSRC2:USER_SGPR: 2
; COMPUTE_PGM_RSRC2:TRAP_HANDLER: 0
; COMPUTE_PGM_RSRC2:TGID_X_EN: 1
; COMPUTE_PGM_RSRC2:TGID_Y_EN: 0
; COMPUTE_PGM_RSRC2:TGID_Z_EN: 0
; COMPUTE_PGM_RSRC2:TIDIG_COMP_CNT: 0
	.section	.text._ZN9rocsparseL19gebsrmvn_4xn_kernelILj128ELj3ELj64E21rocsparse_complex_numIfEEEvi20rocsparse_direction_NS_24const_host_device_scalarIT2_EEPKiS8_PKS5_SA_S6_PS5_21rocsparse_index_base_b,"axG",@progbits,_ZN9rocsparseL19gebsrmvn_4xn_kernelILj128ELj3ELj64E21rocsparse_complex_numIfEEEvi20rocsparse_direction_NS_24const_host_device_scalarIT2_EEPKiS8_PKS5_SA_S6_PS5_21rocsparse_index_base_b,comdat
	.globl	_ZN9rocsparseL19gebsrmvn_4xn_kernelILj128ELj3ELj64E21rocsparse_complex_numIfEEEvi20rocsparse_direction_NS_24const_host_device_scalarIT2_EEPKiS8_PKS5_SA_S6_PS5_21rocsparse_index_base_b ; -- Begin function _ZN9rocsparseL19gebsrmvn_4xn_kernelILj128ELj3ELj64E21rocsparse_complex_numIfEEEvi20rocsparse_direction_NS_24const_host_device_scalarIT2_EEPKiS8_PKS5_SA_S6_PS5_21rocsparse_index_base_b
	.p2align	8
	.type	_ZN9rocsparseL19gebsrmvn_4xn_kernelILj128ELj3ELj64E21rocsparse_complex_numIfEEEvi20rocsparse_direction_NS_24const_host_device_scalarIT2_EEPKiS8_PKS5_SA_S6_PS5_21rocsparse_index_base_b,@function
_ZN9rocsparseL19gebsrmvn_4xn_kernelILj128ELj3ELj64E21rocsparse_complex_numIfEEEvi20rocsparse_direction_NS_24const_host_device_scalarIT2_EEPKiS8_PKS5_SA_S6_PS5_21rocsparse_index_base_b: ; @_ZN9rocsparseL19gebsrmvn_4xn_kernelILj128ELj3ELj64E21rocsparse_complex_numIfEEEvi20rocsparse_direction_NS_24const_host_device_scalarIT2_EEPKiS8_PKS5_SA_S6_PS5_21rocsparse_index_base_b
; %bb.0:
	s_clause 0x2
	s_load_b64 s[12:13], s[0:1], 0x40
	s_load_b64 s[2:3], s[0:1], 0x8
	s_load_b64 s[4:5], s[0:1], 0x30
	v_mov_b32_e32 v1, 0
	s_add_nc_u64 s[6:7], s[0:1], 8
	s_add_nc_u64 s[8:9], s[0:1], 48
	s_wait_kmcnt 0x0
	s_bitcmp1_b32 s13, 0
	s_cselect_b32 s3, s7, s3
	s_cselect_b32 s2, s6, s2
	;; [unrolled: 1-line block ×4, first 2 shown]
	s_clause 0x1
	flat_load_b64 v[2:3], v1, s[2:3]
	flat_load_b64 v[4:5], v1, s[4:5]
	s_wait_loadcnt_dscnt 0x101
	v_cmp_eq_f32_e32 vcc_lo, 0, v2
	v_cmp_eq_f32_e64 s2, 0, v3
	s_wait_loadcnt_dscnt 0x0
	v_cmp_eq_f32_e64 s3, 1.0, v4
	v_cmp_eq_f32_e64 s4, 0, v5
	s_and_b32 s2, vcc_lo, s2
	s_and_b32 s3, s3, s4
	s_delay_alu instid0(SALU_CYCLE_1) | instskip(NEXT) | instid1(SALU_CYCLE_1)
	s_and_b32 s2, s2, s3
	s_xor_b32 s2, s2, -1
	s_delay_alu instid0(SALU_CYCLE_1)
	s_and_saveexec_b32 s3, s2
	s_cbranch_execz .LBB88_19
; %bb.1:
	s_load_b64 s[2:3], s[0:1], 0x0
	s_bfe_u32 s4, ttmp6, 0x4000c
	s_and_b32 s5, ttmp6, 15
	s_add_co_i32 s4, s4, 1
	s_getreg_b32 s6, hwreg(HW_REG_IB_STS2, 6, 4)
	s_mul_i32 s4, ttmp9, s4
	v_lshrrev_b32_e32 v1, 6, v0
	s_add_co_i32 s5, s5, s4
	s_cmp_eq_u32 s6, 0
	s_cselect_b32 s4, ttmp9, s5
	s_delay_alu instid0(VALU_DEP_1) | instid1(SALU_CYCLE_1)
	v_lshl_or_b32 v6, s4, 1, v1
	s_wait_kmcnt 0x0
	s_delay_alu instid0(VALU_DEP_1)
	v_cmp_gt_i32_e32 vcc_lo, s2, v6
	s_and_b32 exec_lo, exec_lo, vcc_lo
	s_cbranch_execz .LBB88_19
; %bb.2:
	s_load_b256 s[4:11], s[0:1], 0x10
	v_ashrrev_i32_e32 v7, 31, v6
	s_cmp_lg_u32 s3, 0
	s_wait_kmcnt 0x0
	s_delay_alu instid0(VALU_DEP_1)
	v_lshl_add_u64 v[8:9], v[6:7], 2, s[4:5]
	v_and_b32_e32 v7, 63, v0
	global_load_b64 v[8:9], v[8:9], off
	s_wait_loadcnt 0x0
	v_subrev_nc_u32_e32 v0, s12, v8
	v_subrev_nc_u32_e32 v16, s12, v9
	s_delay_alu instid0(VALU_DEP_2) | instskip(NEXT) | instid1(VALU_DEP_1)
	v_add_nc_u32_e32 v17, v0, v7
	v_cmp_lt_i32_e64 s2, v17, v16
	s_cbranch_scc0 .LBB88_8
; %bb.3:
	v_mov_b32_e32 v9, 0
	s_delay_alu instid0(VALU_DEP_1)
	v_dual_mov_b32 v8, v9 :: v_dual_mov_b32 v1, v9
	v_dual_mov_b32 v0, v9 :: v_dual_mov_b32 v11, v9
	v_dual_mov_b32 v10, v9 :: v_dual_mov_b32 v13, v9
	v_mov_b32_e32 v12, v9
	s_and_saveexec_b32 s3, s2
	s_cbranch_execz .LBB88_7
; %bb.4:
	v_mul_lo_u32 v14, v17, 12
	v_dual_mov_b32 v15, 0 :: v_dual_mov_b32 v18, v17
	s_mov_b32 s4, 0
	s_delay_alu instid0(VALU_DEP_1)
	v_dual_mov_b32 v12, v15 :: v_dual_mov_b32 v13, v15
	v_dual_mov_b32 v10, v15 :: v_dual_mov_b32 v11, v15
	;; [unrolled: 1-line block ×4, first 2 shown]
.LBB88_5:                               ; =>This Inner Loop Header: Depth=1
	global_load_b32 v19, v18, s[6:7] scale_offset
	v_dual_mov_b32 v21, v15 :: v_dual_add_nc_u32 v20, 4, v14
	v_dual_mov_b32 v23, v15 :: v_dual_add_nc_u32 v22, 8, v14
	v_lshl_add_u64 v[28:29], v[14:15], 3, s[8:9]
	s_delay_alu instid0(VALU_DEP_3) | instskip(NEXT) | instid1(VALU_DEP_3)
	v_lshl_add_u64 v[40:41], v[20:21], 3, s[8:9]
	v_lshl_add_u64 v[44:45], v[22:23], 3, s[8:9]
	s_clause 0x1
	global_load_b128 v[20:23], v[28:29], off offset:16
	global_load_b128 v[24:27], v[28:29], off
	s_wait_xcnt 0x2
	v_add_nc_u32_e32 v18, 64, v18
	global_load_b128 v[28:31], v[40:41], off
	v_add_nc_u32_e32 v14, 0x300, v14
	s_wait_loadcnt 0x3
	v_subrev_nc_u32_e32 v19, s12, v19
	s_delay_alu instid0(VALU_DEP_1)
	v_lshl_add_u32 v19, v19, 1, v19
	global_load_b128 v[32:35], v[44:45], off
	global_load_b64 v[46:47], v19, s[10:11] scale_offset
	global_load_b128 v[36:39], v[40:41], off offset:16
	s_wait_xcnt 0x1
	v_dual_add_nc_u32 v52, 1, v19 :: v_dual_add_nc_u32 v19, 2, v19
	s_wait_loadcnt 0x5
	v_mov_b32_e32 v53, v22
	s_wait_loadcnt 0x3
	v_xor_b32_e32 v54, 0x80000000, v31
	v_mov_b32_e32 v55, v30
	global_load_b64 v[48:49], v52, s[10:11] scale_offset
	global_load_b128 v[40:43], v[44:45], off offset:16
	global_load_b64 v[50:51], v19, s[10:11] scale_offset
	s_wait_xcnt 0x1
	v_xor_b32_e32 v44, 0x80000000, v27
	v_mov_b32_e32 v45, v26
	v_xor_b32_e32 v52, 0x80000000, v23
	v_cmp_ge_i32_e32 vcc_lo, v18, v16
	s_or_b32 s4, vcc_lo, s4
	s_wait_loadcnt 0x5
	v_mov_b32_e32 v57, v34
	s_wait_loadcnt 0x4
	v_pk_fma_f32 v[8:9], v[24:25], v[46:47], v[8:9] op_sel_hi:[1,0,1]
	v_pk_fma_f32 v[12:13], v[26:27], v[46:47], v[12:13] op_sel_hi:[1,0,1]
	;; [unrolled: 1-line block ×4, first 2 shown]
	s_wait_loadcnt 0x3
	v_xor_b32_e32 v22, 0x80000000, v39
	v_pk_fma_f32 v[8:9], v[24:25], v[46:47], v[8:9] op_sel:[1,1,0] op_sel_hi:[0,1,1] neg_lo:[1,0,0]
	v_pk_fma_f32 v[12:13], v[44:45], v[46:47], v[12:13] op_sel:[0,1,0]
	v_pk_fma_f32 v[10:11], v[20:21], v[46:47], v[10:11] op_sel:[1,1,0] op_sel_hi:[0,1,1] neg_lo:[1,0,0]
	v_pk_fma_f32 v[0:1], v[52:53], v[46:47], v[0:1] op_sel:[0,1,0]
	s_wait_loadcnt 0x1
	v_dual_mov_b32 v23, v38 :: v_dual_mov_b32 v21, v42
	v_pk_fma_f32 v[8:9], v[28:29], v[48:49], v[8:9] op_sel_hi:[1,0,1]
	v_pk_fma_f32 v[12:13], v[30:31], v[48:49], v[12:13] op_sel_hi:[1,0,1]
	;; [unrolled: 1-line block ×4, first 2 shown]
	v_xor_b32_e32 v56, 0x80000000, v35
	v_pk_fma_f32 v[8:9], v[28:29], v[48:49], v[8:9] op_sel:[1,1,0] op_sel_hi:[0,1,1] neg_lo:[1,0,0]
	v_pk_fma_f32 v[12:13], v[54:55], v[48:49], v[12:13] op_sel:[0,1,0]
	v_pk_fma_f32 v[10:11], v[36:37], v[48:49], v[10:11] op_sel:[1,1,0] op_sel_hi:[0,1,1] neg_lo:[1,0,0]
	v_pk_fma_f32 v[0:1], v[22:23], v[48:49], v[0:1] op_sel:[0,1,0]
	v_xor_b32_e32 v20, 0x80000000, v43
	s_wait_loadcnt 0x0
	v_pk_fma_f32 v[8:9], v[32:33], v[50:51], v[8:9] op_sel_hi:[1,0,1]
	v_pk_fma_f32 v[12:13], v[34:35], v[50:51], v[12:13] op_sel_hi:[1,0,1]
	;; [unrolled: 1-line block ×4, first 2 shown]
	s_delay_alu instid0(VALU_DEP_4) | instskip(NEXT) | instid1(VALU_DEP_4)
	v_pk_fma_f32 v[8:9], v[32:33], v[50:51], v[8:9] op_sel:[1,1,0] op_sel_hi:[0,1,1] neg_lo:[1,0,0]
	v_pk_fma_f32 v[12:13], v[56:57], v[50:51], v[12:13] op_sel:[0,1,0]
	s_delay_alu instid0(VALU_DEP_4) | instskip(NEXT) | instid1(VALU_DEP_4)
	v_pk_fma_f32 v[10:11], v[40:41], v[50:51], v[10:11] op_sel:[1,1,0] op_sel_hi:[0,1,1] neg_lo:[1,0,0]
	v_pk_fma_f32 v[0:1], v[20:21], v[50:51], v[0:1] op_sel:[0,1,0]
	s_and_not1_b32 exec_lo, exec_lo, s4
	s_cbranch_execnz .LBB88_5
; %bb.6:
	s_or_b32 exec_lo, exec_lo, s4
.LBB88_7:
	s_delay_alu instid0(SALU_CYCLE_1)
	s_or_b32 exec_lo, exec_lo, s3
	s_cbranch_execz .LBB88_9
	s_branch .LBB88_14
.LBB88_8:
                                        ; implicit-def: $vgpr9
                                        ; implicit-def: $vgpr1
                                        ; implicit-def: $vgpr11
                                        ; implicit-def: $vgpr13
.LBB88_9:
	v_mov_b32_e32 v9, 0
	s_delay_alu instid0(VALU_DEP_1)
	v_dual_mov_b32 v8, v9 :: v_dual_mov_b32 v1, v9
	v_dual_mov_b32 v0, v9 :: v_dual_mov_b32 v11, v9
	;; [unrolled: 1-line block ×3, first 2 shown]
	v_mov_b32_e32 v12, v9
	s_and_saveexec_b32 s3, s2
	s_cbranch_execz .LBB88_13
; %bb.10:
	v_mad_u32 v18, v17, 12, 11
	v_mov_b32_e32 v15, 0
	s_mov_b32 s2, 0
	s_delay_alu instid0(VALU_DEP_1)
	v_dual_mov_b32 v12, v15 :: v_dual_mov_b32 v13, v15
	v_dual_mov_b32 v10, v15 :: v_dual_mov_b32 v11, v15
	;; [unrolled: 1-line block ×4, first 2 shown]
.LBB88_11:                              ; =>This Inner Loop Header: Depth=1
	global_load_b32 v19, v17, s[6:7] scale_offset
	v_dual_add_nc_u32 v14, -11, v18 :: v_dual_add_nc_u32 v20, -5, v18
	v_dual_add_nc_u32 v21, -2, v18 :: v_dual_add_nc_u32 v22, -7, v18
	;; [unrolled: 1-line block ×3, first 2 shown]
	s_delay_alu instid0(VALU_DEP_3)
	v_lshl_add_u64 v[28:29], v[14:15], 3, s[8:9]
	s_clause 0x3
	global_load_b64 v[30:31], v22, s[8:9] scale_offset
	global_load_b64 v[32:33], v23, s[8:9] scale_offset
	;; [unrolled: 1-line block ×4, first 2 shown]
	v_dual_add_nc_u32 v46, -1, v18 :: v_dual_add_nc_u32 v47, -3, v18
	global_load_b128 v[20:23], v[28:29], off offset:16
	v_add_nc_u32_e32 v17, 64, v17
	s_delay_alu instid0(VALU_DEP_1) | instskip(SKIP_3) | instid1(VALU_DEP_1)
	v_cmp_ge_i32_e32 vcc_lo, v17, v16
	s_or_b32 s2, vcc_lo, s2
	s_wait_loadcnt 0x5
	v_subrev_nc_u32_e32 v14, s12, v19
	v_lshl_add_u32 v14, v14, 1, v14
	global_load_b128 v[24:27], v[28:29], off
	global_load_b64 v[38:39], v14, s[10:11] scale_offset
	global_load_b64 v[40:41], v42, s[8:9] scale_offset
	s_wait_xcnt 0x1
	v_dual_add_nc_u32 v19, 1, v14 :: v_dual_add_nc_u32 v14, 2, v14
	global_load_b64 v[28:29], v46, s[8:9] scale_offset
	global_load_b64 v[42:43], v19, s[10:11] scale_offset
	s_clause 0x1
	global_load_b64 v[44:45], v47, s[8:9] scale_offset
	global_load_b64 v[46:47], v18, s[8:9] scale_offset
	;; [unrolled: 1-line block ×3, first 2 shown]
	s_wait_loadcnt 0x8
	v_xor_b32_e32 v50, 0x80000000, v23
	s_wait_xcnt 0x1
	v_dual_mov_b32 v51, v22 :: v_dual_add_nc_u32 v18, 0x300, v18
	s_wait_loadcnt 0x6
	v_pk_fma_f32 v[8:9], v[24:25], v[38:39], v[8:9] op_sel_hi:[1,0,1]
	v_pk_fma_f32 v[12:13], v[22:23], v[38:39], v[12:13] op_sel_hi:[1,0,1]
	;; [unrolled: 1-line block ×4, first 2 shown]
	v_mov_b32_e32 v23, v26
	v_pk_fma_f32 v[8:9], v[24:25], v[38:39], v[8:9] op_sel:[1,1,0] op_sel_hi:[0,1,1] neg_lo:[1,0,0]
	v_pk_fma_f32 v[12:13], v[50:51], v[38:39], v[12:13] op_sel:[0,1,0]
	v_pk_fma_f32 v[10:11], v[34:35], v[38:39], v[10:11] op_sel:[1,1,0] op_sel_hi:[0,1,1] neg_lo:[1,0,0]
	v_pk_fma_f32 v[0:1], v[36:37], v[38:39], v[0:1] op_sel:[1,1,0] op_sel_hi:[0,1,1] neg_lo:[1,0,0]
	v_xor_b32_e32 v22, 0x80000000, v27
	s_wait_loadcnt 0x3
	v_pk_fma_f32 v[8:9], v[26:27], v[42:43], v[8:9] op_sel_hi:[1,0,1]
	v_pk_fma_f32 v[12:13], v[30:31], v[42:43], v[12:13] op_sel_hi:[1,0,1]
	;; [unrolled: 1-line block ×4, first 2 shown]
	s_delay_alu instid0(VALU_DEP_4) | instskip(NEXT) | instid1(VALU_DEP_4)
	v_pk_fma_f32 v[8:9], v[22:23], v[42:43], v[8:9] op_sel:[0,1,0]
	v_pk_fma_f32 v[12:13], v[30:31], v[42:43], v[12:13] op_sel:[1,1,0] op_sel_hi:[0,1,1] neg_lo:[1,0,0]
	s_delay_alu instid0(VALU_DEP_4) | instskip(NEXT) | instid1(VALU_DEP_4)
	v_pk_fma_f32 v[10:11], v[40:41], v[42:43], v[10:11] op_sel:[1,1,0] op_sel_hi:[0,1,1] neg_lo:[1,0,0]
	v_pk_fma_f32 v[0:1], v[28:29], v[42:43], v[0:1] op_sel:[1,1,0] op_sel_hi:[0,1,1] neg_lo:[1,0,0]
	s_wait_loadcnt 0x0
	v_pk_fma_f32 v[8:9], v[20:21], v[48:49], v[8:9] op_sel_hi:[1,0,1]
	v_pk_fma_f32 v[12:13], v[32:33], v[48:49], v[12:13] op_sel_hi:[1,0,1]
	;; [unrolled: 1-line block ×4, first 2 shown]
	s_delay_alu instid0(VALU_DEP_4) | instskip(NEXT) | instid1(VALU_DEP_4)
	v_pk_fma_f32 v[8:9], v[20:21], v[48:49], v[8:9] op_sel:[1,1,0] op_sel_hi:[0,1,1] neg_lo:[1,0,0]
	v_pk_fma_f32 v[12:13], v[32:33], v[48:49], v[12:13] op_sel:[1,1,0] op_sel_hi:[0,1,1] neg_lo:[1,0,0]
	s_delay_alu instid0(VALU_DEP_4) | instskip(NEXT) | instid1(VALU_DEP_4)
	v_pk_fma_f32 v[10:11], v[44:45], v[48:49], v[10:11] op_sel:[1,1,0] op_sel_hi:[0,1,1] neg_lo:[1,0,0]
	v_pk_fma_f32 v[0:1], v[46:47], v[48:49], v[0:1] op_sel:[1,1,0] op_sel_hi:[0,1,1] neg_lo:[1,0,0]
	s_and_not1_b32 exec_lo, exec_lo, s2
	s_cbranch_execnz .LBB88_11
; %bb.12:
	s_or_b32 exec_lo, exec_lo, s2
.LBB88_13:
	s_delay_alu instid0(SALU_CYCLE_1)
	s_or_b32 exec_lo, exec_lo, s3
.LBB88_14:
	v_mbcnt_lo_u32_b32 v14, -1, 0
	s_delay_alu instid0(VALU_DEP_1) | instskip(SKIP_1) | instid1(VALU_DEP_1)
	v_xor_b32_e32 v23, 16, v14
	v_or_b32_e32 v15, 32, v14
	v_cmp_gt_i32_e32 vcc_lo, 32, v15
	v_cndmask_b32_e32 v15, v14, v15, vcc_lo
	s_delay_alu instid0(VALU_DEP_1)
	v_lshlrev_b32_e32 v15, 2, v15
	ds_bpermute_b32 v17, v15, v9
	s_wait_dscnt 0x0
	v_add_f32_e32 v9, v9, v17
	ds_bpermute_b32 v19, v15, v13
	ds_bpermute_b32 v16, v15, v8
	;; [unrolled: 1-line block ×7, first 2 shown]
	s_wait_dscnt 0x6
	v_add_f32_e32 v13, v13, v19
	v_cmp_gt_i32_e32 vcc_lo, 32, v23
	s_wait_dscnt 0x5
	v_add_f32_e32 v8, v8, v16
	s_wait_dscnt 0x2
	v_dual_add_f32 v10, v10, v20 :: v_dual_add_f32 v11, v11, v21
	s_wait_dscnt 0x0
	v_dual_add_f32 v0, v0, v22 :: v_dual_add_f32 v1, v1, v15
	v_dual_cndmask_b32 v23, v14, v23 :: v_dual_add_f32 v12, v12, v18
	s_delay_alu instid0(VALU_DEP_1)
	v_lshlrev_b32_e32 v23, 2, v23
	ds_bpermute_b32 v15, v23, v8
	ds_bpermute_b32 v16, v23, v9
	;; [unrolled: 1-line block ×8, first 2 shown]
	s_wait_dscnt 0x7
	v_dual_add_f32 v8, v8, v15 :: v_dual_bitop2_b32 v23, 8, v14 bitop3:0x14
	s_delay_alu instid0(VALU_DEP_1)
	v_cmp_gt_i32_e32 vcc_lo, 32, v23
	s_wait_dscnt 0x6
	v_add_f32_e32 v9, v9, v16
	s_wait_dscnt 0x3
	v_dual_add_f32 v13, v13, v18 :: v_dual_add_f32 v10, v10, v19
	s_wait_dscnt 0x1
	v_dual_add_f32 v11, v11, v20 :: v_dual_add_f32 v0, v0, v21
	v_dual_cndmask_b32 v23, v14, v23 :: v_dual_add_f32 v12, v12, v17
	s_wait_dscnt 0x0
	s_delay_alu instid0(VALU_DEP_1)
	v_dual_add_f32 v1, v1, v22 :: v_dual_lshlrev_b32 v23, 2, v23
	ds_bpermute_b32 v15, v23, v8
	ds_bpermute_b32 v16, v23, v9
	;; [unrolled: 1-line block ×8, first 2 shown]
	s_wait_dscnt 0x7
	v_dual_add_f32 v8, v8, v15 :: v_dual_bitop2_b32 v23, 4, v14 bitop3:0x14
	s_delay_alu instid0(VALU_DEP_1)
	v_cmp_gt_i32_e32 vcc_lo, 32, v23
	s_wait_dscnt 0x4
	v_dual_add_f32 v12, v12, v17 :: v_dual_add_f32 v13, v13, v18
	s_wait_dscnt 0x3
	v_dual_add_f32 v9, v9, v16 :: v_dual_add_f32 v10, v10, v19
	s_wait_dscnt 0x2
	v_dual_add_f32 v11, v11, v20 :: v_dual_cndmask_b32 v23, v14, v23, vcc_lo
	s_wait_dscnt 0x0
	v_dual_add_f32 v0, v0, v21 :: v_dual_add_f32 v1, v1, v22
	s_delay_alu instid0(VALU_DEP_2)
	v_lshlrev_b32_e32 v23, 2, v23
	ds_bpermute_b32 v15, v23, v8
	ds_bpermute_b32 v16, v23, v9
	;; [unrolled: 1-line block ×8, first 2 shown]
	s_wait_dscnt 0x7
	v_dual_add_f32 v8, v8, v15 :: v_dual_bitop2_b32 v23, 2, v14 bitop3:0x14
	s_delay_alu instid0(VALU_DEP_1)
	v_cmp_gt_i32_e32 vcc_lo, 32, v23
	s_wait_dscnt 0x5
	v_dual_add_f32 v9, v9, v16 :: v_dual_add_f32 v12, v12, v17
	s_wait_dscnt 0x3
	v_dual_add_f32 v13, v13, v18 :: v_dual_add_f32 v15, v10, v19
	s_wait_dscnt 0x2
	v_dual_cndmask_b32 v23, v14, v23 :: v_dual_add_f32 v16, v11, v20
	s_wait_dscnt 0x0
	v_dual_add_f32 v17, v0, v21 :: v_dual_add_f32 v18, v1, v22
	s_delay_alu instid0(VALU_DEP_2)
	v_lshlrev_b32_e32 v23, 2, v23
	ds_bpermute_b32 v0, v23, v8
	ds_bpermute_b32 v1, v23, v9
	;; [unrolled: 1-line block ×8, first 2 shown]
	s_wait_dscnt 0x7
	v_dual_add_f32 v0, v8, v0 :: v_dual_bitop2_b32 v23, 1, v14 bitop3:0x14
	s_delay_alu instid0(VALU_DEP_1)
	v_cmp_gt_i32_e32 vcc_lo, 32, v23
	s_wait_dscnt 0x5
	v_dual_add_f32 v8, v9, v1 :: v_dual_add_f32 v10, v12, v10
	s_wait_dscnt 0x4
	v_add_f32_e32 v11, v13, v11
	s_wait_dscnt 0x2
	v_dual_add_f32 v12, v15, v19 :: v_dual_add_f32 v13, v16, v20
	s_wait_dscnt 0x1
	v_dual_cndmask_b32 v14, v14, v23 :: v_dual_add_f32 v1, v17, v21
	s_wait_dscnt 0x0
	v_add_f32_e32 v9, v18, v22
	v_cmp_eq_u32_e32 vcc_lo, 63, v7
	s_delay_alu instid0(VALU_DEP_3)
	v_lshlrev_b32_e32 v23, 2, v14
	ds_bpermute_b32 v16, v23, v0
	ds_bpermute_b32 v17, v23, v8
	;; [unrolled: 1-line block ×8, first 2 shown]
	s_and_b32 exec_lo, exec_lo, vcc_lo
	s_cbranch_execz .LBB88_19
; %bb.15:
	s_load_b64 s[2:3], s[0:1], 0x38
	v_cmp_eq_f32_e32 vcc_lo, 0, v4
	s_wait_xcnt 0x0
	v_cmp_eq_f32_e64 s0, 0, v5
	s_wait_dscnt 0x7
	v_add_f32_e32 v0, v0, v16
	s_wait_dscnt 0x5
	v_dual_add_f32 v20, v8, v17 :: v_dual_add_f32 v8, v10, v18
	s_wait_dscnt 0x3
	v_dual_add_f32 v18, v11, v19 :: v_dual_add_f32 v10, v12, v21
	s_wait_dscnt 0x2
	v_add_f32_e32 v16, v13, v22
	s_wait_dscnt 0x1
	v_add_f32_e32 v12, v1, v14
	;; [unrolled: 2-line block ×3, first 2 shown]
	s_and_b32 s0, vcc_lo, s0
	s_delay_alu instid0(SALU_CYCLE_1) | instskip(NEXT) | instid1(SALU_CYCLE_1)
	s_and_saveexec_b32 s1, s0
	s_xor_b32 s0, exec_lo, s1
	s_cbranch_execz .LBB88_17
; %bb.16:
	v_xor_b32_e32 v4, 0x80000000, v3
	v_dual_mov_b32 v5, v2 :: v_dual_lshlrev_b32 v6, 2, v6
	s_delay_alu instid0(VALU_DEP_1) | instskip(NEXT) | instid1(VALU_DEP_2)
	v_ashrrev_i32_e32 v7, 31, v6
	v_pk_mul_f32 v[20:21], v[20:21], v[4:5] op_sel_hi:[0,1]
	v_pk_mul_f32 v[18:19], v[18:19], v[4:5] op_sel_hi:[0,1]
	;; [unrolled: 1-line block ×4, first 2 shown]
	s_wait_kmcnt 0x0
	v_lshl_add_u64 v[22:23], v[6:7], 3, s[2:3]
	v_pk_fma_f32 v[4:5], v[2:3], v[0:1], v[20:21] op_sel_hi:[1,0,1]
	v_pk_fma_f32 v[6:7], v[2:3], v[8:9], v[18:19] op_sel_hi:[1,0,1]
	;; [unrolled: 1-line block ×4, first 2 shown]
	s_clause 0x1
	global_store_b128 v[22:23], v[4:7], off
	global_store_b128 v[22:23], v[0:3], off offset:16
                                        ; implicit-def: $vgpr6
                                        ; implicit-def: $vgpr0
                                        ; implicit-def: $vgpr20
                                        ; implicit-def: $vgpr8
                                        ; implicit-def: $vgpr18
                                        ; implicit-def: $vgpr10
                                        ; implicit-def: $vgpr16
                                        ; implicit-def: $vgpr12
                                        ; implicit-def: $vgpr14
                                        ; implicit-def: $vgpr2_vgpr3
                                        ; implicit-def: $vgpr4_vgpr5
.LBB88_17:
	s_wait_xcnt 0x0
	s_and_not1_saveexec_b32 s0, s0
	s_cbranch_execz .LBB88_19
; %bb.18:
	v_lshlrev_b32_e32 v6, 2, v6
	v_xor_b32_e32 v32, 0x80000000, v5
	s_delay_alu instid0(VALU_DEP_2) | instskip(SKIP_1) | instid1(VALU_DEP_1)
	v_dual_mov_b32 v33, v4 :: v_dual_ashrrev_i32 v7, 31, v6
	s_wait_kmcnt 0x0
	v_lshl_add_u64 v[30:31], v[6:7], 3, s[2:3]
	v_xor_b32_e32 v6, 0x80000000, v3
	v_mov_b32_e32 v7, v2
	s_clause 0x1
	global_load_b128 v[22:25], v[30:31], off
	global_load_b128 v[26:29], v[30:31], off offset:16
	v_pk_mul_f32 v[20:21], v[20:21], v[6:7] op_sel_hi:[0,1]
	v_pk_mul_f32 v[18:19], v[18:19], v[6:7] op_sel_hi:[0,1]
	;; [unrolled: 1-line block ×4, first 2 shown]
	s_delay_alu instid0(VALU_DEP_4) | instskip(NEXT) | instid1(VALU_DEP_4)
	v_pk_fma_f32 v[0:1], v[2:3], v[0:1], v[20:21] op_sel_hi:[1,0,1]
	v_pk_fma_f32 v[8:9], v[2:3], v[8:9], v[18:19] op_sel_hi:[1,0,1]
	s_delay_alu instid0(VALU_DEP_4) | instskip(NEXT) | instid1(VALU_DEP_4)
	v_pk_fma_f32 v[10:11], v[2:3], v[10:11], v[16:17] op_sel_hi:[1,0,1]
	v_pk_fma_f32 v[2:3], v[2:3], v[12:13], v[6:7] op_sel_hi:[1,0,1]
	s_wait_loadcnt 0x1
	v_pk_fma_f32 v[0:1], v[4:5], v[22:23], v[0:1] op_sel_hi:[1,0,1]
	v_pk_fma_f32 v[6:7], v[4:5], v[24:25], v[8:9] op_sel_hi:[1,0,1]
	s_wait_loadcnt 0x0
	v_dual_mov_b32 v8, v25 :: v_dual_mov_b32 v14, v29
	v_pk_fma_f32 v[10:11], v[4:5], v[26:27], v[10:11] op_sel_hi:[1,0,1]
	v_pk_fma_f32 v[12:13], v[4:5], v[28:29], v[2:3] op_sel_hi:[1,0,1]
	v_pk_fma_f32 v[0:1], v[32:33], v[22:23], v[0:1] op_sel:[0,1,0]
	s_delay_alu instid0(VALU_DEP_4) | instskip(NEXT) | instid1(VALU_DEP_4)
	v_pk_fma_f32 v[2:3], v[32:33], v[8:9], v[6:7] op_sel_hi:[1,0,1]
	v_pk_fma_f32 v[4:5], v[32:33], v[26:27], v[10:11] op_sel:[0,1,0]
	s_delay_alu instid0(VALU_DEP_4)
	v_pk_fma_f32 v[6:7], v[32:33], v[14:15], v[12:13] op_sel_hi:[1,0,1]
	s_clause 0x1
	global_store_b128 v[30:31], v[0:3], off
	global_store_b128 v[30:31], v[4:7], off offset:16
.LBB88_19:
	s_endpgm
	.section	.rodata,"a",@progbits
	.p2align	6, 0x0
	.amdhsa_kernel _ZN9rocsparseL19gebsrmvn_4xn_kernelILj128ELj3ELj64E21rocsparse_complex_numIfEEEvi20rocsparse_direction_NS_24const_host_device_scalarIT2_EEPKiS8_PKS5_SA_S6_PS5_21rocsparse_index_base_b
		.amdhsa_group_segment_fixed_size 0
		.amdhsa_private_segment_fixed_size 0
		.amdhsa_kernarg_size 72
		.amdhsa_user_sgpr_count 2
		.amdhsa_user_sgpr_dispatch_ptr 0
		.amdhsa_user_sgpr_queue_ptr 0
		.amdhsa_user_sgpr_kernarg_segment_ptr 1
		.amdhsa_user_sgpr_dispatch_id 0
		.amdhsa_user_sgpr_kernarg_preload_length 0
		.amdhsa_user_sgpr_kernarg_preload_offset 0
		.amdhsa_user_sgpr_private_segment_size 0
		.amdhsa_wavefront_size32 1
		.amdhsa_uses_dynamic_stack 0
		.amdhsa_enable_private_segment 0
		.amdhsa_system_sgpr_workgroup_id_x 1
		.amdhsa_system_sgpr_workgroup_id_y 0
		.amdhsa_system_sgpr_workgroup_id_z 0
		.amdhsa_system_sgpr_workgroup_info 0
		.amdhsa_system_vgpr_workitem_id 0
		.amdhsa_next_free_vgpr 58
		.amdhsa_next_free_sgpr 14
		.amdhsa_named_barrier_count 0
		.amdhsa_reserve_vcc 1
		.amdhsa_float_round_mode_32 0
		.amdhsa_float_round_mode_16_64 0
		.amdhsa_float_denorm_mode_32 3
		.amdhsa_float_denorm_mode_16_64 3
		.amdhsa_fp16_overflow 0
		.amdhsa_memory_ordered 1
		.amdhsa_forward_progress 1
		.amdhsa_inst_pref_size 24
		.amdhsa_round_robin_scheduling 0
		.amdhsa_exception_fp_ieee_invalid_op 0
		.amdhsa_exception_fp_denorm_src 0
		.amdhsa_exception_fp_ieee_div_zero 0
		.amdhsa_exception_fp_ieee_overflow 0
		.amdhsa_exception_fp_ieee_underflow 0
		.amdhsa_exception_fp_ieee_inexact 0
		.amdhsa_exception_int_div_zero 0
	.end_amdhsa_kernel
	.section	.text._ZN9rocsparseL19gebsrmvn_4xn_kernelILj128ELj3ELj64E21rocsparse_complex_numIfEEEvi20rocsparse_direction_NS_24const_host_device_scalarIT2_EEPKiS8_PKS5_SA_S6_PS5_21rocsparse_index_base_b,"axG",@progbits,_ZN9rocsparseL19gebsrmvn_4xn_kernelILj128ELj3ELj64E21rocsparse_complex_numIfEEEvi20rocsparse_direction_NS_24const_host_device_scalarIT2_EEPKiS8_PKS5_SA_S6_PS5_21rocsparse_index_base_b,comdat
.Lfunc_end88:
	.size	_ZN9rocsparseL19gebsrmvn_4xn_kernelILj128ELj3ELj64E21rocsparse_complex_numIfEEEvi20rocsparse_direction_NS_24const_host_device_scalarIT2_EEPKiS8_PKS5_SA_S6_PS5_21rocsparse_index_base_b, .Lfunc_end88-_ZN9rocsparseL19gebsrmvn_4xn_kernelILj128ELj3ELj64E21rocsparse_complex_numIfEEEvi20rocsparse_direction_NS_24const_host_device_scalarIT2_EEPKiS8_PKS5_SA_S6_PS5_21rocsparse_index_base_b
                                        ; -- End function
	.set _ZN9rocsparseL19gebsrmvn_4xn_kernelILj128ELj3ELj64E21rocsparse_complex_numIfEEEvi20rocsparse_direction_NS_24const_host_device_scalarIT2_EEPKiS8_PKS5_SA_S6_PS5_21rocsparse_index_base_b.num_vgpr, 58
	.set _ZN9rocsparseL19gebsrmvn_4xn_kernelILj128ELj3ELj64E21rocsparse_complex_numIfEEEvi20rocsparse_direction_NS_24const_host_device_scalarIT2_EEPKiS8_PKS5_SA_S6_PS5_21rocsparse_index_base_b.num_agpr, 0
	.set _ZN9rocsparseL19gebsrmvn_4xn_kernelILj128ELj3ELj64E21rocsparse_complex_numIfEEEvi20rocsparse_direction_NS_24const_host_device_scalarIT2_EEPKiS8_PKS5_SA_S6_PS5_21rocsparse_index_base_b.numbered_sgpr, 14
	.set _ZN9rocsparseL19gebsrmvn_4xn_kernelILj128ELj3ELj64E21rocsparse_complex_numIfEEEvi20rocsparse_direction_NS_24const_host_device_scalarIT2_EEPKiS8_PKS5_SA_S6_PS5_21rocsparse_index_base_b.num_named_barrier, 0
	.set _ZN9rocsparseL19gebsrmvn_4xn_kernelILj128ELj3ELj64E21rocsparse_complex_numIfEEEvi20rocsparse_direction_NS_24const_host_device_scalarIT2_EEPKiS8_PKS5_SA_S6_PS5_21rocsparse_index_base_b.private_seg_size, 0
	.set _ZN9rocsparseL19gebsrmvn_4xn_kernelILj128ELj3ELj64E21rocsparse_complex_numIfEEEvi20rocsparse_direction_NS_24const_host_device_scalarIT2_EEPKiS8_PKS5_SA_S6_PS5_21rocsparse_index_base_b.uses_vcc, 1
	.set _ZN9rocsparseL19gebsrmvn_4xn_kernelILj128ELj3ELj64E21rocsparse_complex_numIfEEEvi20rocsparse_direction_NS_24const_host_device_scalarIT2_EEPKiS8_PKS5_SA_S6_PS5_21rocsparse_index_base_b.uses_flat_scratch, 1
	.set _ZN9rocsparseL19gebsrmvn_4xn_kernelILj128ELj3ELj64E21rocsparse_complex_numIfEEEvi20rocsparse_direction_NS_24const_host_device_scalarIT2_EEPKiS8_PKS5_SA_S6_PS5_21rocsparse_index_base_b.has_dyn_sized_stack, 0
	.set _ZN9rocsparseL19gebsrmvn_4xn_kernelILj128ELj3ELj64E21rocsparse_complex_numIfEEEvi20rocsparse_direction_NS_24const_host_device_scalarIT2_EEPKiS8_PKS5_SA_S6_PS5_21rocsparse_index_base_b.has_recursion, 0
	.set _ZN9rocsparseL19gebsrmvn_4xn_kernelILj128ELj3ELj64E21rocsparse_complex_numIfEEEvi20rocsparse_direction_NS_24const_host_device_scalarIT2_EEPKiS8_PKS5_SA_S6_PS5_21rocsparse_index_base_b.has_indirect_call, 0
	.section	.AMDGPU.csdata,"",@progbits
; Kernel info:
; codeLenInByte = 3008
; TotalNumSgprs: 16
; NumVgprs: 58
; ScratchSize: 0
; MemoryBound: 0
; FloatMode: 240
; IeeeMode: 1
; LDSByteSize: 0 bytes/workgroup (compile time only)
; SGPRBlocks: 0
; VGPRBlocks: 3
; NumSGPRsForWavesPerEU: 16
; NumVGPRsForWavesPerEU: 58
; NamedBarCnt: 0
; Occupancy: 16
; WaveLimiterHint : 1
; COMPUTE_PGM_RSRC2:SCRATCH_EN: 0
; COMPUTE_PGM_RSRC2:USER_SGPR: 2
; COMPUTE_PGM_RSRC2:TRAP_HANDLER: 0
; COMPUTE_PGM_RSRC2:TGID_X_EN: 1
; COMPUTE_PGM_RSRC2:TGID_Y_EN: 0
; COMPUTE_PGM_RSRC2:TGID_Z_EN: 0
; COMPUTE_PGM_RSRC2:TIDIG_COMP_CNT: 0
	.section	.text._ZN9rocsparseL19gebsrmvn_4xn_kernelILj128ELj5ELj4E21rocsparse_complex_numIfEEEvi20rocsparse_direction_NS_24const_host_device_scalarIT2_EEPKiS8_PKS5_SA_S6_PS5_21rocsparse_index_base_b,"axG",@progbits,_ZN9rocsparseL19gebsrmvn_4xn_kernelILj128ELj5ELj4E21rocsparse_complex_numIfEEEvi20rocsparse_direction_NS_24const_host_device_scalarIT2_EEPKiS8_PKS5_SA_S6_PS5_21rocsparse_index_base_b,comdat
	.globl	_ZN9rocsparseL19gebsrmvn_4xn_kernelILj128ELj5ELj4E21rocsparse_complex_numIfEEEvi20rocsparse_direction_NS_24const_host_device_scalarIT2_EEPKiS8_PKS5_SA_S6_PS5_21rocsparse_index_base_b ; -- Begin function _ZN9rocsparseL19gebsrmvn_4xn_kernelILj128ELj5ELj4E21rocsparse_complex_numIfEEEvi20rocsparse_direction_NS_24const_host_device_scalarIT2_EEPKiS8_PKS5_SA_S6_PS5_21rocsparse_index_base_b
	.p2align	8
	.type	_ZN9rocsparseL19gebsrmvn_4xn_kernelILj128ELj5ELj4E21rocsparse_complex_numIfEEEvi20rocsparse_direction_NS_24const_host_device_scalarIT2_EEPKiS8_PKS5_SA_S6_PS5_21rocsparse_index_base_b,@function
_ZN9rocsparseL19gebsrmvn_4xn_kernelILj128ELj5ELj4E21rocsparse_complex_numIfEEEvi20rocsparse_direction_NS_24const_host_device_scalarIT2_EEPKiS8_PKS5_SA_S6_PS5_21rocsparse_index_base_b: ; @_ZN9rocsparseL19gebsrmvn_4xn_kernelILj128ELj5ELj4E21rocsparse_complex_numIfEEEvi20rocsparse_direction_NS_24const_host_device_scalarIT2_EEPKiS8_PKS5_SA_S6_PS5_21rocsparse_index_base_b
; %bb.0:
	s_clause 0x2
	s_load_b64 s[12:13], s[0:1], 0x40
	s_load_b64 s[2:3], s[0:1], 0x8
	;; [unrolled: 1-line block ×3, first 2 shown]
	v_mov_b32_e32 v1, 0
	s_add_nc_u64 s[6:7], s[0:1], 8
	s_add_nc_u64 s[8:9], s[0:1], 48
	s_wait_kmcnt 0x0
	s_bitcmp1_b32 s13, 0
	s_cselect_b32 s3, s7, s3
	s_cselect_b32 s2, s6, s2
	;; [unrolled: 1-line block ×4, first 2 shown]
	s_clause 0x1
	flat_load_b64 v[2:3], v1, s[2:3]
	flat_load_b64 v[4:5], v1, s[4:5]
	s_wait_loadcnt_dscnt 0x101
	v_cmp_eq_f32_e32 vcc_lo, 0, v2
	v_cmp_eq_f32_e64 s2, 0, v3
	s_wait_loadcnt_dscnt 0x0
	v_cmp_eq_f32_e64 s3, 1.0, v4
	v_cmp_eq_f32_e64 s4, 0, v5
	s_and_b32 s2, vcc_lo, s2
	s_and_b32 s3, s3, s4
	s_delay_alu instid0(SALU_CYCLE_1) | instskip(NEXT) | instid1(SALU_CYCLE_1)
	s_and_b32 s2, s2, s3
	s_xor_b32 s2, s2, -1
	s_delay_alu instid0(SALU_CYCLE_1)
	s_and_saveexec_b32 s3, s2
	s_cbranch_execz .LBB89_19
; %bb.1:
	s_load_b64 s[2:3], s[0:1], 0x0
	s_bfe_u32 s4, ttmp6, 0x4000c
	s_and_b32 s5, ttmp6, 15
	s_add_co_i32 s4, s4, 1
	s_getreg_b32 s6, hwreg(HW_REG_IB_STS2, 6, 4)
	s_mul_i32 s4, ttmp9, s4
	v_lshrrev_b32_e32 v1, 2, v0
	s_add_co_i32 s5, s5, s4
	s_cmp_eq_u32 s6, 0
	s_cselect_b32 s4, ttmp9, s5
	s_delay_alu instid0(VALU_DEP_1) | instid1(SALU_CYCLE_1)
	v_lshl_or_b32 v6, s4, 5, v1
	s_wait_kmcnt 0x0
	s_delay_alu instid0(VALU_DEP_1)
	v_cmp_gt_i32_e32 vcc_lo, s2, v6
	s_and_b32 exec_lo, exec_lo, vcc_lo
	s_cbranch_execz .LBB89_19
; %bb.2:
	s_load_b256 s[4:11], s[0:1], 0x10
	v_ashrrev_i32_e32 v7, 31, v6
	s_cmp_lg_u32 s3, 0
	s_wait_kmcnt 0x0
	s_delay_alu instid0(VALU_DEP_1)
	v_lshl_add_u64 v[8:9], v[6:7], 2, s[4:5]
	v_and_b32_e32 v7, 3, v0
	global_load_b64 v[8:9], v[8:9], off
	s_wait_loadcnt 0x0
	v_subrev_nc_u32_e32 v0, s12, v8
	v_subrev_nc_u32_e32 v18, s12, v9
	s_delay_alu instid0(VALU_DEP_2) | instskip(NEXT) | instid1(VALU_DEP_1)
	v_add_nc_u32_e32 v19, v0, v7
	v_cmp_lt_i32_e64 s2, v19, v18
	s_cbranch_scc0 .LBB89_8
; %bb.3:
	v_mov_b32_e32 v9, 0
	s_delay_alu instid0(VALU_DEP_1)
	v_dual_mov_b32 v8, v9 :: v_dual_mov_b32 v1, v9
	v_dual_mov_b32 v0, v9 :: v_dual_mov_b32 v11, v9
	;; [unrolled: 1-line block ×3, first 2 shown]
	v_mov_b32_e32 v12, v9
	s_and_saveexec_b32 s3, s2
	s_cbranch_execz .LBB89_7
; %bb.4:
	v_mad_u32 v16, v19, 20, 16
	v_dual_mov_b32 v15, 0 :: v_dual_mov_b32 v20, v19
	s_mov_b32 s4, 0
	s_delay_alu instid0(VALU_DEP_1)
	v_dual_mov_b32 v12, v15 :: v_dual_mov_b32 v13, v15
	v_dual_mov_b32 v10, v15 :: v_dual_mov_b32 v11, v15
	v_dual_mov_b32 v0, v15 :: v_dual_mov_b32 v1, v15
	v_dual_mov_b32 v8, v15 :: v_dual_mov_b32 v9, v15
.LBB89_5:                               ; =>This Inner Loop Header: Depth=1
	global_load_b32 v21, v20, s[6:7] scale_offset
	v_dual_mov_b32 v17, v15 :: v_dual_add_nc_u32 v14, -16, v16
	s_wait_xcnt 0x0
	v_add_nc_u32_e32 v20, 4, v20
	s_delay_alu instid0(VALU_DEP_2) | instskip(NEXT) | instid1(VALU_DEP_3)
	v_lshl_add_u64 v[34:35], v[14:15], 3, s[8:9]
	v_lshl_add_u64 v[62:63], v[16:17], 3, s[8:9]
	s_clause 0x2
	global_load_b128 v[22:25], v[34:35], off offset:16
	global_load_b128 v[26:29], v[34:35], off
	global_load_b128 v[30:33], v[62:63], off
	v_cmp_ge_i32_e32 vcc_lo, v20, v18
	s_or_b32 s4, vcc_lo, s4
	s_wait_loadcnt 0x3
	v_subrev_nc_u32_e32 v17, s12, v21
	s_delay_alu instid0(VALU_DEP_1) | instskip(SKIP_3) | instid1(VALU_DEP_3)
	v_lshl_add_u32 v17, v17, 2, v17
	v_add_nc_u32_e32 v14, -12, v16
	s_wait_loadcnt 0x2
	v_xor_b32_e32 v76, 0x80000000, v25
	v_add_nc_u32_e32 v21, 2, v17
	s_delay_alu instid0(VALU_DEP_3) | instskip(SKIP_3) | instid1(VALU_DEP_2)
	v_lshl_add_u64 v[50:51], v[14:15], 3, s[8:9]
	s_wait_loadcnt 0x0
	v_dual_mov_b32 v75, v32 :: v_dual_add_nc_u32 v14, -8, v16
	v_xor_b32_e32 v74, 0x80000000, v33
	v_lshl_add_u64 v[52:53], v[14:15], 3, s[8:9]
	s_clause 0x3
	global_load_b128 v[34:37], v[50:51], off offset:16
	global_load_b128 v[38:41], v[50:51], off
	global_load_b128 v[42:45], v[52:53], off offset:16
	global_load_b128 v[46:49], v[52:53], off
	global_load_b64 v[64:65], v17, s[10:11] scale_offset
	v_dual_mov_b32 v77, v24 :: v_dual_add_nc_u32 v14, -4, v16
	v_add_nc_u32_e32 v16, 0x50, v16
	s_delay_alu instid0(VALU_DEP_2)
	v_lshl_add_u64 v[58:59], v[14:15], 3, s[8:9]
	v_add_nc_u32_e32 v14, 1, v17
	global_load_b64 v[66:67], v14, s[10:11] scale_offset
	global_load_b128 v[50:53], v[58:59], off
	global_load_b64 v[68:69], v21, s[10:11] scale_offset
	global_load_b128 v[54:57], v[58:59], off offset:16
	s_wait_xcnt 0x3
	v_dual_add_nc_u32 v14, 3, v17 :: v_dual_add_nc_u32 v17, 4, v17
	global_load_b64 v[70:71], v14, s[10:11] scale_offset
	global_load_b128 v[58:61], v[62:63], off offset:16
	global_load_b64 v[72:73], v17, s[10:11] scale_offset
	s_wait_xcnt 0x1
	v_xor_b32_e32 v62, 0x80000000, v29
	v_mov_b32_e32 v63, v28
	s_wait_loadcnt 0xb
	v_xor_b32_e32 v80, 0x80000000, v37
	s_wait_loadcnt 0xa
	v_mov_b32_e32 v79, v40
	v_xor_b32_e32 v78, 0x80000000, v41
	s_wait_loadcnt 0x8
	v_dual_mov_b32 v81, v36 :: v_dual_mov_b32 v83, v48
	s_wait_loadcnt 0x7
	v_pk_fma_f32 v[8:9], v[26:27], v[64:65], v[8:9] op_sel_hi:[1,0,1]
	v_pk_fma_f32 v[12:13], v[28:29], v[64:65], v[12:13] op_sel_hi:[1,0,1]
	;; [unrolled: 1-line block ×4, first 2 shown]
	v_xor_b32_e32 v82, 0x80000000, v49
	v_pk_fma_f32 v[8:9], v[26:27], v[64:65], v[8:9] op_sel:[1,1,0] op_sel_hi:[0,1,1] neg_lo:[1,0,0]
	v_pk_fma_f32 v[12:13], v[62:63], v[64:65], v[12:13] op_sel:[0,1,0]
	v_pk_fma_f32 v[10:11], v[22:23], v[64:65], v[10:11] op_sel:[1,1,0] op_sel_hi:[0,1,1] neg_lo:[1,0,0]
	v_pk_fma_f32 v[0:1], v[76:77], v[64:65], v[0:1] op_sel:[0,1,0]
	v_xor_b32_e32 v24, 0x80000000, v45
	s_wait_loadcnt 0x6
	v_pk_fma_f32 v[8:9], v[38:39], v[66:67], v[8:9] op_sel_hi:[1,0,1]
	v_pk_fma_f32 v[12:13], v[40:41], v[66:67], v[12:13] op_sel_hi:[1,0,1]
	;; [unrolled: 1-line block ×4, first 2 shown]
	s_wait_loadcnt 0x5
	v_dual_mov_b32 v25, v44 :: v_dual_mov_b32 v23, v52
	v_pk_fma_f32 v[8:9], v[38:39], v[66:67], v[8:9] op_sel:[1,1,0] op_sel_hi:[0,1,1] neg_lo:[1,0,0]
	v_pk_fma_f32 v[12:13], v[78:79], v[66:67], v[12:13] op_sel:[0,1,0]
	v_pk_fma_f32 v[10:11], v[34:35], v[66:67], v[10:11] op_sel:[1,1,0] op_sel_hi:[0,1,1] neg_lo:[1,0,0]
	v_pk_fma_f32 v[0:1], v[80:81], v[66:67], v[0:1] op_sel:[0,1,0]
	v_xor_b32_e32 v22, 0x80000000, v53
	s_wait_loadcnt 0x4
	v_pk_fma_f32 v[8:9], v[46:47], v[68:69], v[8:9] op_sel_hi:[1,0,1]
	v_pk_fma_f32 v[12:13], v[48:49], v[68:69], v[12:13] op_sel_hi:[1,0,1]
	;; [unrolled: 1-line block ×4, first 2 shown]
	s_wait_loadcnt 0x3
	v_xor_b32_e32 v26, 0x80000000, v57
	v_pk_fma_f32 v[8:9], v[46:47], v[68:69], v[8:9] op_sel:[1,1,0] op_sel_hi:[0,1,1] neg_lo:[1,0,0]
	v_pk_fma_f32 v[12:13], v[82:83], v[68:69], v[12:13] op_sel:[0,1,0]
	v_pk_fma_f32 v[10:11], v[42:43], v[68:69], v[10:11] op_sel:[1,1,0] op_sel_hi:[0,1,1] neg_lo:[1,0,0]
	v_pk_fma_f32 v[0:1], v[24:25], v[68:69], v[0:1] op_sel:[0,1,0]
	s_wait_loadcnt 0x1
	v_dual_mov_b32 v27, v56 :: v_dual_mov_b32 v25, v60
	v_pk_fma_f32 v[8:9], v[50:51], v[70:71], v[8:9] op_sel_hi:[1,0,1]
	v_pk_fma_f32 v[12:13], v[52:53], v[70:71], v[12:13] op_sel_hi:[1,0,1]
	;; [unrolled: 1-line block ×4, first 2 shown]
	v_xor_b32_e32 v24, 0x80000000, v61
	v_pk_fma_f32 v[8:9], v[50:51], v[70:71], v[8:9] op_sel:[1,1,0] op_sel_hi:[0,1,1] neg_lo:[1,0,0]
	v_pk_fma_f32 v[12:13], v[22:23], v[70:71], v[12:13] op_sel:[0,1,0]
	v_pk_fma_f32 v[10:11], v[54:55], v[70:71], v[10:11] op_sel:[1,1,0] op_sel_hi:[0,1,1] neg_lo:[1,0,0]
	v_pk_fma_f32 v[0:1], v[26:27], v[70:71], v[0:1] op_sel:[0,1,0]
	s_wait_loadcnt 0x0
	v_pk_fma_f32 v[8:9], v[30:31], v[72:73], v[8:9] op_sel_hi:[1,0,1]
	v_pk_fma_f32 v[12:13], v[32:33], v[72:73], v[12:13] op_sel_hi:[1,0,1]
	;; [unrolled: 1-line block ×4, first 2 shown]
	s_delay_alu instid0(VALU_DEP_4) | instskip(NEXT) | instid1(VALU_DEP_4)
	v_pk_fma_f32 v[8:9], v[30:31], v[72:73], v[8:9] op_sel:[1,1,0] op_sel_hi:[0,1,1] neg_lo:[1,0,0]
	v_pk_fma_f32 v[12:13], v[74:75], v[72:73], v[12:13] op_sel:[0,1,0]
	s_delay_alu instid0(VALU_DEP_4) | instskip(NEXT) | instid1(VALU_DEP_4)
	v_pk_fma_f32 v[10:11], v[58:59], v[72:73], v[10:11] op_sel:[1,1,0] op_sel_hi:[0,1,1] neg_lo:[1,0,0]
	v_pk_fma_f32 v[0:1], v[24:25], v[72:73], v[0:1] op_sel:[0,1,0]
	s_and_not1_b32 exec_lo, exec_lo, s4
	s_cbranch_execnz .LBB89_5
; %bb.6:
	s_or_b32 exec_lo, exec_lo, s4
.LBB89_7:
	s_delay_alu instid0(SALU_CYCLE_1)
	s_or_b32 exec_lo, exec_lo, s3
	s_cbranch_execz .LBB89_9
	s_branch .LBB89_14
.LBB89_8:
                                        ; implicit-def: $vgpr9
                                        ; implicit-def: $vgpr1
                                        ; implicit-def: $vgpr11
                                        ; implicit-def: $vgpr13
.LBB89_9:
	v_mov_b32_e32 v9, 0
	s_delay_alu instid0(VALU_DEP_1)
	v_dual_mov_b32 v8, v9 :: v_dual_mov_b32 v1, v9
	v_dual_mov_b32 v0, v9 :: v_dual_mov_b32 v11, v9
	;; [unrolled: 1-line block ×3, first 2 shown]
	v_mov_b32_e32 v12, v9
	s_and_saveexec_b32 s3, s2
	s_cbranch_execz .LBB89_13
; %bb.10:
	v_mad_u32 v16, v19, 20, 19
	v_mov_b32_e32 v15, 0
	s_mov_b32 s2, 0
	s_delay_alu instid0(VALU_DEP_1)
	v_dual_mov_b32 v12, v15 :: v_dual_mov_b32 v13, v15
	v_dual_mov_b32 v10, v15 :: v_dual_mov_b32 v11, v15
	;; [unrolled: 1-line block ×4, first 2 shown]
.LBB89_11:                              ; =>This Inner Loop Header: Depth=1
	global_load_b32 v17, v19, s[6:7] scale_offset
	v_subrev_nc_u32_e32 v14, 19, v16
	v_dual_add_nc_u32 v26, -6, v16 :: v_dual_add_nc_u32 v27, -15, v16
	v_dual_add_nc_u32 v60, -2, v16 :: v_dual_add_nc_u32 v25, -11, v16
	s_delay_alu instid0(VALU_DEP_3)
	v_lshl_add_u64 v[28:29], v[14:15], 3, s[8:9]
	v_dual_add_nc_u32 v24, -8, v16 :: v_dual_add_nc_u32 v50, -3, v16
	v_dual_add_nc_u32 v20, -14, v16 :: v_dual_add_nc_u32 v21, -9, v16
	;; [unrolled: 1-line block ×3, first 2 shown]
	s_clause 0x8
	global_load_b64 v[30:31], v27, s[8:9] scale_offset
	global_load_b64 v[32:33], v25, s[8:9] scale_offset
	;; [unrolled: 1-line block ×8, first 2 shown]
	global_load_b128 v[20:23], v[28:29], off offset:16
	v_dual_add_nc_u32 v54, -12, v16 :: v_dual_add_nc_u32 v55, -7, v16
	v_dual_add_nc_u32 v66, -1, v16 :: v_dual_add_nc_u32 v61, -10, v16
	v_add_nc_u32_e32 v19, 4, v19
	s_delay_alu instid0(VALU_DEP_1) | instskip(SKIP_3) | instid1(VALU_DEP_1)
	v_cmp_ge_i32_e32 vcc_lo, v19, v18
	s_or_b32 s2, vcc_lo, s2
	s_wait_loadcnt 0x9
	v_subrev_nc_u32_e32 v14, s12, v17
	v_lshl_add_u32 v14, v14, 2, v14
	global_load_b128 v[24:27], v[28:29], off
	global_load_b64 v[46:47], v14, s[10:11] scale_offset
	global_load_b64 v[48:49], v50, s[8:9] scale_offset
	v_dual_add_nc_u32 v67, -5, v16 :: v_dual_add_nc_u32 v17, 1, v14
	global_load_b64 v[28:29], v54, s[8:9] scale_offset
	global_load_b64 v[50:51], v17, s[10:11] scale_offset
	;; [unrolled: 1-line block ×3, first 2 shown]
	s_wait_xcnt 0x1
	v_add_nc_u32_e32 v17, 2, v14
	global_load_b64 v[54:55], v60, s[8:9] scale_offset
	global_load_b64 v[56:57], v17, s[10:11] scale_offset
	;; [unrolled: 1-line block ×3, first 2 shown]
	s_wait_xcnt 0x1
	v_dual_add_nc_u32 v17, 3, v14 :: v_dual_add_nc_u32 v14, 4, v14
	s_wait_loadcnt 0x8
	v_mov_b32_e32 v71, v26
	global_load_b64 v[60:61], v66, s[8:9] scale_offset
	global_load_b64 v[62:63], v17, s[10:11] scale_offset
	s_clause 0x1
	global_load_b64 v[64:65], v67, s[8:9] scale_offset
	global_load_b64 v[66:67], v16, s[8:9] scale_offset
	;; [unrolled: 1-line block ×3, first 2 shown]
	s_wait_loadcnt 0xc
	v_pk_fma_f32 v[8:9], v[24:25], v[46:47], v[8:9] op_sel_hi:[1,0,1]
	v_pk_fma_f32 v[12:13], v[36:37], v[46:47], v[12:13] op_sel_hi:[1,0,1]
	;; [unrolled: 1-line block ×4, first 2 shown]
	v_xor_b32_e32 v70, 0x80000000, v27
	v_pk_fma_f32 v[8:9], v[24:25], v[46:47], v[8:9] op_sel:[1,1,0] op_sel_hi:[0,1,1] neg_lo:[1,0,0]
	v_pk_fma_f32 v[12:13], v[36:37], v[46:47], v[12:13] op_sel:[1,1,0] op_sel_hi:[0,1,1] neg_lo:[1,0,0]
	;; [unrolled: 1-line block ×4, first 2 shown]
	v_xor_b32_e32 v24, 0x80000000, v23
	s_wait_loadcnt 0x9
	v_pk_fma_f32 v[8:9], v[26:27], v[50:51], v[8:9] op_sel_hi:[1,0,1]
	v_pk_fma_f32 v[12:13], v[42:43], v[50:51], v[12:13] op_sel_hi:[1,0,1]
	;; [unrolled: 1-line block ×4, first 2 shown]
	v_mov_b32_e32 v25, v22
	v_pk_fma_f32 v[8:9], v[70:71], v[50:51], v[8:9] op_sel:[0,1,0]
	v_pk_fma_f32 v[12:13], v[42:43], v[50:51], v[12:13] op_sel:[1,1,0] op_sel_hi:[0,1,1] neg_lo:[1,0,0]
	v_pk_fma_f32 v[10:11], v[44:45], v[50:51], v[10:11] op_sel:[1,1,0] op_sel_hi:[0,1,1] neg_lo:[1,0,0]
	v_pk_fma_f32 v[0:1], v[48:49], v[50:51], v[0:1] op_sel:[1,1,0] op_sel_hi:[0,1,1] neg_lo:[1,0,0]
	s_wait_xcnt 0x1
	v_add_nc_u32_e32 v16, 0x50, v16
	s_wait_loadcnt 0x6
	v_pk_fma_f32 v[8:9], v[20:21], v[56:57], v[8:9] op_sel_hi:[1,0,1]
	v_pk_fma_f32 v[12:13], v[28:29], v[56:57], v[12:13] op_sel_hi:[1,0,1]
	;; [unrolled: 1-line block ×4, first 2 shown]
	s_delay_alu instid0(VALU_DEP_4) | instskip(NEXT) | instid1(VALU_DEP_4)
	v_pk_fma_f32 v[8:9], v[20:21], v[56:57], v[8:9] op_sel:[1,1,0] op_sel_hi:[0,1,1] neg_lo:[1,0,0]
	v_pk_fma_f32 v[12:13], v[28:29], v[56:57], v[12:13] op_sel:[1,1,0] op_sel_hi:[0,1,1] neg_lo:[1,0,0]
	s_delay_alu instid0(VALU_DEP_4) | instskip(NEXT) | instid1(VALU_DEP_4)
	v_pk_fma_f32 v[10:11], v[52:53], v[56:57], v[10:11] op_sel:[1,1,0] op_sel_hi:[0,1,1] neg_lo:[1,0,0]
	v_pk_fma_f32 v[0:1], v[54:55], v[56:57], v[0:1] op_sel:[1,1,0] op_sel_hi:[0,1,1] neg_lo:[1,0,0]
	s_wait_loadcnt 0x3
	v_pk_fma_f32 v[8:9], v[22:23], v[62:63], v[8:9] op_sel_hi:[1,0,1]
	v_pk_fma_f32 v[12:13], v[32:33], v[62:63], v[12:13] op_sel_hi:[1,0,1]
	;; [unrolled: 1-line block ×4, first 2 shown]
	s_delay_alu instid0(VALU_DEP_4) | instskip(NEXT) | instid1(VALU_DEP_4)
	v_pk_fma_f32 v[8:9], v[24:25], v[62:63], v[8:9] op_sel:[0,1,0]
	v_pk_fma_f32 v[12:13], v[32:33], v[62:63], v[12:13] op_sel:[1,1,0] op_sel_hi:[0,1,1] neg_lo:[1,0,0]
	s_delay_alu instid0(VALU_DEP_4) | instskip(NEXT) | instid1(VALU_DEP_4)
	v_pk_fma_f32 v[10:11], v[34:35], v[62:63], v[10:11] op_sel:[1,1,0] op_sel_hi:[0,1,1] neg_lo:[1,0,0]
	v_pk_fma_f32 v[0:1], v[60:61], v[62:63], v[0:1] op_sel:[1,1,0] op_sel_hi:[0,1,1] neg_lo:[1,0,0]
	s_wait_loadcnt 0x0
	v_pk_fma_f32 v[8:9], v[30:31], v[68:69], v[8:9] op_sel_hi:[1,0,1]
	v_pk_fma_f32 v[12:13], v[58:59], v[68:69], v[12:13] op_sel_hi:[1,0,1]
	v_pk_fma_f32 v[10:11], v[64:65], v[68:69], v[10:11] op_sel_hi:[1,0,1]
	v_pk_fma_f32 v[0:1], v[66:67], v[68:69], v[0:1] op_sel_hi:[1,0,1]
	s_delay_alu instid0(VALU_DEP_4) | instskip(NEXT) | instid1(VALU_DEP_4)
	v_pk_fma_f32 v[8:9], v[30:31], v[68:69], v[8:9] op_sel:[1,1,0] op_sel_hi:[0,1,1] neg_lo:[1,0,0]
	v_pk_fma_f32 v[12:13], v[58:59], v[68:69], v[12:13] op_sel:[1,1,0] op_sel_hi:[0,1,1] neg_lo:[1,0,0]
	s_delay_alu instid0(VALU_DEP_4) | instskip(NEXT) | instid1(VALU_DEP_4)
	v_pk_fma_f32 v[10:11], v[64:65], v[68:69], v[10:11] op_sel:[1,1,0] op_sel_hi:[0,1,1] neg_lo:[1,0,0]
	v_pk_fma_f32 v[0:1], v[66:67], v[68:69], v[0:1] op_sel:[1,1,0] op_sel_hi:[0,1,1] neg_lo:[1,0,0]
	s_and_not1_b32 exec_lo, exec_lo, s2
	s_cbranch_execnz .LBB89_11
; %bb.12:
	s_or_b32 exec_lo, exec_lo, s2
.LBB89_13:
	s_delay_alu instid0(SALU_CYCLE_1)
	s_or_b32 exec_lo, exec_lo, s3
.LBB89_14:
	v_mbcnt_lo_u32_b32 v14, -1, 0
	s_delay_alu instid0(VALU_DEP_1) | instskip(SKIP_1) | instid1(VALU_DEP_1)
	v_xor_b32_e32 v23, 1, v14
	v_xor_b32_e32 v15, 2, v14
	v_cmp_gt_i32_e32 vcc_lo, 32, v15
	v_cndmask_b32_e32 v15, v14, v15, vcc_lo
	s_delay_alu instid0(VALU_DEP_4) | instskip(SKIP_2) | instid1(VALU_DEP_2)
	v_cmp_gt_i32_e32 vcc_lo, 32, v23
	v_cndmask_b32_e32 v14, v14, v23, vcc_lo
	v_cmp_eq_u32_e32 vcc_lo, 3, v7
	v_dual_lshlrev_b32 v23, 2, v14 :: v_dual_lshlrev_b32 v15, 2, v15
	ds_bpermute_b32 v16, v15, v8
	s_wait_dscnt 0x0
	v_add_f32_e32 v8, v8, v16
	ds_bpermute_b32 v17, v15, v9
	ds_bpermute_b32 v18, v15, v12
	;; [unrolled: 1-line block ×7, first 2 shown]
	s_wait_dscnt 0x5
	v_dual_add_f32 v14, v9, v17 :: v_dual_add_f32 v12, v12, v18
	s_wait_dscnt 0x3
	v_dual_add_f32 v13, v13, v19 :: v_dual_add_f32 v10, v10, v20
	;; [unrolled: 2-line block ×3, first 2 shown]
	s_wait_dscnt 0x0
	v_add_f32_e32 v1, v1, v15
	ds_bpermute_b32 v0, v23, v8
	ds_bpermute_b32 v16, v23, v14
	;; [unrolled: 1-line block ×8, first 2 shown]
	s_and_b32 exec_lo, exec_lo, vcc_lo
	s_cbranch_execz .LBB89_19
; %bb.15:
	s_load_b64 s[2:3], s[0:1], 0x38
	v_cmp_eq_f32_e32 vcc_lo, 0, v4
	s_wait_xcnt 0x0
	v_cmp_eq_f32_e64 s0, 0, v5
	s_wait_dscnt 0x7
	v_add_f32_e32 v0, v8, v0
	s_wait_dscnt 0x5
	v_dual_add_f32 v20, v14, v16 :: v_dual_add_f32 v8, v12, v18
	s_wait_dscnt 0x3
	v_dual_add_f32 v18, v13, v19 :: v_dual_add_f32 v10, v10, v21
	;; [unrolled: 2-line block ×3, first 2 shown]
	s_wait_dscnt 0x0
	v_add_f32_e32 v14, v1, v17
	s_and_b32 s0, vcc_lo, s0
	s_delay_alu instid0(SALU_CYCLE_1) | instskip(NEXT) | instid1(SALU_CYCLE_1)
	s_and_saveexec_b32 s1, s0
	s_xor_b32 s0, exec_lo, s1
	s_cbranch_execz .LBB89_17
; %bb.16:
	v_xor_b32_e32 v4, 0x80000000, v3
	v_dual_mov_b32 v5, v2 :: v_dual_lshlrev_b32 v6, 2, v6
	s_delay_alu instid0(VALU_DEP_1) | instskip(NEXT) | instid1(VALU_DEP_2)
	v_ashrrev_i32_e32 v7, 31, v6
	v_pk_mul_f32 v[20:21], v[20:21], v[4:5] op_sel_hi:[0,1]
	v_pk_mul_f32 v[18:19], v[18:19], v[4:5] op_sel_hi:[0,1]
	;; [unrolled: 1-line block ×4, first 2 shown]
	s_wait_kmcnt 0x0
	v_lshl_add_u64 v[22:23], v[6:7], 3, s[2:3]
	v_pk_fma_f32 v[4:5], v[2:3], v[0:1], v[20:21] op_sel_hi:[1,0,1]
	v_pk_fma_f32 v[6:7], v[2:3], v[8:9], v[18:19] op_sel_hi:[1,0,1]
	;; [unrolled: 1-line block ×4, first 2 shown]
	s_clause 0x1
	global_store_b128 v[22:23], v[4:7], off
	global_store_b128 v[22:23], v[0:3], off offset:16
                                        ; implicit-def: $vgpr6
                                        ; implicit-def: $vgpr0
                                        ; implicit-def: $vgpr20
                                        ; implicit-def: $vgpr8
                                        ; implicit-def: $vgpr18
                                        ; implicit-def: $vgpr10
                                        ; implicit-def: $vgpr16
                                        ; implicit-def: $vgpr12
                                        ; implicit-def: $vgpr14
                                        ; implicit-def: $vgpr2_vgpr3
                                        ; implicit-def: $vgpr4_vgpr5
.LBB89_17:
	s_wait_xcnt 0x0
	s_and_not1_saveexec_b32 s0, s0
	s_cbranch_execz .LBB89_19
; %bb.18:
	v_lshlrev_b32_e32 v6, 2, v6
	v_xor_b32_e32 v32, 0x80000000, v5
	s_delay_alu instid0(VALU_DEP_2) | instskip(SKIP_1) | instid1(VALU_DEP_1)
	v_dual_mov_b32 v33, v4 :: v_dual_ashrrev_i32 v7, 31, v6
	s_wait_kmcnt 0x0
	v_lshl_add_u64 v[30:31], v[6:7], 3, s[2:3]
	v_xor_b32_e32 v6, 0x80000000, v3
	v_mov_b32_e32 v7, v2
	s_clause 0x1
	global_load_b128 v[22:25], v[30:31], off
	global_load_b128 v[26:29], v[30:31], off offset:16
	v_pk_mul_f32 v[20:21], v[20:21], v[6:7] op_sel_hi:[0,1]
	v_pk_mul_f32 v[18:19], v[18:19], v[6:7] op_sel_hi:[0,1]
	;; [unrolled: 1-line block ×4, first 2 shown]
	s_delay_alu instid0(VALU_DEP_4) | instskip(NEXT) | instid1(VALU_DEP_4)
	v_pk_fma_f32 v[0:1], v[2:3], v[0:1], v[20:21] op_sel_hi:[1,0,1]
	v_pk_fma_f32 v[8:9], v[2:3], v[8:9], v[18:19] op_sel_hi:[1,0,1]
	s_delay_alu instid0(VALU_DEP_4) | instskip(NEXT) | instid1(VALU_DEP_4)
	v_pk_fma_f32 v[10:11], v[2:3], v[10:11], v[16:17] op_sel_hi:[1,0,1]
	v_pk_fma_f32 v[2:3], v[2:3], v[12:13], v[6:7] op_sel_hi:[1,0,1]
	s_wait_loadcnt 0x1
	v_pk_fma_f32 v[0:1], v[4:5], v[22:23], v[0:1] op_sel_hi:[1,0,1]
	v_pk_fma_f32 v[6:7], v[4:5], v[24:25], v[8:9] op_sel_hi:[1,0,1]
	s_wait_loadcnt 0x0
	v_dual_mov_b32 v8, v25 :: v_dual_mov_b32 v14, v29
	v_pk_fma_f32 v[10:11], v[4:5], v[26:27], v[10:11] op_sel_hi:[1,0,1]
	v_pk_fma_f32 v[12:13], v[4:5], v[28:29], v[2:3] op_sel_hi:[1,0,1]
	v_pk_fma_f32 v[0:1], v[32:33], v[22:23], v[0:1] op_sel:[0,1,0]
	s_delay_alu instid0(VALU_DEP_4) | instskip(NEXT) | instid1(VALU_DEP_4)
	v_pk_fma_f32 v[2:3], v[32:33], v[8:9], v[6:7] op_sel_hi:[1,0,1]
	v_pk_fma_f32 v[4:5], v[32:33], v[26:27], v[10:11] op_sel:[0,1,0]
	s_delay_alu instid0(VALU_DEP_4)
	v_pk_fma_f32 v[6:7], v[32:33], v[14:15], v[12:13] op_sel_hi:[1,0,1]
	s_clause 0x1
	global_store_b128 v[30:31], v[0:3], off
	global_store_b128 v[30:31], v[4:7], off offset:16
.LBB89_19:
	s_sendmsg sendmsg(MSG_DEALLOC_VGPRS)
	s_endpgm
	.section	.rodata,"a",@progbits
	.p2align	6, 0x0
	.amdhsa_kernel _ZN9rocsparseL19gebsrmvn_4xn_kernelILj128ELj5ELj4E21rocsparse_complex_numIfEEEvi20rocsparse_direction_NS_24const_host_device_scalarIT2_EEPKiS8_PKS5_SA_S6_PS5_21rocsparse_index_base_b
		.amdhsa_group_segment_fixed_size 0
		.amdhsa_private_segment_fixed_size 0
		.amdhsa_kernarg_size 72
		.amdhsa_user_sgpr_count 2
		.amdhsa_user_sgpr_dispatch_ptr 0
		.amdhsa_user_sgpr_queue_ptr 0
		.amdhsa_user_sgpr_kernarg_segment_ptr 1
		.amdhsa_user_sgpr_dispatch_id 0
		.amdhsa_user_sgpr_kernarg_preload_length 0
		.amdhsa_user_sgpr_kernarg_preload_offset 0
		.amdhsa_user_sgpr_private_segment_size 0
		.amdhsa_wavefront_size32 1
		.amdhsa_uses_dynamic_stack 0
		.amdhsa_enable_private_segment 0
		.amdhsa_system_sgpr_workgroup_id_x 1
		.amdhsa_system_sgpr_workgroup_id_y 0
		.amdhsa_system_sgpr_workgroup_id_z 0
		.amdhsa_system_sgpr_workgroup_info 0
		.amdhsa_system_vgpr_workitem_id 0
		.amdhsa_next_free_vgpr 84
		.amdhsa_next_free_sgpr 14
		.amdhsa_named_barrier_count 0
		.amdhsa_reserve_vcc 1
		.amdhsa_float_round_mode_32 0
		.amdhsa_float_round_mode_16_64 0
		.amdhsa_float_denorm_mode_32 3
		.amdhsa_float_denorm_mode_16_64 3
		.amdhsa_fp16_overflow 0
		.amdhsa_memory_ordered 1
		.amdhsa_forward_progress 1
		.amdhsa_inst_pref_size 24
		.amdhsa_round_robin_scheduling 0
		.amdhsa_exception_fp_ieee_invalid_op 0
		.amdhsa_exception_fp_denorm_src 0
		.amdhsa_exception_fp_ieee_div_zero 0
		.amdhsa_exception_fp_ieee_overflow 0
		.amdhsa_exception_fp_ieee_underflow 0
		.amdhsa_exception_fp_ieee_inexact 0
		.amdhsa_exception_int_div_zero 0
	.end_amdhsa_kernel
	.section	.text._ZN9rocsparseL19gebsrmvn_4xn_kernelILj128ELj5ELj4E21rocsparse_complex_numIfEEEvi20rocsparse_direction_NS_24const_host_device_scalarIT2_EEPKiS8_PKS5_SA_S6_PS5_21rocsparse_index_base_b,"axG",@progbits,_ZN9rocsparseL19gebsrmvn_4xn_kernelILj128ELj5ELj4E21rocsparse_complex_numIfEEEvi20rocsparse_direction_NS_24const_host_device_scalarIT2_EEPKiS8_PKS5_SA_S6_PS5_21rocsparse_index_base_b,comdat
.Lfunc_end89:
	.size	_ZN9rocsparseL19gebsrmvn_4xn_kernelILj128ELj5ELj4E21rocsparse_complex_numIfEEEvi20rocsparse_direction_NS_24const_host_device_scalarIT2_EEPKiS8_PKS5_SA_S6_PS5_21rocsparse_index_base_b, .Lfunc_end89-_ZN9rocsparseL19gebsrmvn_4xn_kernelILj128ELj5ELj4E21rocsparse_complex_numIfEEEvi20rocsparse_direction_NS_24const_host_device_scalarIT2_EEPKiS8_PKS5_SA_S6_PS5_21rocsparse_index_base_b
                                        ; -- End function
	.set _ZN9rocsparseL19gebsrmvn_4xn_kernelILj128ELj5ELj4E21rocsparse_complex_numIfEEEvi20rocsparse_direction_NS_24const_host_device_scalarIT2_EEPKiS8_PKS5_SA_S6_PS5_21rocsparse_index_base_b.num_vgpr, 84
	.set _ZN9rocsparseL19gebsrmvn_4xn_kernelILj128ELj5ELj4E21rocsparse_complex_numIfEEEvi20rocsparse_direction_NS_24const_host_device_scalarIT2_EEPKiS8_PKS5_SA_S6_PS5_21rocsparse_index_base_b.num_agpr, 0
	.set _ZN9rocsparseL19gebsrmvn_4xn_kernelILj128ELj5ELj4E21rocsparse_complex_numIfEEEvi20rocsparse_direction_NS_24const_host_device_scalarIT2_EEPKiS8_PKS5_SA_S6_PS5_21rocsparse_index_base_b.numbered_sgpr, 14
	.set _ZN9rocsparseL19gebsrmvn_4xn_kernelILj128ELj5ELj4E21rocsparse_complex_numIfEEEvi20rocsparse_direction_NS_24const_host_device_scalarIT2_EEPKiS8_PKS5_SA_S6_PS5_21rocsparse_index_base_b.num_named_barrier, 0
	.set _ZN9rocsparseL19gebsrmvn_4xn_kernelILj128ELj5ELj4E21rocsparse_complex_numIfEEEvi20rocsparse_direction_NS_24const_host_device_scalarIT2_EEPKiS8_PKS5_SA_S6_PS5_21rocsparse_index_base_b.private_seg_size, 0
	.set _ZN9rocsparseL19gebsrmvn_4xn_kernelILj128ELj5ELj4E21rocsparse_complex_numIfEEEvi20rocsparse_direction_NS_24const_host_device_scalarIT2_EEPKiS8_PKS5_SA_S6_PS5_21rocsparse_index_base_b.uses_vcc, 1
	.set _ZN9rocsparseL19gebsrmvn_4xn_kernelILj128ELj5ELj4E21rocsparse_complex_numIfEEEvi20rocsparse_direction_NS_24const_host_device_scalarIT2_EEPKiS8_PKS5_SA_S6_PS5_21rocsparse_index_base_b.uses_flat_scratch, 1
	.set _ZN9rocsparseL19gebsrmvn_4xn_kernelILj128ELj5ELj4E21rocsparse_complex_numIfEEEvi20rocsparse_direction_NS_24const_host_device_scalarIT2_EEPKiS8_PKS5_SA_S6_PS5_21rocsparse_index_base_b.has_dyn_sized_stack, 0
	.set _ZN9rocsparseL19gebsrmvn_4xn_kernelILj128ELj5ELj4E21rocsparse_complex_numIfEEEvi20rocsparse_direction_NS_24const_host_device_scalarIT2_EEPKiS8_PKS5_SA_S6_PS5_21rocsparse_index_base_b.has_recursion, 0
	.set _ZN9rocsparseL19gebsrmvn_4xn_kernelILj128ELj5ELj4E21rocsparse_complex_numIfEEEvi20rocsparse_direction_NS_24const_host_device_scalarIT2_EEPKiS8_PKS5_SA_S6_PS5_21rocsparse_index_base_b.has_indirect_call, 0
	.section	.AMDGPU.csdata,"",@progbits
; Kernel info:
; codeLenInByte = 3064
; TotalNumSgprs: 16
; NumVgprs: 84
; ScratchSize: 0
; MemoryBound: 0
; FloatMode: 240
; IeeeMode: 1
; LDSByteSize: 0 bytes/workgroup (compile time only)
; SGPRBlocks: 0
; VGPRBlocks: 5
; NumSGPRsForWavesPerEU: 16
; NumVGPRsForWavesPerEU: 84
; NamedBarCnt: 0
; Occupancy: 10
; WaveLimiterHint : 1
; COMPUTE_PGM_RSRC2:SCRATCH_EN: 0
; COMPUTE_PGM_RSRC2:USER_SGPR: 2
; COMPUTE_PGM_RSRC2:TRAP_HANDLER: 0
; COMPUTE_PGM_RSRC2:TGID_X_EN: 1
; COMPUTE_PGM_RSRC2:TGID_Y_EN: 0
; COMPUTE_PGM_RSRC2:TGID_Z_EN: 0
; COMPUTE_PGM_RSRC2:TIDIG_COMP_CNT: 0
	.section	.text._ZN9rocsparseL19gebsrmvn_4xn_kernelILj128ELj5ELj8E21rocsparse_complex_numIfEEEvi20rocsparse_direction_NS_24const_host_device_scalarIT2_EEPKiS8_PKS5_SA_S6_PS5_21rocsparse_index_base_b,"axG",@progbits,_ZN9rocsparseL19gebsrmvn_4xn_kernelILj128ELj5ELj8E21rocsparse_complex_numIfEEEvi20rocsparse_direction_NS_24const_host_device_scalarIT2_EEPKiS8_PKS5_SA_S6_PS5_21rocsparse_index_base_b,comdat
	.globl	_ZN9rocsparseL19gebsrmvn_4xn_kernelILj128ELj5ELj8E21rocsparse_complex_numIfEEEvi20rocsparse_direction_NS_24const_host_device_scalarIT2_EEPKiS8_PKS5_SA_S6_PS5_21rocsparse_index_base_b ; -- Begin function _ZN9rocsparseL19gebsrmvn_4xn_kernelILj128ELj5ELj8E21rocsparse_complex_numIfEEEvi20rocsparse_direction_NS_24const_host_device_scalarIT2_EEPKiS8_PKS5_SA_S6_PS5_21rocsparse_index_base_b
	.p2align	8
	.type	_ZN9rocsparseL19gebsrmvn_4xn_kernelILj128ELj5ELj8E21rocsparse_complex_numIfEEEvi20rocsparse_direction_NS_24const_host_device_scalarIT2_EEPKiS8_PKS5_SA_S6_PS5_21rocsparse_index_base_b,@function
_ZN9rocsparseL19gebsrmvn_4xn_kernelILj128ELj5ELj8E21rocsparse_complex_numIfEEEvi20rocsparse_direction_NS_24const_host_device_scalarIT2_EEPKiS8_PKS5_SA_S6_PS5_21rocsparse_index_base_b: ; @_ZN9rocsparseL19gebsrmvn_4xn_kernelILj128ELj5ELj8E21rocsparse_complex_numIfEEEvi20rocsparse_direction_NS_24const_host_device_scalarIT2_EEPKiS8_PKS5_SA_S6_PS5_21rocsparse_index_base_b
; %bb.0:
	s_clause 0x2
	s_load_b64 s[12:13], s[0:1], 0x40
	s_load_b64 s[2:3], s[0:1], 0x8
	;; [unrolled: 1-line block ×3, first 2 shown]
	v_mov_b32_e32 v1, 0
	s_add_nc_u64 s[6:7], s[0:1], 8
	s_add_nc_u64 s[8:9], s[0:1], 48
	s_wait_kmcnt 0x0
	s_bitcmp1_b32 s13, 0
	s_cselect_b32 s3, s7, s3
	s_cselect_b32 s2, s6, s2
	;; [unrolled: 1-line block ×4, first 2 shown]
	s_clause 0x1
	flat_load_b64 v[2:3], v1, s[2:3]
	flat_load_b64 v[4:5], v1, s[4:5]
	s_wait_loadcnt_dscnt 0x101
	v_cmp_eq_f32_e32 vcc_lo, 0, v2
	v_cmp_eq_f32_e64 s2, 0, v3
	s_wait_loadcnt_dscnt 0x0
	v_cmp_eq_f32_e64 s3, 1.0, v4
	v_cmp_eq_f32_e64 s4, 0, v5
	s_and_b32 s2, vcc_lo, s2
	s_and_b32 s3, s3, s4
	s_delay_alu instid0(SALU_CYCLE_1) | instskip(NEXT) | instid1(SALU_CYCLE_1)
	s_and_b32 s2, s2, s3
	s_xor_b32 s2, s2, -1
	s_delay_alu instid0(SALU_CYCLE_1)
	s_and_saveexec_b32 s3, s2
	s_cbranch_execz .LBB90_19
; %bb.1:
	s_load_b64 s[2:3], s[0:1], 0x0
	s_bfe_u32 s4, ttmp6, 0x4000c
	s_and_b32 s5, ttmp6, 15
	s_add_co_i32 s4, s4, 1
	s_getreg_b32 s6, hwreg(HW_REG_IB_STS2, 6, 4)
	s_mul_i32 s4, ttmp9, s4
	v_lshrrev_b32_e32 v1, 3, v0
	s_add_co_i32 s5, s5, s4
	s_cmp_eq_u32 s6, 0
	s_cselect_b32 s4, ttmp9, s5
	s_delay_alu instid0(VALU_DEP_1) | instid1(SALU_CYCLE_1)
	v_lshl_or_b32 v6, s4, 4, v1
	s_wait_kmcnt 0x0
	s_delay_alu instid0(VALU_DEP_1)
	v_cmp_gt_i32_e32 vcc_lo, s2, v6
	s_and_b32 exec_lo, exec_lo, vcc_lo
	s_cbranch_execz .LBB90_19
; %bb.2:
	s_load_b256 s[4:11], s[0:1], 0x10
	v_ashrrev_i32_e32 v7, 31, v6
	s_cmp_lg_u32 s3, 0
	s_wait_kmcnt 0x0
	s_delay_alu instid0(VALU_DEP_1)
	v_lshl_add_u64 v[8:9], v[6:7], 2, s[4:5]
	v_and_b32_e32 v7, 7, v0
	global_load_b64 v[8:9], v[8:9], off
	s_wait_loadcnt 0x0
	v_subrev_nc_u32_e32 v0, s12, v8
	v_subrev_nc_u32_e32 v18, s12, v9
	s_delay_alu instid0(VALU_DEP_2) | instskip(NEXT) | instid1(VALU_DEP_1)
	v_add_nc_u32_e32 v19, v0, v7
	v_cmp_lt_i32_e64 s2, v19, v18
	s_cbranch_scc0 .LBB90_8
; %bb.3:
	v_mov_b32_e32 v9, 0
	s_delay_alu instid0(VALU_DEP_1)
	v_dual_mov_b32 v8, v9 :: v_dual_mov_b32 v1, v9
	v_dual_mov_b32 v0, v9 :: v_dual_mov_b32 v11, v9
	;; [unrolled: 1-line block ×3, first 2 shown]
	v_mov_b32_e32 v12, v9
	s_and_saveexec_b32 s3, s2
	s_cbranch_execz .LBB90_7
; %bb.4:
	v_mad_u32 v16, v19, 20, 16
	v_dual_mov_b32 v15, 0 :: v_dual_mov_b32 v20, v19
	s_mov_b32 s4, 0
	s_delay_alu instid0(VALU_DEP_1)
	v_dual_mov_b32 v12, v15 :: v_dual_mov_b32 v13, v15
	v_dual_mov_b32 v10, v15 :: v_dual_mov_b32 v11, v15
	;; [unrolled: 1-line block ×4, first 2 shown]
.LBB90_5:                               ; =>This Inner Loop Header: Depth=1
	global_load_b32 v21, v20, s[6:7] scale_offset
	v_dual_mov_b32 v17, v15 :: v_dual_add_nc_u32 v14, -16, v16
	s_wait_xcnt 0x0
	v_add_nc_u32_e32 v20, 8, v20
	s_delay_alu instid0(VALU_DEP_2) | instskip(NEXT) | instid1(VALU_DEP_3)
	v_lshl_add_u64 v[34:35], v[14:15], 3, s[8:9]
	v_lshl_add_u64 v[62:63], v[16:17], 3, s[8:9]
	s_clause 0x2
	global_load_b128 v[22:25], v[34:35], off offset:16
	global_load_b128 v[26:29], v[34:35], off
	global_load_b128 v[30:33], v[62:63], off
	v_cmp_ge_i32_e32 vcc_lo, v20, v18
	s_or_b32 s4, vcc_lo, s4
	s_wait_loadcnt 0x3
	v_subrev_nc_u32_e32 v17, s12, v21
	s_delay_alu instid0(VALU_DEP_1) | instskip(SKIP_3) | instid1(VALU_DEP_3)
	v_lshl_add_u32 v17, v17, 2, v17
	v_add_nc_u32_e32 v14, -12, v16
	s_wait_loadcnt 0x2
	v_xor_b32_e32 v76, 0x80000000, v25
	v_add_nc_u32_e32 v21, 2, v17
	s_delay_alu instid0(VALU_DEP_3) | instskip(SKIP_3) | instid1(VALU_DEP_2)
	v_lshl_add_u64 v[50:51], v[14:15], 3, s[8:9]
	s_wait_loadcnt 0x0
	v_dual_mov_b32 v75, v32 :: v_dual_add_nc_u32 v14, -8, v16
	v_xor_b32_e32 v74, 0x80000000, v33
	v_lshl_add_u64 v[52:53], v[14:15], 3, s[8:9]
	s_clause 0x3
	global_load_b128 v[34:37], v[50:51], off offset:16
	global_load_b128 v[38:41], v[50:51], off
	global_load_b128 v[42:45], v[52:53], off offset:16
	global_load_b128 v[46:49], v[52:53], off
	global_load_b64 v[64:65], v17, s[10:11] scale_offset
	v_dual_mov_b32 v77, v24 :: v_dual_add_nc_u32 v14, -4, v16
	v_add_nc_u32_e32 v16, 0xa0, v16
	s_delay_alu instid0(VALU_DEP_2)
	v_lshl_add_u64 v[58:59], v[14:15], 3, s[8:9]
	v_add_nc_u32_e32 v14, 1, v17
	global_load_b64 v[66:67], v14, s[10:11] scale_offset
	global_load_b128 v[50:53], v[58:59], off
	global_load_b64 v[68:69], v21, s[10:11] scale_offset
	global_load_b128 v[54:57], v[58:59], off offset:16
	s_wait_xcnt 0x3
	v_dual_add_nc_u32 v14, 3, v17 :: v_dual_add_nc_u32 v17, 4, v17
	global_load_b64 v[70:71], v14, s[10:11] scale_offset
	global_load_b128 v[58:61], v[62:63], off offset:16
	global_load_b64 v[72:73], v17, s[10:11] scale_offset
	s_wait_xcnt 0x1
	v_xor_b32_e32 v62, 0x80000000, v29
	v_mov_b32_e32 v63, v28
	s_wait_loadcnt 0xb
	v_xor_b32_e32 v80, 0x80000000, v37
	s_wait_loadcnt 0xa
	v_mov_b32_e32 v79, v40
	v_xor_b32_e32 v78, 0x80000000, v41
	s_wait_loadcnt 0x8
	v_dual_mov_b32 v81, v36 :: v_dual_mov_b32 v83, v48
	s_wait_loadcnt 0x7
	v_pk_fma_f32 v[8:9], v[26:27], v[64:65], v[8:9] op_sel_hi:[1,0,1]
	v_pk_fma_f32 v[12:13], v[28:29], v[64:65], v[12:13] op_sel_hi:[1,0,1]
	;; [unrolled: 1-line block ×4, first 2 shown]
	v_xor_b32_e32 v82, 0x80000000, v49
	v_pk_fma_f32 v[8:9], v[26:27], v[64:65], v[8:9] op_sel:[1,1,0] op_sel_hi:[0,1,1] neg_lo:[1,0,0]
	v_pk_fma_f32 v[12:13], v[62:63], v[64:65], v[12:13] op_sel:[0,1,0]
	v_pk_fma_f32 v[10:11], v[22:23], v[64:65], v[10:11] op_sel:[1,1,0] op_sel_hi:[0,1,1] neg_lo:[1,0,0]
	v_pk_fma_f32 v[0:1], v[76:77], v[64:65], v[0:1] op_sel:[0,1,0]
	v_xor_b32_e32 v24, 0x80000000, v45
	s_wait_loadcnt 0x6
	v_pk_fma_f32 v[8:9], v[38:39], v[66:67], v[8:9] op_sel_hi:[1,0,1]
	v_pk_fma_f32 v[12:13], v[40:41], v[66:67], v[12:13] op_sel_hi:[1,0,1]
	;; [unrolled: 1-line block ×4, first 2 shown]
	s_wait_loadcnt 0x5
	v_dual_mov_b32 v25, v44 :: v_dual_mov_b32 v23, v52
	v_pk_fma_f32 v[8:9], v[38:39], v[66:67], v[8:9] op_sel:[1,1,0] op_sel_hi:[0,1,1] neg_lo:[1,0,0]
	v_pk_fma_f32 v[12:13], v[78:79], v[66:67], v[12:13] op_sel:[0,1,0]
	v_pk_fma_f32 v[10:11], v[34:35], v[66:67], v[10:11] op_sel:[1,1,0] op_sel_hi:[0,1,1] neg_lo:[1,0,0]
	v_pk_fma_f32 v[0:1], v[80:81], v[66:67], v[0:1] op_sel:[0,1,0]
	v_xor_b32_e32 v22, 0x80000000, v53
	s_wait_loadcnt 0x4
	v_pk_fma_f32 v[8:9], v[46:47], v[68:69], v[8:9] op_sel_hi:[1,0,1]
	v_pk_fma_f32 v[12:13], v[48:49], v[68:69], v[12:13] op_sel_hi:[1,0,1]
	;; [unrolled: 1-line block ×4, first 2 shown]
	s_wait_loadcnt 0x3
	v_xor_b32_e32 v26, 0x80000000, v57
	v_pk_fma_f32 v[8:9], v[46:47], v[68:69], v[8:9] op_sel:[1,1,0] op_sel_hi:[0,1,1] neg_lo:[1,0,0]
	v_pk_fma_f32 v[12:13], v[82:83], v[68:69], v[12:13] op_sel:[0,1,0]
	v_pk_fma_f32 v[10:11], v[42:43], v[68:69], v[10:11] op_sel:[1,1,0] op_sel_hi:[0,1,1] neg_lo:[1,0,0]
	v_pk_fma_f32 v[0:1], v[24:25], v[68:69], v[0:1] op_sel:[0,1,0]
	s_wait_loadcnt 0x1
	v_dual_mov_b32 v27, v56 :: v_dual_mov_b32 v25, v60
	v_pk_fma_f32 v[8:9], v[50:51], v[70:71], v[8:9] op_sel_hi:[1,0,1]
	v_pk_fma_f32 v[12:13], v[52:53], v[70:71], v[12:13] op_sel_hi:[1,0,1]
	v_pk_fma_f32 v[10:11], v[54:55], v[70:71], v[10:11] op_sel_hi:[1,0,1]
	v_pk_fma_f32 v[0:1], v[56:57], v[70:71], v[0:1] op_sel_hi:[1,0,1]
	v_xor_b32_e32 v24, 0x80000000, v61
	v_pk_fma_f32 v[8:9], v[50:51], v[70:71], v[8:9] op_sel:[1,1,0] op_sel_hi:[0,1,1] neg_lo:[1,0,0]
	v_pk_fma_f32 v[12:13], v[22:23], v[70:71], v[12:13] op_sel:[0,1,0]
	v_pk_fma_f32 v[10:11], v[54:55], v[70:71], v[10:11] op_sel:[1,1,0] op_sel_hi:[0,1,1] neg_lo:[1,0,0]
	v_pk_fma_f32 v[0:1], v[26:27], v[70:71], v[0:1] op_sel:[0,1,0]
	s_wait_loadcnt 0x0
	v_pk_fma_f32 v[8:9], v[30:31], v[72:73], v[8:9] op_sel_hi:[1,0,1]
	v_pk_fma_f32 v[12:13], v[32:33], v[72:73], v[12:13] op_sel_hi:[1,0,1]
	;; [unrolled: 1-line block ×4, first 2 shown]
	s_delay_alu instid0(VALU_DEP_4) | instskip(NEXT) | instid1(VALU_DEP_4)
	v_pk_fma_f32 v[8:9], v[30:31], v[72:73], v[8:9] op_sel:[1,1,0] op_sel_hi:[0,1,1] neg_lo:[1,0,0]
	v_pk_fma_f32 v[12:13], v[74:75], v[72:73], v[12:13] op_sel:[0,1,0]
	s_delay_alu instid0(VALU_DEP_4) | instskip(NEXT) | instid1(VALU_DEP_4)
	v_pk_fma_f32 v[10:11], v[58:59], v[72:73], v[10:11] op_sel:[1,1,0] op_sel_hi:[0,1,1] neg_lo:[1,0,0]
	v_pk_fma_f32 v[0:1], v[24:25], v[72:73], v[0:1] op_sel:[0,1,0]
	s_and_not1_b32 exec_lo, exec_lo, s4
	s_cbranch_execnz .LBB90_5
; %bb.6:
	s_or_b32 exec_lo, exec_lo, s4
.LBB90_7:
	s_delay_alu instid0(SALU_CYCLE_1)
	s_or_b32 exec_lo, exec_lo, s3
	s_cbranch_execz .LBB90_9
	s_branch .LBB90_14
.LBB90_8:
                                        ; implicit-def: $vgpr9
                                        ; implicit-def: $vgpr1
                                        ; implicit-def: $vgpr11
                                        ; implicit-def: $vgpr13
.LBB90_9:
	v_mov_b32_e32 v9, 0
	s_delay_alu instid0(VALU_DEP_1)
	v_dual_mov_b32 v8, v9 :: v_dual_mov_b32 v1, v9
	v_dual_mov_b32 v0, v9 :: v_dual_mov_b32 v11, v9
	;; [unrolled: 1-line block ×3, first 2 shown]
	v_mov_b32_e32 v12, v9
	s_and_saveexec_b32 s3, s2
	s_cbranch_execz .LBB90_13
; %bb.10:
	v_mad_u32 v16, v19, 20, 19
	v_mov_b32_e32 v15, 0
	s_mov_b32 s2, 0
	s_delay_alu instid0(VALU_DEP_1)
	v_dual_mov_b32 v12, v15 :: v_dual_mov_b32 v13, v15
	v_dual_mov_b32 v10, v15 :: v_dual_mov_b32 v11, v15
	;; [unrolled: 1-line block ×4, first 2 shown]
.LBB90_11:                              ; =>This Inner Loop Header: Depth=1
	global_load_b32 v17, v19, s[6:7] scale_offset
	v_subrev_nc_u32_e32 v14, 19, v16
	v_dual_add_nc_u32 v26, -6, v16 :: v_dual_add_nc_u32 v27, -15, v16
	v_dual_add_nc_u32 v60, -2, v16 :: v_dual_add_nc_u32 v25, -11, v16
	s_delay_alu instid0(VALU_DEP_3)
	v_lshl_add_u64 v[28:29], v[14:15], 3, s[8:9]
	v_dual_add_nc_u32 v24, -8, v16 :: v_dual_add_nc_u32 v50, -3, v16
	v_dual_add_nc_u32 v20, -14, v16 :: v_dual_add_nc_u32 v21, -9, v16
	;; [unrolled: 1-line block ×3, first 2 shown]
	s_clause 0x8
	global_load_b64 v[30:31], v27, s[8:9] scale_offset
	global_load_b64 v[32:33], v25, s[8:9] scale_offset
	;; [unrolled: 1-line block ×8, first 2 shown]
	global_load_b128 v[20:23], v[28:29], off offset:16
	v_dual_add_nc_u32 v54, -12, v16 :: v_dual_add_nc_u32 v55, -7, v16
	v_dual_add_nc_u32 v66, -1, v16 :: v_dual_add_nc_u32 v61, -10, v16
	v_add_nc_u32_e32 v19, 8, v19
	s_delay_alu instid0(VALU_DEP_1) | instskip(SKIP_3) | instid1(VALU_DEP_1)
	v_cmp_ge_i32_e32 vcc_lo, v19, v18
	s_or_b32 s2, vcc_lo, s2
	s_wait_loadcnt 0x9
	v_subrev_nc_u32_e32 v14, s12, v17
	v_lshl_add_u32 v14, v14, 2, v14
	global_load_b128 v[24:27], v[28:29], off
	global_load_b64 v[46:47], v14, s[10:11] scale_offset
	global_load_b64 v[48:49], v50, s[8:9] scale_offset
	v_dual_add_nc_u32 v67, -5, v16 :: v_dual_add_nc_u32 v17, 1, v14
	global_load_b64 v[28:29], v54, s[8:9] scale_offset
	global_load_b64 v[50:51], v17, s[10:11] scale_offset
	;; [unrolled: 1-line block ×3, first 2 shown]
	s_wait_xcnt 0x1
	v_add_nc_u32_e32 v17, 2, v14
	global_load_b64 v[54:55], v60, s[8:9] scale_offset
	global_load_b64 v[56:57], v17, s[10:11] scale_offset
	;; [unrolled: 1-line block ×3, first 2 shown]
	s_wait_xcnt 0x1
	v_dual_add_nc_u32 v17, 3, v14 :: v_dual_add_nc_u32 v14, 4, v14
	s_wait_loadcnt 0x8
	v_mov_b32_e32 v71, v26
	global_load_b64 v[60:61], v66, s[8:9] scale_offset
	global_load_b64 v[62:63], v17, s[10:11] scale_offset
	s_clause 0x1
	global_load_b64 v[64:65], v67, s[8:9] scale_offset
	global_load_b64 v[66:67], v16, s[8:9] scale_offset
	;; [unrolled: 1-line block ×3, first 2 shown]
	s_wait_loadcnt 0xc
	v_pk_fma_f32 v[8:9], v[24:25], v[46:47], v[8:9] op_sel_hi:[1,0,1]
	v_pk_fma_f32 v[12:13], v[36:37], v[46:47], v[12:13] op_sel_hi:[1,0,1]
	;; [unrolled: 1-line block ×4, first 2 shown]
	v_xor_b32_e32 v70, 0x80000000, v27
	v_pk_fma_f32 v[8:9], v[24:25], v[46:47], v[8:9] op_sel:[1,1,0] op_sel_hi:[0,1,1] neg_lo:[1,0,0]
	v_pk_fma_f32 v[12:13], v[36:37], v[46:47], v[12:13] op_sel:[1,1,0] op_sel_hi:[0,1,1] neg_lo:[1,0,0]
	;; [unrolled: 1-line block ×4, first 2 shown]
	v_xor_b32_e32 v24, 0x80000000, v23
	s_wait_loadcnt 0x9
	v_pk_fma_f32 v[8:9], v[26:27], v[50:51], v[8:9] op_sel_hi:[1,0,1]
	v_pk_fma_f32 v[12:13], v[42:43], v[50:51], v[12:13] op_sel_hi:[1,0,1]
	;; [unrolled: 1-line block ×4, first 2 shown]
	v_mov_b32_e32 v25, v22
	v_pk_fma_f32 v[8:9], v[70:71], v[50:51], v[8:9] op_sel:[0,1,0]
	v_pk_fma_f32 v[12:13], v[42:43], v[50:51], v[12:13] op_sel:[1,1,0] op_sel_hi:[0,1,1] neg_lo:[1,0,0]
	v_pk_fma_f32 v[10:11], v[44:45], v[50:51], v[10:11] op_sel:[1,1,0] op_sel_hi:[0,1,1] neg_lo:[1,0,0]
	;; [unrolled: 1-line block ×3, first 2 shown]
	s_wait_xcnt 0x1
	v_add_nc_u32_e32 v16, 0xa0, v16
	s_wait_loadcnt 0x6
	v_pk_fma_f32 v[8:9], v[20:21], v[56:57], v[8:9] op_sel_hi:[1,0,1]
	v_pk_fma_f32 v[12:13], v[28:29], v[56:57], v[12:13] op_sel_hi:[1,0,1]
	;; [unrolled: 1-line block ×4, first 2 shown]
	s_delay_alu instid0(VALU_DEP_4) | instskip(NEXT) | instid1(VALU_DEP_4)
	v_pk_fma_f32 v[8:9], v[20:21], v[56:57], v[8:9] op_sel:[1,1,0] op_sel_hi:[0,1,1] neg_lo:[1,0,0]
	v_pk_fma_f32 v[12:13], v[28:29], v[56:57], v[12:13] op_sel:[1,1,0] op_sel_hi:[0,1,1] neg_lo:[1,0,0]
	s_delay_alu instid0(VALU_DEP_4) | instskip(NEXT) | instid1(VALU_DEP_4)
	v_pk_fma_f32 v[10:11], v[52:53], v[56:57], v[10:11] op_sel:[1,1,0] op_sel_hi:[0,1,1] neg_lo:[1,0,0]
	v_pk_fma_f32 v[0:1], v[54:55], v[56:57], v[0:1] op_sel:[1,1,0] op_sel_hi:[0,1,1] neg_lo:[1,0,0]
	s_wait_loadcnt 0x3
	v_pk_fma_f32 v[8:9], v[22:23], v[62:63], v[8:9] op_sel_hi:[1,0,1]
	v_pk_fma_f32 v[12:13], v[32:33], v[62:63], v[12:13] op_sel_hi:[1,0,1]
	;; [unrolled: 1-line block ×4, first 2 shown]
	s_delay_alu instid0(VALU_DEP_4) | instskip(NEXT) | instid1(VALU_DEP_4)
	v_pk_fma_f32 v[8:9], v[24:25], v[62:63], v[8:9] op_sel:[0,1,0]
	v_pk_fma_f32 v[12:13], v[32:33], v[62:63], v[12:13] op_sel:[1,1,0] op_sel_hi:[0,1,1] neg_lo:[1,0,0]
	s_delay_alu instid0(VALU_DEP_4) | instskip(NEXT) | instid1(VALU_DEP_4)
	v_pk_fma_f32 v[10:11], v[34:35], v[62:63], v[10:11] op_sel:[1,1,0] op_sel_hi:[0,1,1] neg_lo:[1,0,0]
	v_pk_fma_f32 v[0:1], v[60:61], v[62:63], v[0:1] op_sel:[1,1,0] op_sel_hi:[0,1,1] neg_lo:[1,0,0]
	s_wait_loadcnt 0x0
	v_pk_fma_f32 v[8:9], v[30:31], v[68:69], v[8:9] op_sel_hi:[1,0,1]
	v_pk_fma_f32 v[12:13], v[58:59], v[68:69], v[12:13] op_sel_hi:[1,0,1]
	;; [unrolled: 1-line block ×4, first 2 shown]
	s_delay_alu instid0(VALU_DEP_4) | instskip(NEXT) | instid1(VALU_DEP_4)
	v_pk_fma_f32 v[8:9], v[30:31], v[68:69], v[8:9] op_sel:[1,1,0] op_sel_hi:[0,1,1] neg_lo:[1,0,0]
	v_pk_fma_f32 v[12:13], v[58:59], v[68:69], v[12:13] op_sel:[1,1,0] op_sel_hi:[0,1,1] neg_lo:[1,0,0]
	s_delay_alu instid0(VALU_DEP_4) | instskip(NEXT) | instid1(VALU_DEP_4)
	v_pk_fma_f32 v[10:11], v[64:65], v[68:69], v[10:11] op_sel:[1,1,0] op_sel_hi:[0,1,1] neg_lo:[1,0,0]
	v_pk_fma_f32 v[0:1], v[66:67], v[68:69], v[0:1] op_sel:[1,1,0] op_sel_hi:[0,1,1] neg_lo:[1,0,0]
	s_and_not1_b32 exec_lo, exec_lo, s2
	s_cbranch_execnz .LBB90_11
; %bb.12:
	s_or_b32 exec_lo, exec_lo, s2
.LBB90_13:
	s_delay_alu instid0(SALU_CYCLE_1)
	s_or_b32 exec_lo, exec_lo, s3
.LBB90_14:
	v_mbcnt_lo_u32_b32 v14, -1, 0
	s_delay_alu instid0(VALU_DEP_1) | instskip(SKIP_1) | instid1(VALU_DEP_1)
	v_xor_b32_e32 v23, 2, v14
	v_xor_b32_e32 v15, 4, v14
	v_cmp_gt_i32_e32 vcc_lo, 32, v15
	v_cndmask_b32_e32 v15, v14, v15, vcc_lo
	s_delay_alu instid0(VALU_DEP_1)
	v_lshlrev_b32_e32 v15, 2, v15
	ds_bpermute_b32 v17, v15, v9
	s_wait_dscnt 0x0
	v_add_f32_e32 v9, v9, v17
	ds_bpermute_b32 v19, v15, v13
	ds_bpermute_b32 v16, v15, v8
	;; [unrolled: 1-line block ×7, first 2 shown]
	s_wait_dscnt 0x6
	v_add_f32_e32 v13, v13, v19
	v_cmp_gt_i32_e32 vcc_lo, 32, v23
	s_wait_dscnt 0x5
	v_add_f32_e32 v8, v8, v16
	s_wait_dscnt 0x4
	v_add_f32_e32 v12, v12, v18
	s_wait_dscnt 0x2
	v_dual_add_f32 v18, v0, v22 :: v_dual_add_f32 v16, v10, v20
	s_wait_dscnt 0x1
	v_dual_add_f32 v17, v11, v21 :: v_dual_cndmask_b32 v23, v14, v23, vcc_lo
	s_wait_dscnt 0x0
	v_add_f32_e32 v15, v1, v15
	s_delay_alu instid0(VALU_DEP_2)
	v_lshlrev_b32_e32 v23, 2, v23
	ds_bpermute_b32 v0, v23, v8
	ds_bpermute_b32 v1, v23, v9
	;; [unrolled: 1-line block ×8, first 2 shown]
	s_wait_dscnt 0x7
	v_dual_add_f32 v0, v8, v0 :: v_dual_bitop2_b32 v23, 1, v14 bitop3:0x14
	s_delay_alu instid0(VALU_DEP_1)
	v_cmp_gt_i32_e32 vcc_lo, 32, v23
	s_wait_dscnt 0x5
	v_dual_add_f32 v8, v9, v1 :: v_dual_add_f32 v10, v12, v10
	s_wait_dscnt 0x3
	v_add_f32_e32 v12, v16, v19
	v_add_f32_e32 v11, v13, v11
	s_wait_dscnt 0x2
	v_dual_cndmask_b32 v14, v14, v23 :: v_dual_add_f32 v13, v17, v20
	s_wait_dscnt 0x0
	v_dual_add_f32 v1, v18, v21 :: v_dual_add_f32 v9, v15, v22
	v_cmp_eq_u32_e32 vcc_lo, 7, v7
	s_delay_alu instid0(VALU_DEP_3)
	v_lshlrev_b32_e32 v23, 2, v14
	ds_bpermute_b32 v16, v23, v0
	ds_bpermute_b32 v17, v23, v8
	ds_bpermute_b32 v18, v23, v10
	ds_bpermute_b32 v19, v23, v11
	ds_bpermute_b32 v21, v23, v12
	ds_bpermute_b32 v22, v23, v13
	ds_bpermute_b32 v14, v23, v1
	ds_bpermute_b32 v15, v23, v9
	s_and_b32 exec_lo, exec_lo, vcc_lo
	s_cbranch_execz .LBB90_19
; %bb.15:
	s_load_b64 s[2:3], s[0:1], 0x38
	v_cmp_eq_f32_e32 vcc_lo, 0, v4
	s_wait_xcnt 0x0
	v_cmp_eq_f32_e64 s0, 0, v5
	s_wait_dscnt 0x7
	v_add_f32_e32 v0, v0, v16
	s_wait_dscnt 0x5
	v_dual_add_f32 v20, v8, v17 :: v_dual_add_f32 v8, v10, v18
	s_wait_dscnt 0x3
	v_dual_add_f32 v18, v11, v19 :: v_dual_add_f32 v10, v12, v21
	s_wait_dscnt 0x2
	v_add_f32_e32 v16, v13, v22
	s_wait_dscnt 0x1
	v_add_f32_e32 v12, v1, v14
	;; [unrolled: 2-line block ×3, first 2 shown]
	s_and_b32 s0, vcc_lo, s0
	s_delay_alu instid0(SALU_CYCLE_1) | instskip(NEXT) | instid1(SALU_CYCLE_1)
	s_and_saveexec_b32 s1, s0
	s_xor_b32 s0, exec_lo, s1
	s_cbranch_execz .LBB90_17
; %bb.16:
	v_xor_b32_e32 v4, 0x80000000, v3
	v_dual_mov_b32 v5, v2 :: v_dual_lshlrev_b32 v6, 2, v6
	s_delay_alu instid0(VALU_DEP_1) | instskip(NEXT) | instid1(VALU_DEP_2)
	v_ashrrev_i32_e32 v7, 31, v6
	v_pk_mul_f32 v[20:21], v[20:21], v[4:5] op_sel_hi:[0,1]
	v_pk_mul_f32 v[18:19], v[18:19], v[4:5] op_sel_hi:[0,1]
	;; [unrolled: 1-line block ×4, first 2 shown]
	s_wait_kmcnt 0x0
	v_lshl_add_u64 v[22:23], v[6:7], 3, s[2:3]
	v_pk_fma_f32 v[4:5], v[2:3], v[0:1], v[20:21] op_sel_hi:[1,0,1]
	v_pk_fma_f32 v[6:7], v[2:3], v[8:9], v[18:19] op_sel_hi:[1,0,1]
	;; [unrolled: 1-line block ×4, first 2 shown]
	s_clause 0x1
	global_store_b128 v[22:23], v[4:7], off
	global_store_b128 v[22:23], v[0:3], off offset:16
                                        ; implicit-def: $vgpr6
                                        ; implicit-def: $vgpr0
                                        ; implicit-def: $vgpr20
                                        ; implicit-def: $vgpr8
                                        ; implicit-def: $vgpr18
                                        ; implicit-def: $vgpr10
                                        ; implicit-def: $vgpr16
                                        ; implicit-def: $vgpr12
                                        ; implicit-def: $vgpr14
                                        ; implicit-def: $vgpr2_vgpr3
                                        ; implicit-def: $vgpr4_vgpr5
.LBB90_17:
	s_wait_xcnt 0x0
	s_and_not1_saveexec_b32 s0, s0
	s_cbranch_execz .LBB90_19
; %bb.18:
	v_lshlrev_b32_e32 v6, 2, v6
	v_xor_b32_e32 v32, 0x80000000, v5
	s_delay_alu instid0(VALU_DEP_2) | instskip(SKIP_1) | instid1(VALU_DEP_1)
	v_dual_mov_b32 v33, v4 :: v_dual_ashrrev_i32 v7, 31, v6
	s_wait_kmcnt 0x0
	v_lshl_add_u64 v[30:31], v[6:7], 3, s[2:3]
	v_xor_b32_e32 v6, 0x80000000, v3
	v_mov_b32_e32 v7, v2
	s_clause 0x1
	global_load_b128 v[22:25], v[30:31], off
	global_load_b128 v[26:29], v[30:31], off offset:16
	v_pk_mul_f32 v[20:21], v[20:21], v[6:7] op_sel_hi:[0,1]
	v_pk_mul_f32 v[18:19], v[18:19], v[6:7] op_sel_hi:[0,1]
	;; [unrolled: 1-line block ×4, first 2 shown]
	s_delay_alu instid0(VALU_DEP_4) | instskip(NEXT) | instid1(VALU_DEP_4)
	v_pk_fma_f32 v[0:1], v[2:3], v[0:1], v[20:21] op_sel_hi:[1,0,1]
	v_pk_fma_f32 v[8:9], v[2:3], v[8:9], v[18:19] op_sel_hi:[1,0,1]
	s_delay_alu instid0(VALU_DEP_4) | instskip(NEXT) | instid1(VALU_DEP_4)
	v_pk_fma_f32 v[10:11], v[2:3], v[10:11], v[16:17] op_sel_hi:[1,0,1]
	v_pk_fma_f32 v[2:3], v[2:3], v[12:13], v[6:7] op_sel_hi:[1,0,1]
	s_wait_loadcnt 0x1
	v_pk_fma_f32 v[0:1], v[4:5], v[22:23], v[0:1] op_sel_hi:[1,0,1]
	v_pk_fma_f32 v[6:7], v[4:5], v[24:25], v[8:9] op_sel_hi:[1,0,1]
	s_wait_loadcnt 0x0
	v_dual_mov_b32 v8, v25 :: v_dual_mov_b32 v14, v29
	v_pk_fma_f32 v[10:11], v[4:5], v[26:27], v[10:11] op_sel_hi:[1,0,1]
	v_pk_fma_f32 v[12:13], v[4:5], v[28:29], v[2:3] op_sel_hi:[1,0,1]
	v_pk_fma_f32 v[0:1], v[32:33], v[22:23], v[0:1] op_sel:[0,1,0]
	s_delay_alu instid0(VALU_DEP_4) | instskip(NEXT) | instid1(VALU_DEP_4)
	v_pk_fma_f32 v[2:3], v[32:33], v[8:9], v[6:7] op_sel_hi:[1,0,1]
	v_pk_fma_f32 v[4:5], v[32:33], v[26:27], v[10:11] op_sel:[0,1,0]
	s_delay_alu instid0(VALU_DEP_4)
	v_pk_fma_f32 v[6:7], v[32:33], v[14:15], v[12:13] op_sel_hi:[1,0,1]
	s_clause 0x1
	global_store_b128 v[30:31], v[0:3], off
	global_store_b128 v[30:31], v[4:7], off offset:16
.LBB90_19:
	s_sendmsg sendmsg(MSG_DEALLOC_VGPRS)
	s_endpgm
	.section	.rodata,"a",@progbits
	.p2align	6, 0x0
	.amdhsa_kernel _ZN9rocsparseL19gebsrmvn_4xn_kernelILj128ELj5ELj8E21rocsparse_complex_numIfEEEvi20rocsparse_direction_NS_24const_host_device_scalarIT2_EEPKiS8_PKS5_SA_S6_PS5_21rocsparse_index_base_b
		.amdhsa_group_segment_fixed_size 0
		.amdhsa_private_segment_fixed_size 0
		.amdhsa_kernarg_size 72
		.amdhsa_user_sgpr_count 2
		.amdhsa_user_sgpr_dispatch_ptr 0
		.amdhsa_user_sgpr_queue_ptr 0
		.amdhsa_user_sgpr_kernarg_segment_ptr 1
		.amdhsa_user_sgpr_dispatch_id 0
		.amdhsa_user_sgpr_kernarg_preload_length 0
		.amdhsa_user_sgpr_kernarg_preload_offset 0
		.amdhsa_user_sgpr_private_segment_size 0
		.amdhsa_wavefront_size32 1
		.amdhsa_uses_dynamic_stack 0
		.amdhsa_enable_private_segment 0
		.amdhsa_system_sgpr_workgroup_id_x 1
		.amdhsa_system_sgpr_workgroup_id_y 0
		.amdhsa_system_sgpr_workgroup_id_z 0
		.amdhsa_system_sgpr_workgroup_info 0
		.amdhsa_system_vgpr_workitem_id 0
		.amdhsa_next_free_vgpr 84
		.amdhsa_next_free_sgpr 14
		.amdhsa_named_barrier_count 0
		.amdhsa_reserve_vcc 1
		.amdhsa_float_round_mode_32 0
		.amdhsa_float_round_mode_16_64 0
		.amdhsa_float_denorm_mode_32 3
		.amdhsa_float_denorm_mode_16_64 3
		.amdhsa_fp16_overflow 0
		.amdhsa_memory_ordered 1
		.amdhsa_forward_progress 1
		.amdhsa_inst_pref_size 26
		.amdhsa_round_robin_scheduling 0
		.amdhsa_exception_fp_ieee_invalid_op 0
		.amdhsa_exception_fp_denorm_src 0
		.amdhsa_exception_fp_ieee_div_zero 0
		.amdhsa_exception_fp_ieee_overflow 0
		.amdhsa_exception_fp_ieee_underflow 0
		.amdhsa_exception_fp_ieee_inexact 0
		.amdhsa_exception_int_div_zero 0
	.end_amdhsa_kernel
	.section	.text._ZN9rocsparseL19gebsrmvn_4xn_kernelILj128ELj5ELj8E21rocsparse_complex_numIfEEEvi20rocsparse_direction_NS_24const_host_device_scalarIT2_EEPKiS8_PKS5_SA_S6_PS5_21rocsparse_index_base_b,"axG",@progbits,_ZN9rocsparseL19gebsrmvn_4xn_kernelILj128ELj5ELj8E21rocsparse_complex_numIfEEEvi20rocsparse_direction_NS_24const_host_device_scalarIT2_EEPKiS8_PKS5_SA_S6_PS5_21rocsparse_index_base_b,comdat
.Lfunc_end90:
	.size	_ZN9rocsparseL19gebsrmvn_4xn_kernelILj128ELj5ELj8E21rocsparse_complex_numIfEEEvi20rocsparse_direction_NS_24const_host_device_scalarIT2_EEPKiS8_PKS5_SA_S6_PS5_21rocsparse_index_base_b, .Lfunc_end90-_ZN9rocsparseL19gebsrmvn_4xn_kernelILj128ELj5ELj8E21rocsparse_complex_numIfEEEvi20rocsparse_direction_NS_24const_host_device_scalarIT2_EEPKiS8_PKS5_SA_S6_PS5_21rocsparse_index_base_b
                                        ; -- End function
	.set _ZN9rocsparseL19gebsrmvn_4xn_kernelILj128ELj5ELj8E21rocsparse_complex_numIfEEEvi20rocsparse_direction_NS_24const_host_device_scalarIT2_EEPKiS8_PKS5_SA_S6_PS5_21rocsparse_index_base_b.num_vgpr, 84
	.set _ZN9rocsparseL19gebsrmvn_4xn_kernelILj128ELj5ELj8E21rocsparse_complex_numIfEEEvi20rocsparse_direction_NS_24const_host_device_scalarIT2_EEPKiS8_PKS5_SA_S6_PS5_21rocsparse_index_base_b.num_agpr, 0
	.set _ZN9rocsparseL19gebsrmvn_4xn_kernelILj128ELj5ELj8E21rocsparse_complex_numIfEEEvi20rocsparse_direction_NS_24const_host_device_scalarIT2_EEPKiS8_PKS5_SA_S6_PS5_21rocsparse_index_base_b.numbered_sgpr, 14
	.set _ZN9rocsparseL19gebsrmvn_4xn_kernelILj128ELj5ELj8E21rocsparse_complex_numIfEEEvi20rocsparse_direction_NS_24const_host_device_scalarIT2_EEPKiS8_PKS5_SA_S6_PS5_21rocsparse_index_base_b.num_named_barrier, 0
	.set _ZN9rocsparseL19gebsrmvn_4xn_kernelILj128ELj5ELj8E21rocsparse_complex_numIfEEEvi20rocsparse_direction_NS_24const_host_device_scalarIT2_EEPKiS8_PKS5_SA_S6_PS5_21rocsparse_index_base_b.private_seg_size, 0
	.set _ZN9rocsparseL19gebsrmvn_4xn_kernelILj128ELj5ELj8E21rocsparse_complex_numIfEEEvi20rocsparse_direction_NS_24const_host_device_scalarIT2_EEPKiS8_PKS5_SA_S6_PS5_21rocsparse_index_base_b.uses_vcc, 1
	.set _ZN9rocsparseL19gebsrmvn_4xn_kernelILj128ELj5ELj8E21rocsparse_complex_numIfEEEvi20rocsparse_direction_NS_24const_host_device_scalarIT2_EEPKiS8_PKS5_SA_S6_PS5_21rocsparse_index_base_b.uses_flat_scratch, 1
	.set _ZN9rocsparseL19gebsrmvn_4xn_kernelILj128ELj5ELj8E21rocsparse_complex_numIfEEEvi20rocsparse_direction_NS_24const_host_device_scalarIT2_EEPKiS8_PKS5_SA_S6_PS5_21rocsparse_index_base_b.has_dyn_sized_stack, 0
	.set _ZN9rocsparseL19gebsrmvn_4xn_kernelILj128ELj5ELj8E21rocsparse_complex_numIfEEEvi20rocsparse_direction_NS_24const_host_device_scalarIT2_EEPKiS8_PKS5_SA_S6_PS5_21rocsparse_index_base_b.has_recursion, 0
	.set _ZN9rocsparseL19gebsrmvn_4xn_kernelILj128ELj5ELj8E21rocsparse_complex_numIfEEEvi20rocsparse_direction_NS_24const_host_device_scalarIT2_EEPKiS8_PKS5_SA_S6_PS5_21rocsparse_index_base_b.has_indirect_call, 0
	.section	.AMDGPU.csdata,"",@progbits
; Kernel info:
; codeLenInByte = 3224
; TotalNumSgprs: 16
; NumVgprs: 84
; ScratchSize: 0
; MemoryBound: 0
; FloatMode: 240
; IeeeMode: 1
; LDSByteSize: 0 bytes/workgroup (compile time only)
; SGPRBlocks: 0
; VGPRBlocks: 5
; NumSGPRsForWavesPerEU: 16
; NumVGPRsForWavesPerEU: 84
; NamedBarCnt: 0
; Occupancy: 10
; WaveLimiterHint : 1
; COMPUTE_PGM_RSRC2:SCRATCH_EN: 0
; COMPUTE_PGM_RSRC2:USER_SGPR: 2
; COMPUTE_PGM_RSRC2:TRAP_HANDLER: 0
; COMPUTE_PGM_RSRC2:TGID_X_EN: 1
; COMPUTE_PGM_RSRC2:TGID_Y_EN: 0
; COMPUTE_PGM_RSRC2:TGID_Z_EN: 0
; COMPUTE_PGM_RSRC2:TIDIG_COMP_CNT: 0
	.section	.text._ZN9rocsparseL19gebsrmvn_4xn_kernelILj128ELj5ELj16E21rocsparse_complex_numIfEEEvi20rocsparse_direction_NS_24const_host_device_scalarIT2_EEPKiS8_PKS5_SA_S6_PS5_21rocsparse_index_base_b,"axG",@progbits,_ZN9rocsparseL19gebsrmvn_4xn_kernelILj128ELj5ELj16E21rocsparse_complex_numIfEEEvi20rocsparse_direction_NS_24const_host_device_scalarIT2_EEPKiS8_PKS5_SA_S6_PS5_21rocsparse_index_base_b,comdat
	.globl	_ZN9rocsparseL19gebsrmvn_4xn_kernelILj128ELj5ELj16E21rocsparse_complex_numIfEEEvi20rocsparse_direction_NS_24const_host_device_scalarIT2_EEPKiS8_PKS5_SA_S6_PS5_21rocsparse_index_base_b ; -- Begin function _ZN9rocsparseL19gebsrmvn_4xn_kernelILj128ELj5ELj16E21rocsparse_complex_numIfEEEvi20rocsparse_direction_NS_24const_host_device_scalarIT2_EEPKiS8_PKS5_SA_S6_PS5_21rocsparse_index_base_b
	.p2align	8
	.type	_ZN9rocsparseL19gebsrmvn_4xn_kernelILj128ELj5ELj16E21rocsparse_complex_numIfEEEvi20rocsparse_direction_NS_24const_host_device_scalarIT2_EEPKiS8_PKS5_SA_S6_PS5_21rocsparse_index_base_b,@function
_ZN9rocsparseL19gebsrmvn_4xn_kernelILj128ELj5ELj16E21rocsparse_complex_numIfEEEvi20rocsparse_direction_NS_24const_host_device_scalarIT2_EEPKiS8_PKS5_SA_S6_PS5_21rocsparse_index_base_b: ; @_ZN9rocsparseL19gebsrmvn_4xn_kernelILj128ELj5ELj16E21rocsparse_complex_numIfEEEvi20rocsparse_direction_NS_24const_host_device_scalarIT2_EEPKiS8_PKS5_SA_S6_PS5_21rocsparse_index_base_b
; %bb.0:
	s_clause 0x2
	s_load_b64 s[12:13], s[0:1], 0x40
	s_load_b64 s[2:3], s[0:1], 0x8
	;; [unrolled: 1-line block ×3, first 2 shown]
	v_mov_b32_e32 v1, 0
	s_add_nc_u64 s[6:7], s[0:1], 8
	s_add_nc_u64 s[8:9], s[0:1], 48
	s_wait_kmcnt 0x0
	s_bitcmp1_b32 s13, 0
	s_cselect_b32 s3, s7, s3
	s_cselect_b32 s2, s6, s2
	;; [unrolled: 1-line block ×4, first 2 shown]
	s_clause 0x1
	flat_load_b64 v[2:3], v1, s[2:3]
	flat_load_b64 v[4:5], v1, s[4:5]
	s_wait_loadcnt_dscnt 0x101
	v_cmp_eq_f32_e32 vcc_lo, 0, v2
	v_cmp_eq_f32_e64 s2, 0, v3
	s_wait_loadcnt_dscnt 0x0
	v_cmp_eq_f32_e64 s3, 1.0, v4
	v_cmp_eq_f32_e64 s4, 0, v5
	s_and_b32 s2, vcc_lo, s2
	s_and_b32 s3, s3, s4
	s_delay_alu instid0(SALU_CYCLE_1) | instskip(NEXT) | instid1(SALU_CYCLE_1)
	s_and_b32 s2, s2, s3
	s_xor_b32 s2, s2, -1
	s_delay_alu instid0(SALU_CYCLE_1)
	s_and_saveexec_b32 s3, s2
	s_cbranch_execz .LBB91_19
; %bb.1:
	s_load_b64 s[2:3], s[0:1], 0x0
	s_bfe_u32 s4, ttmp6, 0x4000c
	s_and_b32 s5, ttmp6, 15
	s_add_co_i32 s4, s4, 1
	s_getreg_b32 s6, hwreg(HW_REG_IB_STS2, 6, 4)
	s_mul_i32 s4, ttmp9, s4
	v_lshrrev_b32_e32 v1, 4, v0
	s_add_co_i32 s5, s5, s4
	s_cmp_eq_u32 s6, 0
	s_cselect_b32 s4, ttmp9, s5
	s_delay_alu instid0(VALU_DEP_1) | instid1(SALU_CYCLE_1)
	v_lshl_or_b32 v6, s4, 3, v1
	s_wait_kmcnt 0x0
	s_delay_alu instid0(VALU_DEP_1)
	v_cmp_gt_i32_e32 vcc_lo, s2, v6
	s_and_b32 exec_lo, exec_lo, vcc_lo
	s_cbranch_execz .LBB91_19
; %bb.2:
	s_load_b256 s[4:11], s[0:1], 0x10
	v_ashrrev_i32_e32 v7, 31, v6
	s_cmp_lg_u32 s3, 0
	s_wait_kmcnt 0x0
	s_delay_alu instid0(VALU_DEP_1)
	v_lshl_add_u64 v[8:9], v[6:7], 2, s[4:5]
	v_and_b32_e32 v7, 15, v0
	global_load_b64 v[8:9], v[8:9], off
	s_wait_loadcnt 0x0
	v_subrev_nc_u32_e32 v0, s12, v8
	v_subrev_nc_u32_e32 v18, s12, v9
	s_delay_alu instid0(VALU_DEP_2) | instskip(NEXT) | instid1(VALU_DEP_1)
	v_add_nc_u32_e32 v19, v0, v7
	v_cmp_lt_i32_e64 s2, v19, v18
	s_cbranch_scc0 .LBB91_8
; %bb.3:
	v_mov_b32_e32 v9, 0
	s_delay_alu instid0(VALU_DEP_1)
	v_dual_mov_b32 v8, v9 :: v_dual_mov_b32 v1, v9
	v_dual_mov_b32 v0, v9 :: v_dual_mov_b32 v11, v9
	;; [unrolled: 1-line block ×3, first 2 shown]
	v_mov_b32_e32 v12, v9
	s_and_saveexec_b32 s3, s2
	s_cbranch_execz .LBB91_7
; %bb.4:
	v_mad_u32 v16, v19, 20, 16
	v_dual_mov_b32 v15, 0 :: v_dual_mov_b32 v20, v19
	s_mov_b32 s4, 0
	s_delay_alu instid0(VALU_DEP_1)
	v_dual_mov_b32 v12, v15 :: v_dual_mov_b32 v13, v15
	v_dual_mov_b32 v10, v15 :: v_dual_mov_b32 v11, v15
	v_dual_mov_b32 v0, v15 :: v_dual_mov_b32 v1, v15
	v_dual_mov_b32 v8, v15 :: v_dual_mov_b32 v9, v15
.LBB91_5:                               ; =>This Inner Loop Header: Depth=1
	global_load_b32 v21, v20, s[6:7] scale_offset
	v_dual_mov_b32 v17, v15 :: v_dual_add_nc_u32 v14, -16, v16
	s_wait_xcnt 0x0
	v_add_nc_u32_e32 v20, 16, v20
	s_delay_alu instid0(VALU_DEP_2) | instskip(NEXT) | instid1(VALU_DEP_3)
	v_lshl_add_u64 v[34:35], v[14:15], 3, s[8:9]
	v_lshl_add_u64 v[62:63], v[16:17], 3, s[8:9]
	s_clause 0x2
	global_load_b128 v[22:25], v[34:35], off offset:16
	global_load_b128 v[26:29], v[34:35], off
	global_load_b128 v[30:33], v[62:63], off
	v_cmp_ge_i32_e32 vcc_lo, v20, v18
	s_or_b32 s4, vcc_lo, s4
	s_wait_loadcnt 0x3
	v_subrev_nc_u32_e32 v17, s12, v21
	s_delay_alu instid0(VALU_DEP_1) | instskip(SKIP_3) | instid1(VALU_DEP_3)
	v_lshl_add_u32 v17, v17, 2, v17
	v_add_nc_u32_e32 v14, -12, v16
	s_wait_loadcnt 0x2
	v_xor_b32_e32 v76, 0x80000000, v25
	v_add_nc_u32_e32 v21, 2, v17
	s_delay_alu instid0(VALU_DEP_3) | instskip(SKIP_3) | instid1(VALU_DEP_2)
	v_lshl_add_u64 v[50:51], v[14:15], 3, s[8:9]
	s_wait_loadcnt 0x0
	v_dual_mov_b32 v75, v32 :: v_dual_add_nc_u32 v14, -8, v16
	v_xor_b32_e32 v74, 0x80000000, v33
	v_lshl_add_u64 v[52:53], v[14:15], 3, s[8:9]
	s_clause 0x3
	global_load_b128 v[34:37], v[50:51], off offset:16
	global_load_b128 v[38:41], v[50:51], off
	global_load_b128 v[42:45], v[52:53], off offset:16
	global_load_b128 v[46:49], v[52:53], off
	global_load_b64 v[64:65], v17, s[10:11] scale_offset
	v_dual_mov_b32 v77, v24 :: v_dual_add_nc_u32 v14, -4, v16
	v_add_nc_u32_e32 v16, 0x140, v16
	s_delay_alu instid0(VALU_DEP_2)
	v_lshl_add_u64 v[58:59], v[14:15], 3, s[8:9]
	v_add_nc_u32_e32 v14, 1, v17
	global_load_b64 v[66:67], v14, s[10:11] scale_offset
	global_load_b128 v[50:53], v[58:59], off
	global_load_b64 v[68:69], v21, s[10:11] scale_offset
	global_load_b128 v[54:57], v[58:59], off offset:16
	s_wait_xcnt 0x3
	v_dual_add_nc_u32 v14, 3, v17 :: v_dual_add_nc_u32 v17, 4, v17
	global_load_b64 v[70:71], v14, s[10:11] scale_offset
	global_load_b128 v[58:61], v[62:63], off offset:16
	global_load_b64 v[72:73], v17, s[10:11] scale_offset
	s_wait_xcnt 0x1
	v_xor_b32_e32 v62, 0x80000000, v29
	v_mov_b32_e32 v63, v28
	s_wait_loadcnt 0xb
	v_xor_b32_e32 v80, 0x80000000, v37
	s_wait_loadcnt 0xa
	v_mov_b32_e32 v79, v40
	v_xor_b32_e32 v78, 0x80000000, v41
	s_wait_loadcnt 0x8
	v_dual_mov_b32 v81, v36 :: v_dual_mov_b32 v83, v48
	s_wait_loadcnt 0x7
	v_pk_fma_f32 v[8:9], v[26:27], v[64:65], v[8:9] op_sel_hi:[1,0,1]
	v_pk_fma_f32 v[12:13], v[28:29], v[64:65], v[12:13] op_sel_hi:[1,0,1]
	;; [unrolled: 1-line block ×4, first 2 shown]
	v_xor_b32_e32 v82, 0x80000000, v49
	v_pk_fma_f32 v[8:9], v[26:27], v[64:65], v[8:9] op_sel:[1,1,0] op_sel_hi:[0,1,1] neg_lo:[1,0,0]
	v_pk_fma_f32 v[12:13], v[62:63], v[64:65], v[12:13] op_sel:[0,1,0]
	v_pk_fma_f32 v[10:11], v[22:23], v[64:65], v[10:11] op_sel:[1,1,0] op_sel_hi:[0,1,1] neg_lo:[1,0,0]
	v_pk_fma_f32 v[0:1], v[76:77], v[64:65], v[0:1] op_sel:[0,1,0]
	v_xor_b32_e32 v24, 0x80000000, v45
	s_wait_loadcnt 0x6
	v_pk_fma_f32 v[8:9], v[38:39], v[66:67], v[8:9] op_sel_hi:[1,0,1]
	v_pk_fma_f32 v[12:13], v[40:41], v[66:67], v[12:13] op_sel_hi:[1,0,1]
	;; [unrolled: 1-line block ×4, first 2 shown]
	s_wait_loadcnt 0x5
	v_dual_mov_b32 v25, v44 :: v_dual_mov_b32 v23, v52
	v_pk_fma_f32 v[8:9], v[38:39], v[66:67], v[8:9] op_sel:[1,1,0] op_sel_hi:[0,1,1] neg_lo:[1,0,0]
	v_pk_fma_f32 v[12:13], v[78:79], v[66:67], v[12:13] op_sel:[0,1,0]
	v_pk_fma_f32 v[10:11], v[34:35], v[66:67], v[10:11] op_sel:[1,1,0] op_sel_hi:[0,1,1] neg_lo:[1,0,0]
	v_pk_fma_f32 v[0:1], v[80:81], v[66:67], v[0:1] op_sel:[0,1,0]
	v_xor_b32_e32 v22, 0x80000000, v53
	s_wait_loadcnt 0x4
	v_pk_fma_f32 v[8:9], v[46:47], v[68:69], v[8:9] op_sel_hi:[1,0,1]
	v_pk_fma_f32 v[12:13], v[48:49], v[68:69], v[12:13] op_sel_hi:[1,0,1]
	;; [unrolled: 1-line block ×4, first 2 shown]
	s_wait_loadcnt 0x3
	v_xor_b32_e32 v26, 0x80000000, v57
	v_pk_fma_f32 v[8:9], v[46:47], v[68:69], v[8:9] op_sel:[1,1,0] op_sel_hi:[0,1,1] neg_lo:[1,0,0]
	v_pk_fma_f32 v[12:13], v[82:83], v[68:69], v[12:13] op_sel:[0,1,0]
	v_pk_fma_f32 v[10:11], v[42:43], v[68:69], v[10:11] op_sel:[1,1,0] op_sel_hi:[0,1,1] neg_lo:[1,0,0]
	v_pk_fma_f32 v[0:1], v[24:25], v[68:69], v[0:1] op_sel:[0,1,0]
	s_wait_loadcnt 0x1
	v_dual_mov_b32 v27, v56 :: v_dual_mov_b32 v25, v60
	v_pk_fma_f32 v[8:9], v[50:51], v[70:71], v[8:9] op_sel_hi:[1,0,1]
	v_pk_fma_f32 v[12:13], v[52:53], v[70:71], v[12:13] op_sel_hi:[1,0,1]
	;; [unrolled: 1-line block ×4, first 2 shown]
	v_xor_b32_e32 v24, 0x80000000, v61
	v_pk_fma_f32 v[8:9], v[50:51], v[70:71], v[8:9] op_sel:[1,1,0] op_sel_hi:[0,1,1] neg_lo:[1,0,0]
	v_pk_fma_f32 v[12:13], v[22:23], v[70:71], v[12:13] op_sel:[0,1,0]
	v_pk_fma_f32 v[10:11], v[54:55], v[70:71], v[10:11] op_sel:[1,1,0] op_sel_hi:[0,1,1] neg_lo:[1,0,0]
	v_pk_fma_f32 v[0:1], v[26:27], v[70:71], v[0:1] op_sel:[0,1,0]
	s_wait_loadcnt 0x0
	v_pk_fma_f32 v[8:9], v[30:31], v[72:73], v[8:9] op_sel_hi:[1,0,1]
	v_pk_fma_f32 v[12:13], v[32:33], v[72:73], v[12:13] op_sel_hi:[1,0,1]
	;; [unrolled: 1-line block ×4, first 2 shown]
	s_delay_alu instid0(VALU_DEP_4) | instskip(NEXT) | instid1(VALU_DEP_4)
	v_pk_fma_f32 v[8:9], v[30:31], v[72:73], v[8:9] op_sel:[1,1,0] op_sel_hi:[0,1,1] neg_lo:[1,0,0]
	v_pk_fma_f32 v[12:13], v[74:75], v[72:73], v[12:13] op_sel:[0,1,0]
	s_delay_alu instid0(VALU_DEP_4) | instskip(NEXT) | instid1(VALU_DEP_4)
	v_pk_fma_f32 v[10:11], v[58:59], v[72:73], v[10:11] op_sel:[1,1,0] op_sel_hi:[0,1,1] neg_lo:[1,0,0]
	v_pk_fma_f32 v[0:1], v[24:25], v[72:73], v[0:1] op_sel:[0,1,0]
	s_and_not1_b32 exec_lo, exec_lo, s4
	s_cbranch_execnz .LBB91_5
; %bb.6:
	s_or_b32 exec_lo, exec_lo, s4
.LBB91_7:
	s_delay_alu instid0(SALU_CYCLE_1)
	s_or_b32 exec_lo, exec_lo, s3
	s_cbranch_execz .LBB91_9
	s_branch .LBB91_14
.LBB91_8:
                                        ; implicit-def: $vgpr9
                                        ; implicit-def: $vgpr1
                                        ; implicit-def: $vgpr11
                                        ; implicit-def: $vgpr13
.LBB91_9:
	v_mov_b32_e32 v9, 0
	s_delay_alu instid0(VALU_DEP_1)
	v_dual_mov_b32 v8, v9 :: v_dual_mov_b32 v1, v9
	v_dual_mov_b32 v0, v9 :: v_dual_mov_b32 v11, v9
	;; [unrolled: 1-line block ×3, first 2 shown]
	v_mov_b32_e32 v12, v9
	s_and_saveexec_b32 s3, s2
	s_cbranch_execz .LBB91_13
; %bb.10:
	v_mad_u32 v16, v19, 20, 19
	v_mov_b32_e32 v15, 0
	s_mov_b32 s2, 0
	s_delay_alu instid0(VALU_DEP_1)
	v_dual_mov_b32 v12, v15 :: v_dual_mov_b32 v13, v15
	v_dual_mov_b32 v10, v15 :: v_dual_mov_b32 v11, v15
	;; [unrolled: 1-line block ×4, first 2 shown]
.LBB91_11:                              ; =>This Inner Loop Header: Depth=1
	global_load_b32 v17, v19, s[6:7] scale_offset
	v_subrev_nc_u32_e32 v14, 19, v16
	v_dual_add_nc_u32 v26, -6, v16 :: v_dual_add_nc_u32 v27, -15, v16
	v_dual_add_nc_u32 v60, -2, v16 :: v_dual_add_nc_u32 v25, -11, v16
	s_delay_alu instid0(VALU_DEP_3)
	v_lshl_add_u64 v[28:29], v[14:15], 3, s[8:9]
	v_dual_add_nc_u32 v24, -8, v16 :: v_dual_add_nc_u32 v50, -3, v16
	v_dual_add_nc_u32 v20, -14, v16 :: v_dual_add_nc_u32 v21, -9, v16
	;; [unrolled: 1-line block ×3, first 2 shown]
	s_clause 0x8
	global_load_b64 v[30:31], v27, s[8:9] scale_offset
	global_load_b64 v[32:33], v25, s[8:9] scale_offset
	;; [unrolled: 1-line block ×8, first 2 shown]
	global_load_b128 v[20:23], v[28:29], off offset:16
	v_dual_add_nc_u32 v54, -12, v16 :: v_dual_add_nc_u32 v55, -7, v16
	v_dual_add_nc_u32 v66, -1, v16 :: v_dual_add_nc_u32 v61, -10, v16
	v_add_nc_u32_e32 v19, 16, v19
	s_delay_alu instid0(VALU_DEP_1) | instskip(SKIP_3) | instid1(VALU_DEP_1)
	v_cmp_ge_i32_e32 vcc_lo, v19, v18
	s_or_b32 s2, vcc_lo, s2
	s_wait_loadcnt 0x9
	v_subrev_nc_u32_e32 v14, s12, v17
	v_lshl_add_u32 v14, v14, 2, v14
	global_load_b128 v[24:27], v[28:29], off
	global_load_b64 v[46:47], v14, s[10:11] scale_offset
	global_load_b64 v[48:49], v50, s[8:9] scale_offset
	v_dual_add_nc_u32 v67, -5, v16 :: v_dual_add_nc_u32 v17, 1, v14
	global_load_b64 v[28:29], v54, s[8:9] scale_offset
	global_load_b64 v[50:51], v17, s[10:11] scale_offset
	;; [unrolled: 1-line block ×3, first 2 shown]
	s_wait_xcnt 0x1
	v_add_nc_u32_e32 v17, 2, v14
	global_load_b64 v[54:55], v60, s[8:9] scale_offset
	global_load_b64 v[56:57], v17, s[10:11] scale_offset
	;; [unrolled: 1-line block ×3, first 2 shown]
	s_wait_xcnt 0x1
	v_dual_add_nc_u32 v17, 3, v14 :: v_dual_add_nc_u32 v14, 4, v14
	s_wait_loadcnt 0x8
	v_mov_b32_e32 v71, v26
	global_load_b64 v[60:61], v66, s[8:9] scale_offset
	global_load_b64 v[62:63], v17, s[10:11] scale_offset
	s_clause 0x1
	global_load_b64 v[64:65], v67, s[8:9] scale_offset
	global_load_b64 v[66:67], v16, s[8:9] scale_offset
	;; [unrolled: 1-line block ×3, first 2 shown]
	s_wait_loadcnt 0xc
	v_pk_fma_f32 v[8:9], v[24:25], v[46:47], v[8:9] op_sel_hi:[1,0,1]
	v_pk_fma_f32 v[12:13], v[36:37], v[46:47], v[12:13] op_sel_hi:[1,0,1]
	;; [unrolled: 1-line block ×4, first 2 shown]
	v_xor_b32_e32 v70, 0x80000000, v27
	v_pk_fma_f32 v[8:9], v[24:25], v[46:47], v[8:9] op_sel:[1,1,0] op_sel_hi:[0,1,1] neg_lo:[1,0,0]
	v_pk_fma_f32 v[12:13], v[36:37], v[46:47], v[12:13] op_sel:[1,1,0] op_sel_hi:[0,1,1] neg_lo:[1,0,0]
	;; [unrolled: 1-line block ×4, first 2 shown]
	v_xor_b32_e32 v24, 0x80000000, v23
	s_wait_loadcnt 0x9
	v_pk_fma_f32 v[8:9], v[26:27], v[50:51], v[8:9] op_sel_hi:[1,0,1]
	v_pk_fma_f32 v[12:13], v[42:43], v[50:51], v[12:13] op_sel_hi:[1,0,1]
	;; [unrolled: 1-line block ×4, first 2 shown]
	v_mov_b32_e32 v25, v22
	v_pk_fma_f32 v[8:9], v[70:71], v[50:51], v[8:9] op_sel:[0,1,0]
	v_pk_fma_f32 v[12:13], v[42:43], v[50:51], v[12:13] op_sel:[1,1,0] op_sel_hi:[0,1,1] neg_lo:[1,0,0]
	v_pk_fma_f32 v[10:11], v[44:45], v[50:51], v[10:11] op_sel:[1,1,0] op_sel_hi:[0,1,1] neg_lo:[1,0,0]
	;; [unrolled: 1-line block ×3, first 2 shown]
	s_wait_xcnt 0x1
	v_add_nc_u32_e32 v16, 0x140, v16
	s_wait_loadcnt 0x6
	v_pk_fma_f32 v[8:9], v[20:21], v[56:57], v[8:9] op_sel_hi:[1,0,1]
	v_pk_fma_f32 v[12:13], v[28:29], v[56:57], v[12:13] op_sel_hi:[1,0,1]
	;; [unrolled: 1-line block ×4, first 2 shown]
	s_delay_alu instid0(VALU_DEP_4) | instskip(NEXT) | instid1(VALU_DEP_4)
	v_pk_fma_f32 v[8:9], v[20:21], v[56:57], v[8:9] op_sel:[1,1,0] op_sel_hi:[0,1,1] neg_lo:[1,0,0]
	v_pk_fma_f32 v[12:13], v[28:29], v[56:57], v[12:13] op_sel:[1,1,0] op_sel_hi:[0,1,1] neg_lo:[1,0,0]
	s_delay_alu instid0(VALU_DEP_4) | instskip(NEXT) | instid1(VALU_DEP_4)
	v_pk_fma_f32 v[10:11], v[52:53], v[56:57], v[10:11] op_sel:[1,1,0] op_sel_hi:[0,1,1] neg_lo:[1,0,0]
	v_pk_fma_f32 v[0:1], v[54:55], v[56:57], v[0:1] op_sel:[1,1,0] op_sel_hi:[0,1,1] neg_lo:[1,0,0]
	s_wait_loadcnt 0x3
	v_pk_fma_f32 v[8:9], v[22:23], v[62:63], v[8:9] op_sel_hi:[1,0,1]
	v_pk_fma_f32 v[12:13], v[32:33], v[62:63], v[12:13] op_sel_hi:[1,0,1]
	;; [unrolled: 1-line block ×4, first 2 shown]
	s_delay_alu instid0(VALU_DEP_4) | instskip(NEXT) | instid1(VALU_DEP_4)
	v_pk_fma_f32 v[8:9], v[24:25], v[62:63], v[8:9] op_sel:[0,1,0]
	v_pk_fma_f32 v[12:13], v[32:33], v[62:63], v[12:13] op_sel:[1,1,0] op_sel_hi:[0,1,1] neg_lo:[1,0,0]
	s_delay_alu instid0(VALU_DEP_4) | instskip(NEXT) | instid1(VALU_DEP_4)
	v_pk_fma_f32 v[10:11], v[34:35], v[62:63], v[10:11] op_sel:[1,1,0] op_sel_hi:[0,1,1] neg_lo:[1,0,0]
	v_pk_fma_f32 v[0:1], v[60:61], v[62:63], v[0:1] op_sel:[1,1,0] op_sel_hi:[0,1,1] neg_lo:[1,0,0]
	s_wait_loadcnt 0x0
	v_pk_fma_f32 v[8:9], v[30:31], v[68:69], v[8:9] op_sel_hi:[1,0,1]
	v_pk_fma_f32 v[12:13], v[58:59], v[68:69], v[12:13] op_sel_hi:[1,0,1]
	;; [unrolled: 1-line block ×4, first 2 shown]
	s_delay_alu instid0(VALU_DEP_4) | instskip(NEXT) | instid1(VALU_DEP_4)
	v_pk_fma_f32 v[8:9], v[30:31], v[68:69], v[8:9] op_sel:[1,1,0] op_sel_hi:[0,1,1] neg_lo:[1,0,0]
	v_pk_fma_f32 v[12:13], v[58:59], v[68:69], v[12:13] op_sel:[1,1,0] op_sel_hi:[0,1,1] neg_lo:[1,0,0]
	s_delay_alu instid0(VALU_DEP_4) | instskip(NEXT) | instid1(VALU_DEP_4)
	v_pk_fma_f32 v[10:11], v[64:65], v[68:69], v[10:11] op_sel:[1,1,0] op_sel_hi:[0,1,1] neg_lo:[1,0,0]
	v_pk_fma_f32 v[0:1], v[66:67], v[68:69], v[0:1] op_sel:[1,1,0] op_sel_hi:[0,1,1] neg_lo:[1,0,0]
	s_and_not1_b32 exec_lo, exec_lo, s2
	s_cbranch_execnz .LBB91_11
; %bb.12:
	s_or_b32 exec_lo, exec_lo, s2
.LBB91_13:
	s_delay_alu instid0(SALU_CYCLE_1)
	s_or_b32 exec_lo, exec_lo, s3
.LBB91_14:
	v_mbcnt_lo_u32_b32 v14, -1, 0
	s_delay_alu instid0(VALU_DEP_1) | instskip(SKIP_1) | instid1(VALU_DEP_1)
	v_xor_b32_e32 v23, 4, v14
	v_xor_b32_e32 v15, 8, v14
	v_cmp_gt_i32_e32 vcc_lo, 32, v15
	v_cndmask_b32_e32 v15, v14, v15, vcc_lo
	s_delay_alu instid0(VALU_DEP_1)
	v_lshlrev_b32_e32 v15, 2, v15
	ds_bpermute_b32 v17, v15, v9
	s_wait_dscnt 0x0
	v_add_f32_e32 v9, v9, v17
	ds_bpermute_b32 v19, v15, v13
	ds_bpermute_b32 v16, v15, v8
	;; [unrolled: 1-line block ×7, first 2 shown]
	s_wait_dscnt 0x6
	v_add_f32_e32 v13, v13, v19
	v_cmp_gt_i32_e32 vcc_lo, 32, v23
	s_wait_dscnt 0x5
	v_add_f32_e32 v8, v8, v16
	s_wait_dscnt 0x2
	v_dual_add_f32 v10, v10, v20 :: v_dual_add_f32 v11, v11, v21
	s_wait_dscnt 0x0
	v_dual_add_f32 v0, v0, v22 :: v_dual_add_f32 v1, v1, v15
	v_dual_cndmask_b32 v23, v14, v23 :: v_dual_add_f32 v12, v12, v18
	s_delay_alu instid0(VALU_DEP_1)
	v_lshlrev_b32_e32 v23, 2, v23
	ds_bpermute_b32 v15, v23, v8
	ds_bpermute_b32 v16, v23, v9
	;; [unrolled: 1-line block ×8, first 2 shown]
	s_wait_dscnt 0x7
	v_dual_add_f32 v8, v8, v15 :: v_dual_bitop2_b32 v23, 2, v14 bitop3:0x14
	s_delay_alu instid0(VALU_DEP_1)
	v_cmp_gt_i32_e32 vcc_lo, 32, v23
	s_wait_dscnt 0x6
	v_add_f32_e32 v9, v9, v16
	s_wait_dscnt 0x3
	v_dual_add_f32 v13, v13, v18 :: v_dual_add_f32 v15, v10, v19
	s_wait_dscnt 0x2
	v_dual_add_f32 v16, v11, v20 :: v_dual_cndmask_b32 v23, v14, v23
	v_add_f32_e32 v12, v12, v17
	s_wait_dscnt 0x0
	v_dual_add_f32 v17, v0, v21 :: v_dual_add_f32 v18, v1, v22
	s_delay_alu instid0(VALU_DEP_3)
	v_lshlrev_b32_e32 v23, 2, v23
	ds_bpermute_b32 v0, v23, v8
	ds_bpermute_b32 v1, v23, v9
	;; [unrolled: 1-line block ×8, first 2 shown]
	s_wait_dscnt 0x7
	v_dual_add_f32 v0, v8, v0 :: v_dual_bitop2_b32 v23, 1, v14 bitop3:0x14
	s_delay_alu instid0(VALU_DEP_1)
	v_cmp_gt_i32_e32 vcc_lo, 32, v23
	s_wait_dscnt 0x4
	v_dual_add_f32 v10, v12, v10 :: v_dual_add_f32 v11, v13, v11
	s_wait_dscnt 0x2
	v_dual_add_f32 v12, v15, v19 :: v_dual_add_f32 v13, v16, v20
	v_dual_cndmask_b32 v14, v14, v23, vcc_lo :: v_dual_add_f32 v8, v9, v1
	s_wait_dscnt 0x0
	v_dual_add_f32 v1, v17, v21 :: v_dual_add_f32 v9, v18, v22
	v_cmp_eq_u32_e32 vcc_lo, 15, v7
	s_delay_alu instid0(VALU_DEP_3)
	v_lshlrev_b32_e32 v23, 2, v14
	ds_bpermute_b32 v16, v23, v0
	ds_bpermute_b32 v17, v23, v8
	;; [unrolled: 1-line block ×8, first 2 shown]
	s_and_b32 exec_lo, exec_lo, vcc_lo
	s_cbranch_execz .LBB91_19
; %bb.15:
	s_load_b64 s[2:3], s[0:1], 0x38
	v_cmp_eq_f32_e32 vcc_lo, 0, v4
	s_wait_xcnt 0x0
	v_cmp_eq_f32_e64 s0, 0, v5
	s_wait_dscnt 0x7
	v_add_f32_e32 v0, v0, v16
	s_wait_dscnt 0x5
	v_dual_add_f32 v20, v8, v17 :: v_dual_add_f32 v8, v10, v18
	s_wait_dscnt 0x3
	v_dual_add_f32 v18, v11, v19 :: v_dual_add_f32 v10, v12, v21
	s_wait_dscnt 0x2
	v_add_f32_e32 v16, v13, v22
	s_wait_dscnt 0x1
	v_add_f32_e32 v12, v1, v14
	;; [unrolled: 2-line block ×3, first 2 shown]
	s_and_b32 s0, vcc_lo, s0
	s_delay_alu instid0(SALU_CYCLE_1) | instskip(NEXT) | instid1(SALU_CYCLE_1)
	s_and_saveexec_b32 s1, s0
	s_xor_b32 s0, exec_lo, s1
	s_cbranch_execz .LBB91_17
; %bb.16:
	v_xor_b32_e32 v4, 0x80000000, v3
	v_dual_mov_b32 v5, v2 :: v_dual_lshlrev_b32 v6, 2, v6
	s_delay_alu instid0(VALU_DEP_1) | instskip(NEXT) | instid1(VALU_DEP_2)
	v_ashrrev_i32_e32 v7, 31, v6
	v_pk_mul_f32 v[20:21], v[20:21], v[4:5] op_sel_hi:[0,1]
	v_pk_mul_f32 v[18:19], v[18:19], v[4:5] op_sel_hi:[0,1]
	;; [unrolled: 1-line block ×4, first 2 shown]
	s_wait_kmcnt 0x0
	v_lshl_add_u64 v[22:23], v[6:7], 3, s[2:3]
	v_pk_fma_f32 v[4:5], v[2:3], v[0:1], v[20:21] op_sel_hi:[1,0,1]
	v_pk_fma_f32 v[6:7], v[2:3], v[8:9], v[18:19] op_sel_hi:[1,0,1]
	;; [unrolled: 1-line block ×4, first 2 shown]
	s_clause 0x1
	global_store_b128 v[22:23], v[4:7], off
	global_store_b128 v[22:23], v[0:3], off offset:16
                                        ; implicit-def: $vgpr6
                                        ; implicit-def: $vgpr0
                                        ; implicit-def: $vgpr20
                                        ; implicit-def: $vgpr8
                                        ; implicit-def: $vgpr18
                                        ; implicit-def: $vgpr10
                                        ; implicit-def: $vgpr16
                                        ; implicit-def: $vgpr12
                                        ; implicit-def: $vgpr14
                                        ; implicit-def: $vgpr2_vgpr3
                                        ; implicit-def: $vgpr4_vgpr5
.LBB91_17:
	s_wait_xcnt 0x0
	s_and_not1_saveexec_b32 s0, s0
	s_cbranch_execz .LBB91_19
; %bb.18:
	v_lshlrev_b32_e32 v6, 2, v6
	v_xor_b32_e32 v32, 0x80000000, v5
	s_delay_alu instid0(VALU_DEP_2) | instskip(SKIP_1) | instid1(VALU_DEP_1)
	v_dual_mov_b32 v33, v4 :: v_dual_ashrrev_i32 v7, 31, v6
	s_wait_kmcnt 0x0
	v_lshl_add_u64 v[30:31], v[6:7], 3, s[2:3]
	v_xor_b32_e32 v6, 0x80000000, v3
	v_mov_b32_e32 v7, v2
	s_clause 0x1
	global_load_b128 v[22:25], v[30:31], off
	global_load_b128 v[26:29], v[30:31], off offset:16
	v_pk_mul_f32 v[20:21], v[20:21], v[6:7] op_sel_hi:[0,1]
	v_pk_mul_f32 v[18:19], v[18:19], v[6:7] op_sel_hi:[0,1]
	;; [unrolled: 1-line block ×4, first 2 shown]
	s_delay_alu instid0(VALU_DEP_4) | instskip(NEXT) | instid1(VALU_DEP_4)
	v_pk_fma_f32 v[0:1], v[2:3], v[0:1], v[20:21] op_sel_hi:[1,0,1]
	v_pk_fma_f32 v[8:9], v[2:3], v[8:9], v[18:19] op_sel_hi:[1,0,1]
	s_delay_alu instid0(VALU_DEP_4) | instskip(NEXT) | instid1(VALU_DEP_4)
	v_pk_fma_f32 v[10:11], v[2:3], v[10:11], v[16:17] op_sel_hi:[1,0,1]
	v_pk_fma_f32 v[2:3], v[2:3], v[12:13], v[6:7] op_sel_hi:[1,0,1]
	s_wait_loadcnt 0x1
	v_pk_fma_f32 v[0:1], v[4:5], v[22:23], v[0:1] op_sel_hi:[1,0,1]
	v_pk_fma_f32 v[6:7], v[4:5], v[24:25], v[8:9] op_sel_hi:[1,0,1]
	s_wait_loadcnt 0x0
	v_dual_mov_b32 v8, v25 :: v_dual_mov_b32 v14, v29
	v_pk_fma_f32 v[10:11], v[4:5], v[26:27], v[10:11] op_sel_hi:[1,0,1]
	v_pk_fma_f32 v[12:13], v[4:5], v[28:29], v[2:3] op_sel_hi:[1,0,1]
	v_pk_fma_f32 v[0:1], v[32:33], v[22:23], v[0:1] op_sel:[0,1,0]
	s_delay_alu instid0(VALU_DEP_4) | instskip(NEXT) | instid1(VALU_DEP_4)
	v_pk_fma_f32 v[2:3], v[32:33], v[8:9], v[6:7] op_sel_hi:[1,0,1]
	v_pk_fma_f32 v[4:5], v[32:33], v[26:27], v[10:11] op_sel:[0,1,0]
	s_delay_alu instid0(VALU_DEP_4)
	v_pk_fma_f32 v[6:7], v[32:33], v[14:15], v[12:13] op_sel_hi:[1,0,1]
	s_clause 0x1
	global_store_b128 v[30:31], v[0:3], off
	global_store_b128 v[30:31], v[4:7], off offset:16
.LBB91_19:
	s_sendmsg sendmsg(MSG_DEALLOC_VGPRS)
	s_endpgm
	.section	.rodata,"a",@progbits
	.p2align	6, 0x0
	.amdhsa_kernel _ZN9rocsparseL19gebsrmvn_4xn_kernelILj128ELj5ELj16E21rocsparse_complex_numIfEEEvi20rocsparse_direction_NS_24const_host_device_scalarIT2_EEPKiS8_PKS5_SA_S6_PS5_21rocsparse_index_base_b
		.amdhsa_group_segment_fixed_size 0
		.amdhsa_private_segment_fixed_size 0
		.amdhsa_kernarg_size 72
		.amdhsa_user_sgpr_count 2
		.amdhsa_user_sgpr_dispatch_ptr 0
		.amdhsa_user_sgpr_queue_ptr 0
		.amdhsa_user_sgpr_kernarg_segment_ptr 1
		.amdhsa_user_sgpr_dispatch_id 0
		.amdhsa_user_sgpr_kernarg_preload_length 0
		.amdhsa_user_sgpr_kernarg_preload_offset 0
		.amdhsa_user_sgpr_private_segment_size 0
		.amdhsa_wavefront_size32 1
		.amdhsa_uses_dynamic_stack 0
		.amdhsa_enable_private_segment 0
		.amdhsa_system_sgpr_workgroup_id_x 1
		.amdhsa_system_sgpr_workgroup_id_y 0
		.amdhsa_system_sgpr_workgroup_id_z 0
		.amdhsa_system_sgpr_workgroup_info 0
		.amdhsa_system_vgpr_workitem_id 0
		.amdhsa_next_free_vgpr 84
		.amdhsa_next_free_sgpr 14
		.amdhsa_named_barrier_count 0
		.amdhsa_reserve_vcc 1
		.amdhsa_float_round_mode_32 0
		.amdhsa_float_round_mode_16_64 0
		.amdhsa_float_denorm_mode_32 3
		.amdhsa_float_denorm_mode_16_64 3
		.amdhsa_fp16_overflow 0
		.amdhsa_memory_ordered 1
		.amdhsa_forward_progress 1
		.amdhsa_inst_pref_size 27
		.amdhsa_round_robin_scheduling 0
		.amdhsa_exception_fp_ieee_invalid_op 0
		.amdhsa_exception_fp_denorm_src 0
		.amdhsa_exception_fp_ieee_div_zero 0
		.amdhsa_exception_fp_ieee_overflow 0
		.amdhsa_exception_fp_ieee_underflow 0
		.amdhsa_exception_fp_ieee_inexact 0
		.amdhsa_exception_int_div_zero 0
	.end_amdhsa_kernel
	.section	.text._ZN9rocsparseL19gebsrmvn_4xn_kernelILj128ELj5ELj16E21rocsparse_complex_numIfEEEvi20rocsparse_direction_NS_24const_host_device_scalarIT2_EEPKiS8_PKS5_SA_S6_PS5_21rocsparse_index_base_b,"axG",@progbits,_ZN9rocsparseL19gebsrmvn_4xn_kernelILj128ELj5ELj16E21rocsparse_complex_numIfEEEvi20rocsparse_direction_NS_24const_host_device_scalarIT2_EEPKiS8_PKS5_SA_S6_PS5_21rocsparse_index_base_b,comdat
.Lfunc_end91:
	.size	_ZN9rocsparseL19gebsrmvn_4xn_kernelILj128ELj5ELj16E21rocsparse_complex_numIfEEEvi20rocsparse_direction_NS_24const_host_device_scalarIT2_EEPKiS8_PKS5_SA_S6_PS5_21rocsparse_index_base_b, .Lfunc_end91-_ZN9rocsparseL19gebsrmvn_4xn_kernelILj128ELj5ELj16E21rocsparse_complex_numIfEEEvi20rocsparse_direction_NS_24const_host_device_scalarIT2_EEPKiS8_PKS5_SA_S6_PS5_21rocsparse_index_base_b
                                        ; -- End function
	.set _ZN9rocsparseL19gebsrmvn_4xn_kernelILj128ELj5ELj16E21rocsparse_complex_numIfEEEvi20rocsparse_direction_NS_24const_host_device_scalarIT2_EEPKiS8_PKS5_SA_S6_PS5_21rocsparse_index_base_b.num_vgpr, 84
	.set _ZN9rocsparseL19gebsrmvn_4xn_kernelILj128ELj5ELj16E21rocsparse_complex_numIfEEEvi20rocsparse_direction_NS_24const_host_device_scalarIT2_EEPKiS8_PKS5_SA_S6_PS5_21rocsparse_index_base_b.num_agpr, 0
	.set _ZN9rocsparseL19gebsrmvn_4xn_kernelILj128ELj5ELj16E21rocsparse_complex_numIfEEEvi20rocsparse_direction_NS_24const_host_device_scalarIT2_EEPKiS8_PKS5_SA_S6_PS5_21rocsparse_index_base_b.numbered_sgpr, 14
	.set _ZN9rocsparseL19gebsrmvn_4xn_kernelILj128ELj5ELj16E21rocsparse_complex_numIfEEEvi20rocsparse_direction_NS_24const_host_device_scalarIT2_EEPKiS8_PKS5_SA_S6_PS5_21rocsparse_index_base_b.num_named_barrier, 0
	.set _ZN9rocsparseL19gebsrmvn_4xn_kernelILj128ELj5ELj16E21rocsparse_complex_numIfEEEvi20rocsparse_direction_NS_24const_host_device_scalarIT2_EEPKiS8_PKS5_SA_S6_PS5_21rocsparse_index_base_b.private_seg_size, 0
	.set _ZN9rocsparseL19gebsrmvn_4xn_kernelILj128ELj5ELj16E21rocsparse_complex_numIfEEEvi20rocsparse_direction_NS_24const_host_device_scalarIT2_EEPKiS8_PKS5_SA_S6_PS5_21rocsparse_index_base_b.uses_vcc, 1
	.set _ZN9rocsparseL19gebsrmvn_4xn_kernelILj128ELj5ELj16E21rocsparse_complex_numIfEEEvi20rocsparse_direction_NS_24const_host_device_scalarIT2_EEPKiS8_PKS5_SA_S6_PS5_21rocsparse_index_base_b.uses_flat_scratch, 1
	.set _ZN9rocsparseL19gebsrmvn_4xn_kernelILj128ELj5ELj16E21rocsparse_complex_numIfEEEvi20rocsparse_direction_NS_24const_host_device_scalarIT2_EEPKiS8_PKS5_SA_S6_PS5_21rocsparse_index_base_b.has_dyn_sized_stack, 0
	.set _ZN9rocsparseL19gebsrmvn_4xn_kernelILj128ELj5ELj16E21rocsparse_complex_numIfEEEvi20rocsparse_direction_NS_24const_host_device_scalarIT2_EEPKiS8_PKS5_SA_S6_PS5_21rocsparse_index_base_b.has_recursion, 0
	.set _ZN9rocsparseL19gebsrmvn_4xn_kernelILj128ELj5ELj16E21rocsparse_complex_numIfEEEvi20rocsparse_direction_NS_24const_host_device_scalarIT2_EEPKiS8_PKS5_SA_S6_PS5_21rocsparse_index_base_b.has_indirect_call, 0
	.section	.AMDGPU.csdata,"",@progbits
; Kernel info:
; codeLenInByte = 3352
; TotalNumSgprs: 16
; NumVgprs: 84
; ScratchSize: 0
; MemoryBound: 0
; FloatMode: 240
; IeeeMode: 1
; LDSByteSize: 0 bytes/workgroup (compile time only)
; SGPRBlocks: 0
; VGPRBlocks: 5
; NumSGPRsForWavesPerEU: 16
; NumVGPRsForWavesPerEU: 84
; NamedBarCnt: 0
; Occupancy: 10
; WaveLimiterHint : 1
; COMPUTE_PGM_RSRC2:SCRATCH_EN: 0
; COMPUTE_PGM_RSRC2:USER_SGPR: 2
; COMPUTE_PGM_RSRC2:TRAP_HANDLER: 0
; COMPUTE_PGM_RSRC2:TGID_X_EN: 1
; COMPUTE_PGM_RSRC2:TGID_Y_EN: 0
; COMPUTE_PGM_RSRC2:TGID_Z_EN: 0
; COMPUTE_PGM_RSRC2:TIDIG_COMP_CNT: 0
	.section	.text._ZN9rocsparseL19gebsrmvn_4xn_kernelILj128ELj5ELj32E21rocsparse_complex_numIfEEEvi20rocsparse_direction_NS_24const_host_device_scalarIT2_EEPKiS8_PKS5_SA_S6_PS5_21rocsparse_index_base_b,"axG",@progbits,_ZN9rocsparseL19gebsrmvn_4xn_kernelILj128ELj5ELj32E21rocsparse_complex_numIfEEEvi20rocsparse_direction_NS_24const_host_device_scalarIT2_EEPKiS8_PKS5_SA_S6_PS5_21rocsparse_index_base_b,comdat
	.globl	_ZN9rocsparseL19gebsrmvn_4xn_kernelILj128ELj5ELj32E21rocsparse_complex_numIfEEEvi20rocsparse_direction_NS_24const_host_device_scalarIT2_EEPKiS8_PKS5_SA_S6_PS5_21rocsparse_index_base_b ; -- Begin function _ZN9rocsparseL19gebsrmvn_4xn_kernelILj128ELj5ELj32E21rocsparse_complex_numIfEEEvi20rocsparse_direction_NS_24const_host_device_scalarIT2_EEPKiS8_PKS5_SA_S6_PS5_21rocsparse_index_base_b
	.p2align	8
	.type	_ZN9rocsparseL19gebsrmvn_4xn_kernelILj128ELj5ELj32E21rocsparse_complex_numIfEEEvi20rocsparse_direction_NS_24const_host_device_scalarIT2_EEPKiS8_PKS5_SA_S6_PS5_21rocsparse_index_base_b,@function
_ZN9rocsparseL19gebsrmvn_4xn_kernelILj128ELj5ELj32E21rocsparse_complex_numIfEEEvi20rocsparse_direction_NS_24const_host_device_scalarIT2_EEPKiS8_PKS5_SA_S6_PS5_21rocsparse_index_base_b: ; @_ZN9rocsparseL19gebsrmvn_4xn_kernelILj128ELj5ELj32E21rocsparse_complex_numIfEEEvi20rocsparse_direction_NS_24const_host_device_scalarIT2_EEPKiS8_PKS5_SA_S6_PS5_21rocsparse_index_base_b
; %bb.0:
	s_clause 0x2
	s_load_b64 s[12:13], s[0:1], 0x40
	s_load_b64 s[2:3], s[0:1], 0x8
	;; [unrolled: 1-line block ×3, first 2 shown]
	v_mov_b32_e32 v1, 0
	s_add_nc_u64 s[6:7], s[0:1], 8
	s_add_nc_u64 s[8:9], s[0:1], 48
	s_wait_kmcnt 0x0
	s_bitcmp1_b32 s13, 0
	s_cselect_b32 s3, s7, s3
	s_cselect_b32 s2, s6, s2
	;; [unrolled: 1-line block ×4, first 2 shown]
	s_clause 0x1
	flat_load_b64 v[2:3], v1, s[2:3]
	flat_load_b64 v[4:5], v1, s[4:5]
	s_wait_loadcnt_dscnt 0x101
	v_cmp_eq_f32_e32 vcc_lo, 0, v2
	v_cmp_eq_f32_e64 s2, 0, v3
	s_wait_loadcnt_dscnt 0x0
	v_cmp_eq_f32_e64 s3, 1.0, v4
	v_cmp_eq_f32_e64 s4, 0, v5
	s_and_b32 s2, vcc_lo, s2
	s_and_b32 s3, s3, s4
	s_delay_alu instid0(SALU_CYCLE_1) | instskip(NEXT) | instid1(SALU_CYCLE_1)
	s_and_b32 s2, s2, s3
	s_xor_b32 s2, s2, -1
	s_delay_alu instid0(SALU_CYCLE_1)
	s_and_saveexec_b32 s3, s2
	s_cbranch_execz .LBB92_19
; %bb.1:
	s_load_b64 s[2:3], s[0:1], 0x0
	s_bfe_u32 s4, ttmp6, 0x4000c
	s_and_b32 s5, ttmp6, 15
	s_add_co_i32 s4, s4, 1
	s_getreg_b32 s6, hwreg(HW_REG_IB_STS2, 6, 4)
	s_mul_i32 s4, ttmp9, s4
	v_lshrrev_b32_e32 v1, 5, v0
	s_add_co_i32 s5, s5, s4
	s_cmp_eq_u32 s6, 0
	s_cselect_b32 s4, ttmp9, s5
	s_delay_alu instid0(VALU_DEP_1) | instid1(SALU_CYCLE_1)
	v_lshl_or_b32 v6, s4, 2, v1
	s_wait_kmcnt 0x0
	s_delay_alu instid0(VALU_DEP_1)
	v_cmp_gt_i32_e32 vcc_lo, s2, v6
	s_and_b32 exec_lo, exec_lo, vcc_lo
	s_cbranch_execz .LBB92_19
; %bb.2:
	s_load_b256 s[4:11], s[0:1], 0x10
	v_ashrrev_i32_e32 v7, 31, v6
	s_cmp_lg_u32 s3, 0
	s_wait_kmcnt 0x0
	s_delay_alu instid0(VALU_DEP_1)
	v_lshl_add_u64 v[8:9], v[6:7], 2, s[4:5]
	v_and_b32_e32 v7, 31, v0
	global_load_b64 v[8:9], v[8:9], off
	s_wait_loadcnt 0x0
	v_subrev_nc_u32_e32 v0, s12, v8
	v_subrev_nc_u32_e32 v18, s12, v9
	s_delay_alu instid0(VALU_DEP_2) | instskip(NEXT) | instid1(VALU_DEP_1)
	v_add_nc_u32_e32 v19, v0, v7
	v_cmp_lt_i32_e64 s2, v19, v18
	s_cbranch_scc0 .LBB92_8
; %bb.3:
	v_mov_b32_e32 v9, 0
	s_delay_alu instid0(VALU_DEP_1)
	v_dual_mov_b32 v8, v9 :: v_dual_mov_b32 v1, v9
	v_dual_mov_b32 v0, v9 :: v_dual_mov_b32 v11, v9
	v_dual_mov_b32 v10, v9 :: v_dual_mov_b32 v13, v9
	v_mov_b32_e32 v12, v9
	s_and_saveexec_b32 s3, s2
	s_cbranch_execz .LBB92_7
; %bb.4:
	v_mad_u32 v16, v19, 20, 16
	v_dual_mov_b32 v15, 0 :: v_dual_mov_b32 v20, v19
	s_mov_b32 s4, 0
	s_delay_alu instid0(VALU_DEP_1)
	v_dual_mov_b32 v12, v15 :: v_dual_mov_b32 v13, v15
	v_dual_mov_b32 v10, v15 :: v_dual_mov_b32 v11, v15
	;; [unrolled: 1-line block ×4, first 2 shown]
.LBB92_5:                               ; =>This Inner Loop Header: Depth=1
	global_load_b32 v21, v20, s[6:7] scale_offset
	v_dual_mov_b32 v17, v15 :: v_dual_add_nc_u32 v14, -16, v16
	s_wait_xcnt 0x0
	v_add_nc_u32_e32 v20, 32, v20
	s_delay_alu instid0(VALU_DEP_2) | instskip(NEXT) | instid1(VALU_DEP_3)
	v_lshl_add_u64 v[34:35], v[14:15], 3, s[8:9]
	v_lshl_add_u64 v[62:63], v[16:17], 3, s[8:9]
	s_clause 0x2
	global_load_b128 v[22:25], v[34:35], off offset:16
	global_load_b128 v[26:29], v[34:35], off
	global_load_b128 v[30:33], v[62:63], off
	v_cmp_ge_i32_e32 vcc_lo, v20, v18
	s_or_b32 s4, vcc_lo, s4
	s_wait_loadcnt 0x3
	v_subrev_nc_u32_e32 v17, s12, v21
	s_delay_alu instid0(VALU_DEP_1) | instskip(SKIP_3) | instid1(VALU_DEP_3)
	v_lshl_add_u32 v17, v17, 2, v17
	v_add_nc_u32_e32 v14, -12, v16
	s_wait_loadcnt 0x2
	v_xor_b32_e32 v76, 0x80000000, v25
	v_add_nc_u32_e32 v21, 2, v17
	s_delay_alu instid0(VALU_DEP_3) | instskip(SKIP_3) | instid1(VALU_DEP_2)
	v_lshl_add_u64 v[50:51], v[14:15], 3, s[8:9]
	s_wait_loadcnt 0x0
	v_dual_mov_b32 v75, v32 :: v_dual_add_nc_u32 v14, -8, v16
	v_xor_b32_e32 v74, 0x80000000, v33
	v_lshl_add_u64 v[52:53], v[14:15], 3, s[8:9]
	s_clause 0x3
	global_load_b128 v[34:37], v[50:51], off offset:16
	global_load_b128 v[38:41], v[50:51], off
	global_load_b128 v[42:45], v[52:53], off offset:16
	global_load_b128 v[46:49], v[52:53], off
	global_load_b64 v[64:65], v17, s[10:11] scale_offset
	v_dual_mov_b32 v77, v24 :: v_dual_add_nc_u32 v14, -4, v16
	v_add_nc_u32_e32 v16, 0x280, v16
	s_delay_alu instid0(VALU_DEP_2)
	v_lshl_add_u64 v[58:59], v[14:15], 3, s[8:9]
	v_add_nc_u32_e32 v14, 1, v17
	global_load_b64 v[66:67], v14, s[10:11] scale_offset
	global_load_b128 v[50:53], v[58:59], off
	global_load_b64 v[68:69], v21, s[10:11] scale_offset
	global_load_b128 v[54:57], v[58:59], off offset:16
	s_wait_xcnt 0x3
	v_dual_add_nc_u32 v14, 3, v17 :: v_dual_add_nc_u32 v17, 4, v17
	global_load_b64 v[70:71], v14, s[10:11] scale_offset
	global_load_b128 v[58:61], v[62:63], off offset:16
	global_load_b64 v[72:73], v17, s[10:11] scale_offset
	s_wait_xcnt 0x1
	v_xor_b32_e32 v62, 0x80000000, v29
	v_mov_b32_e32 v63, v28
	s_wait_loadcnt 0xb
	v_xor_b32_e32 v80, 0x80000000, v37
	s_wait_loadcnt 0xa
	v_mov_b32_e32 v79, v40
	v_xor_b32_e32 v78, 0x80000000, v41
	s_wait_loadcnt 0x8
	v_dual_mov_b32 v81, v36 :: v_dual_mov_b32 v83, v48
	s_wait_loadcnt 0x7
	v_pk_fma_f32 v[8:9], v[26:27], v[64:65], v[8:9] op_sel_hi:[1,0,1]
	v_pk_fma_f32 v[12:13], v[28:29], v[64:65], v[12:13] op_sel_hi:[1,0,1]
	;; [unrolled: 1-line block ×4, first 2 shown]
	v_xor_b32_e32 v82, 0x80000000, v49
	v_pk_fma_f32 v[8:9], v[26:27], v[64:65], v[8:9] op_sel:[1,1,0] op_sel_hi:[0,1,1] neg_lo:[1,0,0]
	v_pk_fma_f32 v[12:13], v[62:63], v[64:65], v[12:13] op_sel:[0,1,0]
	v_pk_fma_f32 v[10:11], v[22:23], v[64:65], v[10:11] op_sel:[1,1,0] op_sel_hi:[0,1,1] neg_lo:[1,0,0]
	v_pk_fma_f32 v[0:1], v[76:77], v[64:65], v[0:1] op_sel:[0,1,0]
	v_xor_b32_e32 v24, 0x80000000, v45
	s_wait_loadcnt 0x6
	v_pk_fma_f32 v[8:9], v[38:39], v[66:67], v[8:9] op_sel_hi:[1,0,1]
	v_pk_fma_f32 v[12:13], v[40:41], v[66:67], v[12:13] op_sel_hi:[1,0,1]
	;; [unrolled: 1-line block ×4, first 2 shown]
	s_wait_loadcnt 0x5
	v_dual_mov_b32 v25, v44 :: v_dual_mov_b32 v23, v52
	v_pk_fma_f32 v[8:9], v[38:39], v[66:67], v[8:9] op_sel:[1,1,0] op_sel_hi:[0,1,1] neg_lo:[1,0,0]
	v_pk_fma_f32 v[12:13], v[78:79], v[66:67], v[12:13] op_sel:[0,1,0]
	v_pk_fma_f32 v[10:11], v[34:35], v[66:67], v[10:11] op_sel:[1,1,0] op_sel_hi:[0,1,1] neg_lo:[1,0,0]
	v_pk_fma_f32 v[0:1], v[80:81], v[66:67], v[0:1] op_sel:[0,1,0]
	v_xor_b32_e32 v22, 0x80000000, v53
	s_wait_loadcnt 0x4
	v_pk_fma_f32 v[8:9], v[46:47], v[68:69], v[8:9] op_sel_hi:[1,0,1]
	v_pk_fma_f32 v[12:13], v[48:49], v[68:69], v[12:13] op_sel_hi:[1,0,1]
	;; [unrolled: 1-line block ×4, first 2 shown]
	s_wait_loadcnt 0x3
	v_xor_b32_e32 v26, 0x80000000, v57
	v_pk_fma_f32 v[8:9], v[46:47], v[68:69], v[8:9] op_sel:[1,1,0] op_sel_hi:[0,1,1] neg_lo:[1,0,0]
	v_pk_fma_f32 v[12:13], v[82:83], v[68:69], v[12:13] op_sel:[0,1,0]
	v_pk_fma_f32 v[10:11], v[42:43], v[68:69], v[10:11] op_sel:[1,1,0] op_sel_hi:[0,1,1] neg_lo:[1,0,0]
	v_pk_fma_f32 v[0:1], v[24:25], v[68:69], v[0:1] op_sel:[0,1,0]
	s_wait_loadcnt 0x1
	v_dual_mov_b32 v27, v56 :: v_dual_mov_b32 v25, v60
	v_pk_fma_f32 v[8:9], v[50:51], v[70:71], v[8:9] op_sel_hi:[1,0,1]
	v_pk_fma_f32 v[12:13], v[52:53], v[70:71], v[12:13] op_sel_hi:[1,0,1]
	;; [unrolled: 1-line block ×4, first 2 shown]
	v_xor_b32_e32 v24, 0x80000000, v61
	v_pk_fma_f32 v[8:9], v[50:51], v[70:71], v[8:9] op_sel:[1,1,0] op_sel_hi:[0,1,1] neg_lo:[1,0,0]
	v_pk_fma_f32 v[12:13], v[22:23], v[70:71], v[12:13] op_sel:[0,1,0]
	v_pk_fma_f32 v[10:11], v[54:55], v[70:71], v[10:11] op_sel:[1,1,0] op_sel_hi:[0,1,1] neg_lo:[1,0,0]
	v_pk_fma_f32 v[0:1], v[26:27], v[70:71], v[0:1] op_sel:[0,1,0]
	s_wait_loadcnt 0x0
	v_pk_fma_f32 v[8:9], v[30:31], v[72:73], v[8:9] op_sel_hi:[1,0,1]
	v_pk_fma_f32 v[12:13], v[32:33], v[72:73], v[12:13] op_sel_hi:[1,0,1]
	;; [unrolled: 1-line block ×4, first 2 shown]
	s_delay_alu instid0(VALU_DEP_4) | instskip(NEXT) | instid1(VALU_DEP_4)
	v_pk_fma_f32 v[8:9], v[30:31], v[72:73], v[8:9] op_sel:[1,1,0] op_sel_hi:[0,1,1] neg_lo:[1,0,0]
	v_pk_fma_f32 v[12:13], v[74:75], v[72:73], v[12:13] op_sel:[0,1,0]
	s_delay_alu instid0(VALU_DEP_4) | instskip(NEXT) | instid1(VALU_DEP_4)
	v_pk_fma_f32 v[10:11], v[58:59], v[72:73], v[10:11] op_sel:[1,1,0] op_sel_hi:[0,1,1] neg_lo:[1,0,0]
	v_pk_fma_f32 v[0:1], v[24:25], v[72:73], v[0:1] op_sel:[0,1,0]
	s_and_not1_b32 exec_lo, exec_lo, s4
	s_cbranch_execnz .LBB92_5
; %bb.6:
	s_or_b32 exec_lo, exec_lo, s4
.LBB92_7:
	s_delay_alu instid0(SALU_CYCLE_1)
	s_or_b32 exec_lo, exec_lo, s3
	s_cbranch_execz .LBB92_9
	s_branch .LBB92_14
.LBB92_8:
                                        ; implicit-def: $vgpr9
                                        ; implicit-def: $vgpr1
                                        ; implicit-def: $vgpr11
                                        ; implicit-def: $vgpr13
.LBB92_9:
	v_mov_b32_e32 v9, 0
	s_delay_alu instid0(VALU_DEP_1)
	v_dual_mov_b32 v8, v9 :: v_dual_mov_b32 v1, v9
	v_dual_mov_b32 v0, v9 :: v_dual_mov_b32 v11, v9
	;; [unrolled: 1-line block ×3, first 2 shown]
	v_mov_b32_e32 v12, v9
	s_and_saveexec_b32 s3, s2
	s_cbranch_execz .LBB92_13
; %bb.10:
	v_mad_u32 v16, v19, 20, 19
	v_mov_b32_e32 v15, 0
	s_mov_b32 s2, 0
	s_delay_alu instid0(VALU_DEP_1)
	v_dual_mov_b32 v12, v15 :: v_dual_mov_b32 v13, v15
	v_dual_mov_b32 v10, v15 :: v_dual_mov_b32 v11, v15
	;; [unrolled: 1-line block ×4, first 2 shown]
.LBB92_11:                              ; =>This Inner Loop Header: Depth=1
	global_load_b32 v17, v19, s[6:7] scale_offset
	v_subrev_nc_u32_e32 v14, 19, v16
	v_dual_add_nc_u32 v26, -6, v16 :: v_dual_add_nc_u32 v27, -15, v16
	v_dual_add_nc_u32 v60, -2, v16 :: v_dual_add_nc_u32 v25, -11, v16
	s_delay_alu instid0(VALU_DEP_3)
	v_lshl_add_u64 v[28:29], v[14:15], 3, s[8:9]
	v_dual_add_nc_u32 v24, -8, v16 :: v_dual_add_nc_u32 v50, -3, v16
	v_dual_add_nc_u32 v20, -14, v16 :: v_dual_add_nc_u32 v21, -9, v16
	;; [unrolled: 1-line block ×3, first 2 shown]
	s_clause 0x8
	global_load_b64 v[30:31], v27, s[8:9] scale_offset
	global_load_b64 v[32:33], v25, s[8:9] scale_offset
	;; [unrolled: 1-line block ×8, first 2 shown]
	global_load_b128 v[20:23], v[28:29], off offset:16
	v_dual_add_nc_u32 v54, -12, v16 :: v_dual_add_nc_u32 v55, -7, v16
	v_dual_add_nc_u32 v66, -1, v16 :: v_dual_add_nc_u32 v61, -10, v16
	v_add_nc_u32_e32 v19, 32, v19
	s_delay_alu instid0(VALU_DEP_1) | instskip(SKIP_3) | instid1(VALU_DEP_1)
	v_cmp_ge_i32_e32 vcc_lo, v19, v18
	s_or_b32 s2, vcc_lo, s2
	s_wait_loadcnt 0x9
	v_subrev_nc_u32_e32 v14, s12, v17
	v_lshl_add_u32 v14, v14, 2, v14
	global_load_b128 v[24:27], v[28:29], off
	global_load_b64 v[46:47], v14, s[10:11] scale_offset
	global_load_b64 v[48:49], v50, s[8:9] scale_offset
	v_dual_add_nc_u32 v67, -5, v16 :: v_dual_add_nc_u32 v17, 1, v14
	global_load_b64 v[28:29], v54, s[8:9] scale_offset
	global_load_b64 v[50:51], v17, s[10:11] scale_offset
	;; [unrolled: 1-line block ×3, first 2 shown]
	s_wait_xcnt 0x1
	v_add_nc_u32_e32 v17, 2, v14
	global_load_b64 v[54:55], v60, s[8:9] scale_offset
	global_load_b64 v[56:57], v17, s[10:11] scale_offset
	;; [unrolled: 1-line block ×3, first 2 shown]
	s_wait_xcnt 0x1
	v_dual_add_nc_u32 v17, 3, v14 :: v_dual_add_nc_u32 v14, 4, v14
	s_wait_loadcnt 0x8
	v_mov_b32_e32 v71, v26
	global_load_b64 v[60:61], v66, s[8:9] scale_offset
	global_load_b64 v[62:63], v17, s[10:11] scale_offset
	s_clause 0x1
	global_load_b64 v[64:65], v67, s[8:9] scale_offset
	global_load_b64 v[66:67], v16, s[8:9] scale_offset
	;; [unrolled: 1-line block ×3, first 2 shown]
	s_wait_loadcnt 0xc
	v_pk_fma_f32 v[8:9], v[24:25], v[46:47], v[8:9] op_sel_hi:[1,0,1]
	v_pk_fma_f32 v[12:13], v[36:37], v[46:47], v[12:13] op_sel_hi:[1,0,1]
	;; [unrolled: 1-line block ×4, first 2 shown]
	v_xor_b32_e32 v70, 0x80000000, v27
	v_pk_fma_f32 v[8:9], v[24:25], v[46:47], v[8:9] op_sel:[1,1,0] op_sel_hi:[0,1,1] neg_lo:[1,0,0]
	v_pk_fma_f32 v[12:13], v[36:37], v[46:47], v[12:13] op_sel:[1,1,0] op_sel_hi:[0,1,1] neg_lo:[1,0,0]
	;; [unrolled: 1-line block ×4, first 2 shown]
	v_xor_b32_e32 v24, 0x80000000, v23
	s_wait_loadcnt 0x9
	v_pk_fma_f32 v[8:9], v[26:27], v[50:51], v[8:9] op_sel_hi:[1,0,1]
	v_pk_fma_f32 v[12:13], v[42:43], v[50:51], v[12:13] op_sel_hi:[1,0,1]
	;; [unrolled: 1-line block ×4, first 2 shown]
	v_mov_b32_e32 v25, v22
	v_pk_fma_f32 v[8:9], v[70:71], v[50:51], v[8:9] op_sel:[0,1,0]
	v_pk_fma_f32 v[12:13], v[42:43], v[50:51], v[12:13] op_sel:[1,1,0] op_sel_hi:[0,1,1] neg_lo:[1,0,0]
	v_pk_fma_f32 v[10:11], v[44:45], v[50:51], v[10:11] op_sel:[1,1,0] op_sel_hi:[0,1,1] neg_lo:[1,0,0]
	;; [unrolled: 1-line block ×3, first 2 shown]
	s_wait_xcnt 0x1
	v_add_nc_u32_e32 v16, 0x280, v16
	s_wait_loadcnt 0x6
	v_pk_fma_f32 v[8:9], v[20:21], v[56:57], v[8:9] op_sel_hi:[1,0,1]
	v_pk_fma_f32 v[12:13], v[28:29], v[56:57], v[12:13] op_sel_hi:[1,0,1]
	;; [unrolled: 1-line block ×4, first 2 shown]
	s_delay_alu instid0(VALU_DEP_4) | instskip(NEXT) | instid1(VALU_DEP_4)
	v_pk_fma_f32 v[8:9], v[20:21], v[56:57], v[8:9] op_sel:[1,1,0] op_sel_hi:[0,1,1] neg_lo:[1,0,0]
	v_pk_fma_f32 v[12:13], v[28:29], v[56:57], v[12:13] op_sel:[1,1,0] op_sel_hi:[0,1,1] neg_lo:[1,0,0]
	s_delay_alu instid0(VALU_DEP_4) | instskip(NEXT) | instid1(VALU_DEP_4)
	v_pk_fma_f32 v[10:11], v[52:53], v[56:57], v[10:11] op_sel:[1,1,0] op_sel_hi:[0,1,1] neg_lo:[1,0,0]
	v_pk_fma_f32 v[0:1], v[54:55], v[56:57], v[0:1] op_sel:[1,1,0] op_sel_hi:[0,1,1] neg_lo:[1,0,0]
	s_wait_loadcnt 0x3
	v_pk_fma_f32 v[8:9], v[22:23], v[62:63], v[8:9] op_sel_hi:[1,0,1]
	v_pk_fma_f32 v[12:13], v[32:33], v[62:63], v[12:13] op_sel_hi:[1,0,1]
	;; [unrolled: 1-line block ×4, first 2 shown]
	s_delay_alu instid0(VALU_DEP_4) | instskip(NEXT) | instid1(VALU_DEP_4)
	v_pk_fma_f32 v[8:9], v[24:25], v[62:63], v[8:9] op_sel:[0,1,0]
	v_pk_fma_f32 v[12:13], v[32:33], v[62:63], v[12:13] op_sel:[1,1,0] op_sel_hi:[0,1,1] neg_lo:[1,0,0]
	s_delay_alu instid0(VALU_DEP_4) | instskip(NEXT) | instid1(VALU_DEP_4)
	v_pk_fma_f32 v[10:11], v[34:35], v[62:63], v[10:11] op_sel:[1,1,0] op_sel_hi:[0,1,1] neg_lo:[1,0,0]
	v_pk_fma_f32 v[0:1], v[60:61], v[62:63], v[0:1] op_sel:[1,1,0] op_sel_hi:[0,1,1] neg_lo:[1,0,0]
	s_wait_loadcnt 0x0
	v_pk_fma_f32 v[8:9], v[30:31], v[68:69], v[8:9] op_sel_hi:[1,0,1]
	v_pk_fma_f32 v[12:13], v[58:59], v[68:69], v[12:13] op_sel_hi:[1,0,1]
	v_pk_fma_f32 v[10:11], v[64:65], v[68:69], v[10:11] op_sel_hi:[1,0,1]
	v_pk_fma_f32 v[0:1], v[66:67], v[68:69], v[0:1] op_sel_hi:[1,0,1]
	s_delay_alu instid0(VALU_DEP_4) | instskip(NEXT) | instid1(VALU_DEP_4)
	v_pk_fma_f32 v[8:9], v[30:31], v[68:69], v[8:9] op_sel:[1,1,0] op_sel_hi:[0,1,1] neg_lo:[1,0,0]
	v_pk_fma_f32 v[12:13], v[58:59], v[68:69], v[12:13] op_sel:[1,1,0] op_sel_hi:[0,1,1] neg_lo:[1,0,0]
	s_delay_alu instid0(VALU_DEP_4) | instskip(NEXT) | instid1(VALU_DEP_4)
	v_pk_fma_f32 v[10:11], v[64:65], v[68:69], v[10:11] op_sel:[1,1,0] op_sel_hi:[0,1,1] neg_lo:[1,0,0]
	v_pk_fma_f32 v[0:1], v[66:67], v[68:69], v[0:1] op_sel:[1,1,0] op_sel_hi:[0,1,1] neg_lo:[1,0,0]
	s_and_not1_b32 exec_lo, exec_lo, s2
	s_cbranch_execnz .LBB92_11
; %bb.12:
	s_or_b32 exec_lo, exec_lo, s2
.LBB92_13:
	s_delay_alu instid0(SALU_CYCLE_1)
	s_or_b32 exec_lo, exec_lo, s3
.LBB92_14:
	v_mbcnt_lo_u32_b32 v14, -1, 0
	s_delay_alu instid0(VALU_DEP_1) | instskip(SKIP_1) | instid1(VALU_DEP_1)
	v_xor_b32_e32 v23, 8, v14
	v_xor_b32_e32 v15, 16, v14
	v_cmp_gt_i32_e32 vcc_lo, 32, v15
	v_cndmask_b32_e32 v15, v14, v15, vcc_lo
	s_delay_alu instid0(VALU_DEP_1)
	v_lshlrev_b32_e32 v15, 2, v15
	ds_bpermute_b32 v17, v15, v9
	s_wait_dscnt 0x0
	v_add_f32_e32 v9, v9, v17
	ds_bpermute_b32 v19, v15, v13
	ds_bpermute_b32 v16, v15, v8
	;; [unrolled: 1-line block ×7, first 2 shown]
	s_wait_dscnt 0x6
	v_add_f32_e32 v13, v13, v19
	v_cmp_gt_i32_e32 vcc_lo, 32, v23
	s_wait_dscnt 0x5
	v_add_f32_e32 v8, v8, v16
	s_wait_dscnt 0x2
	v_dual_add_f32 v10, v10, v20 :: v_dual_add_f32 v11, v11, v21
	s_wait_dscnt 0x0
	v_dual_add_f32 v0, v0, v22 :: v_dual_add_f32 v1, v1, v15
	v_dual_cndmask_b32 v23, v14, v23 :: v_dual_add_f32 v12, v12, v18
	s_delay_alu instid0(VALU_DEP_1)
	v_lshlrev_b32_e32 v23, 2, v23
	ds_bpermute_b32 v15, v23, v8
	ds_bpermute_b32 v16, v23, v9
	;; [unrolled: 1-line block ×8, first 2 shown]
	s_wait_dscnt 0x7
	v_dual_add_f32 v8, v8, v15 :: v_dual_bitop2_b32 v23, 4, v14 bitop3:0x14
	s_delay_alu instid0(VALU_DEP_1)
	v_cmp_gt_i32_e32 vcc_lo, 32, v23
	s_wait_dscnt 0x6
	v_add_f32_e32 v9, v9, v16
	s_wait_dscnt 0x3
	v_dual_add_f32 v13, v13, v18 :: v_dual_add_f32 v10, v10, v19
	s_wait_dscnt 0x1
	v_dual_add_f32 v11, v11, v20 :: v_dual_add_f32 v0, v0, v21
	v_dual_cndmask_b32 v23, v14, v23 :: v_dual_add_f32 v12, v12, v17
	s_wait_dscnt 0x0
	s_delay_alu instid0(VALU_DEP_1)
	v_dual_add_f32 v1, v1, v22 :: v_dual_lshlrev_b32 v23, 2, v23
	ds_bpermute_b32 v15, v23, v8
	ds_bpermute_b32 v16, v23, v9
	;; [unrolled: 1-line block ×8, first 2 shown]
	s_wait_dscnt 0x7
	v_dual_add_f32 v8, v8, v15 :: v_dual_bitop2_b32 v23, 2, v14 bitop3:0x14
	s_delay_alu instid0(VALU_DEP_1)
	v_cmp_gt_i32_e32 vcc_lo, 32, v23
	s_wait_dscnt 0x4
	v_dual_add_f32 v12, v12, v17 :: v_dual_add_f32 v13, v13, v18
	s_wait_dscnt 0x3
	v_dual_add_f32 v9, v9, v16 :: v_dual_add_f32 v15, v10, v19
	s_wait_dscnt 0x2
	v_dual_add_f32 v16, v11, v20 :: v_dual_cndmask_b32 v23, v14, v23
	s_wait_dscnt 0x0
	v_dual_add_f32 v17, v0, v21 :: v_dual_add_f32 v18, v1, v22
	s_delay_alu instid0(VALU_DEP_2)
	v_lshlrev_b32_e32 v23, 2, v23
	ds_bpermute_b32 v0, v23, v8
	ds_bpermute_b32 v1, v23, v9
	ds_bpermute_b32 v10, v23, v12
	ds_bpermute_b32 v11, v23, v13
	ds_bpermute_b32 v19, v23, v15
	ds_bpermute_b32 v20, v23, v16
	ds_bpermute_b32 v21, v23, v17
	ds_bpermute_b32 v22, v23, v18
	s_wait_dscnt 0x7
	v_dual_add_f32 v0, v8, v0 :: v_dual_bitop2_b32 v23, 1, v14 bitop3:0x14
	s_delay_alu instid0(VALU_DEP_1)
	v_cmp_gt_i32_e32 vcc_lo, 32, v23
	s_wait_dscnt 0x5
	v_dual_add_f32 v8, v9, v1 :: v_dual_add_f32 v10, v12, v10
	s_wait_dscnt 0x3
	v_add_f32_e32 v12, v15, v19
	v_add_f32_e32 v11, v13, v11
	s_wait_dscnt 0x2
	v_dual_cndmask_b32 v14, v14, v23 :: v_dual_add_f32 v13, v16, v20
	s_wait_dscnt 0x0
	v_dual_add_f32 v1, v17, v21 :: v_dual_add_f32 v9, v18, v22
	v_cmp_eq_u32_e32 vcc_lo, 31, v7
	s_delay_alu instid0(VALU_DEP_3)
	v_lshlrev_b32_e32 v23, 2, v14
	ds_bpermute_b32 v16, v23, v0
	ds_bpermute_b32 v17, v23, v8
	;; [unrolled: 1-line block ×8, first 2 shown]
	s_and_b32 exec_lo, exec_lo, vcc_lo
	s_cbranch_execz .LBB92_19
; %bb.15:
	s_load_b64 s[2:3], s[0:1], 0x38
	v_cmp_eq_f32_e32 vcc_lo, 0, v4
	s_wait_xcnt 0x0
	v_cmp_eq_f32_e64 s0, 0, v5
	s_wait_dscnt 0x7
	v_add_f32_e32 v0, v0, v16
	s_wait_dscnt 0x5
	v_dual_add_f32 v20, v8, v17 :: v_dual_add_f32 v8, v10, v18
	s_wait_dscnt 0x3
	v_dual_add_f32 v18, v11, v19 :: v_dual_add_f32 v10, v12, v21
	s_wait_dscnt 0x2
	v_add_f32_e32 v16, v13, v22
	s_wait_dscnt 0x1
	v_add_f32_e32 v12, v1, v14
	;; [unrolled: 2-line block ×3, first 2 shown]
	s_and_b32 s0, vcc_lo, s0
	s_delay_alu instid0(SALU_CYCLE_1) | instskip(NEXT) | instid1(SALU_CYCLE_1)
	s_and_saveexec_b32 s1, s0
	s_xor_b32 s0, exec_lo, s1
	s_cbranch_execz .LBB92_17
; %bb.16:
	v_xor_b32_e32 v4, 0x80000000, v3
	v_dual_mov_b32 v5, v2 :: v_dual_lshlrev_b32 v6, 2, v6
	s_delay_alu instid0(VALU_DEP_1) | instskip(NEXT) | instid1(VALU_DEP_2)
	v_ashrrev_i32_e32 v7, 31, v6
	v_pk_mul_f32 v[20:21], v[20:21], v[4:5] op_sel_hi:[0,1]
	v_pk_mul_f32 v[18:19], v[18:19], v[4:5] op_sel_hi:[0,1]
	;; [unrolled: 1-line block ×4, first 2 shown]
	s_wait_kmcnt 0x0
	v_lshl_add_u64 v[22:23], v[6:7], 3, s[2:3]
	v_pk_fma_f32 v[4:5], v[2:3], v[0:1], v[20:21] op_sel_hi:[1,0,1]
	v_pk_fma_f32 v[6:7], v[2:3], v[8:9], v[18:19] op_sel_hi:[1,0,1]
	;; [unrolled: 1-line block ×4, first 2 shown]
	s_clause 0x1
	global_store_b128 v[22:23], v[4:7], off
	global_store_b128 v[22:23], v[0:3], off offset:16
                                        ; implicit-def: $vgpr6
                                        ; implicit-def: $vgpr0
                                        ; implicit-def: $vgpr20
                                        ; implicit-def: $vgpr8
                                        ; implicit-def: $vgpr18
                                        ; implicit-def: $vgpr10
                                        ; implicit-def: $vgpr16
                                        ; implicit-def: $vgpr12
                                        ; implicit-def: $vgpr14
                                        ; implicit-def: $vgpr2_vgpr3
                                        ; implicit-def: $vgpr4_vgpr5
.LBB92_17:
	s_wait_xcnt 0x0
	s_and_not1_saveexec_b32 s0, s0
	s_cbranch_execz .LBB92_19
; %bb.18:
	v_lshlrev_b32_e32 v6, 2, v6
	v_xor_b32_e32 v32, 0x80000000, v5
	s_delay_alu instid0(VALU_DEP_2) | instskip(SKIP_1) | instid1(VALU_DEP_1)
	v_dual_mov_b32 v33, v4 :: v_dual_ashrrev_i32 v7, 31, v6
	s_wait_kmcnt 0x0
	v_lshl_add_u64 v[30:31], v[6:7], 3, s[2:3]
	v_xor_b32_e32 v6, 0x80000000, v3
	v_mov_b32_e32 v7, v2
	s_clause 0x1
	global_load_b128 v[22:25], v[30:31], off
	global_load_b128 v[26:29], v[30:31], off offset:16
	v_pk_mul_f32 v[20:21], v[20:21], v[6:7] op_sel_hi:[0,1]
	v_pk_mul_f32 v[18:19], v[18:19], v[6:7] op_sel_hi:[0,1]
	v_pk_mul_f32 v[16:17], v[16:17], v[6:7] op_sel_hi:[0,1]
	v_pk_mul_f32 v[6:7], v[14:15], v[6:7] op_sel_hi:[0,1]
	s_delay_alu instid0(VALU_DEP_4) | instskip(NEXT) | instid1(VALU_DEP_4)
	v_pk_fma_f32 v[0:1], v[2:3], v[0:1], v[20:21] op_sel_hi:[1,0,1]
	v_pk_fma_f32 v[8:9], v[2:3], v[8:9], v[18:19] op_sel_hi:[1,0,1]
	s_delay_alu instid0(VALU_DEP_4) | instskip(NEXT) | instid1(VALU_DEP_4)
	v_pk_fma_f32 v[10:11], v[2:3], v[10:11], v[16:17] op_sel_hi:[1,0,1]
	v_pk_fma_f32 v[2:3], v[2:3], v[12:13], v[6:7] op_sel_hi:[1,0,1]
	s_wait_loadcnt 0x1
	v_pk_fma_f32 v[0:1], v[4:5], v[22:23], v[0:1] op_sel_hi:[1,0,1]
	v_pk_fma_f32 v[6:7], v[4:5], v[24:25], v[8:9] op_sel_hi:[1,0,1]
	s_wait_loadcnt 0x0
	v_dual_mov_b32 v8, v25 :: v_dual_mov_b32 v14, v29
	v_pk_fma_f32 v[10:11], v[4:5], v[26:27], v[10:11] op_sel_hi:[1,0,1]
	v_pk_fma_f32 v[12:13], v[4:5], v[28:29], v[2:3] op_sel_hi:[1,0,1]
	v_pk_fma_f32 v[0:1], v[32:33], v[22:23], v[0:1] op_sel:[0,1,0]
	s_delay_alu instid0(VALU_DEP_4) | instskip(NEXT) | instid1(VALU_DEP_4)
	v_pk_fma_f32 v[2:3], v[32:33], v[8:9], v[6:7] op_sel_hi:[1,0,1]
	v_pk_fma_f32 v[4:5], v[32:33], v[26:27], v[10:11] op_sel:[0,1,0]
	s_delay_alu instid0(VALU_DEP_4)
	v_pk_fma_f32 v[6:7], v[32:33], v[14:15], v[12:13] op_sel_hi:[1,0,1]
	s_clause 0x1
	global_store_b128 v[30:31], v[0:3], off
	global_store_b128 v[30:31], v[4:7], off offset:16
.LBB92_19:
	s_sendmsg sendmsg(MSG_DEALLOC_VGPRS)
	s_endpgm
	.section	.rodata,"a",@progbits
	.p2align	6, 0x0
	.amdhsa_kernel _ZN9rocsparseL19gebsrmvn_4xn_kernelILj128ELj5ELj32E21rocsparse_complex_numIfEEEvi20rocsparse_direction_NS_24const_host_device_scalarIT2_EEPKiS8_PKS5_SA_S6_PS5_21rocsparse_index_base_b
		.amdhsa_group_segment_fixed_size 0
		.amdhsa_private_segment_fixed_size 0
		.amdhsa_kernarg_size 72
		.amdhsa_user_sgpr_count 2
		.amdhsa_user_sgpr_dispatch_ptr 0
		.amdhsa_user_sgpr_queue_ptr 0
		.amdhsa_user_sgpr_kernarg_segment_ptr 1
		.amdhsa_user_sgpr_dispatch_id 0
		.amdhsa_user_sgpr_kernarg_preload_length 0
		.amdhsa_user_sgpr_kernarg_preload_offset 0
		.amdhsa_user_sgpr_private_segment_size 0
		.amdhsa_wavefront_size32 1
		.amdhsa_uses_dynamic_stack 0
		.amdhsa_enable_private_segment 0
		.amdhsa_system_sgpr_workgroup_id_x 1
		.amdhsa_system_sgpr_workgroup_id_y 0
		.amdhsa_system_sgpr_workgroup_id_z 0
		.amdhsa_system_sgpr_workgroup_info 0
		.amdhsa_system_vgpr_workitem_id 0
		.amdhsa_next_free_vgpr 84
		.amdhsa_next_free_sgpr 14
		.amdhsa_named_barrier_count 0
		.amdhsa_reserve_vcc 1
		.amdhsa_float_round_mode_32 0
		.amdhsa_float_round_mode_16_64 0
		.amdhsa_float_denorm_mode_32 3
		.amdhsa_float_denorm_mode_16_64 3
		.amdhsa_fp16_overflow 0
		.amdhsa_memory_ordered 1
		.amdhsa_forward_progress 1
		.amdhsa_inst_pref_size 28
		.amdhsa_round_robin_scheduling 0
		.amdhsa_exception_fp_ieee_invalid_op 0
		.amdhsa_exception_fp_denorm_src 0
		.amdhsa_exception_fp_ieee_div_zero 0
		.amdhsa_exception_fp_ieee_overflow 0
		.amdhsa_exception_fp_ieee_underflow 0
		.amdhsa_exception_fp_ieee_inexact 0
		.amdhsa_exception_int_div_zero 0
	.end_amdhsa_kernel
	.section	.text._ZN9rocsparseL19gebsrmvn_4xn_kernelILj128ELj5ELj32E21rocsparse_complex_numIfEEEvi20rocsparse_direction_NS_24const_host_device_scalarIT2_EEPKiS8_PKS5_SA_S6_PS5_21rocsparse_index_base_b,"axG",@progbits,_ZN9rocsparseL19gebsrmvn_4xn_kernelILj128ELj5ELj32E21rocsparse_complex_numIfEEEvi20rocsparse_direction_NS_24const_host_device_scalarIT2_EEPKiS8_PKS5_SA_S6_PS5_21rocsparse_index_base_b,comdat
.Lfunc_end92:
	.size	_ZN9rocsparseL19gebsrmvn_4xn_kernelILj128ELj5ELj32E21rocsparse_complex_numIfEEEvi20rocsparse_direction_NS_24const_host_device_scalarIT2_EEPKiS8_PKS5_SA_S6_PS5_21rocsparse_index_base_b, .Lfunc_end92-_ZN9rocsparseL19gebsrmvn_4xn_kernelILj128ELj5ELj32E21rocsparse_complex_numIfEEEvi20rocsparse_direction_NS_24const_host_device_scalarIT2_EEPKiS8_PKS5_SA_S6_PS5_21rocsparse_index_base_b
                                        ; -- End function
	.set _ZN9rocsparseL19gebsrmvn_4xn_kernelILj128ELj5ELj32E21rocsparse_complex_numIfEEEvi20rocsparse_direction_NS_24const_host_device_scalarIT2_EEPKiS8_PKS5_SA_S6_PS5_21rocsparse_index_base_b.num_vgpr, 84
	.set _ZN9rocsparseL19gebsrmvn_4xn_kernelILj128ELj5ELj32E21rocsparse_complex_numIfEEEvi20rocsparse_direction_NS_24const_host_device_scalarIT2_EEPKiS8_PKS5_SA_S6_PS5_21rocsparse_index_base_b.num_agpr, 0
	.set _ZN9rocsparseL19gebsrmvn_4xn_kernelILj128ELj5ELj32E21rocsparse_complex_numIfEEEvi20rocsparse_direction_NS_24const_host_device_scalarIT2_EEPKiS8_PKS5_SA_S6_PS5_21rocsparse_index_base_b.numbered_sgpr, 14
	.set _ZN9rocsparseL19gebsrmvn_4xn_kernelILj128ELj5ELj32E21rocsparse_complex_numIfEEEvi20rocsparse_direction_NS_24const_host_device_scalarIT2_EEPKiS8_PKS5_SA_S6_PS5_21rocsparse_index_base_b.num_named_barrier, 0
	.set _ZN9rocsparseL19gebsrmvn_4xn_kernelILj128ELj5ELj32E21rocsparse_complex_numIfEEEvi20rocsparse_direction_NS_24const_host_device_scalarIT2_EEPKiS8_PKS5_SA_S6_PS5_21rocsparse_index_base_b.private_seg_size, 0
	.set _ZN9rocsparseL19gebsrmvn_4xn_kernelILj128ELj5ELj32E21rocsparse_complex_numIfEEEvi20rocsparse_direction_NS_24const_host_device_scalarIT2_EEPKiS8_PKS5_SA_S6_PS5_21rocsparse_index_base_b.uses_vcc, 1
	.set _ZN9rocsparseL19gebsrmvn_4xn_kernelILj128ELj5ELj32E21rocsparse_complex_numIfEEEvi20rocsparse_direction_NS_24const_host_device_scalarIT2_EEPKiS8_PKS5_SA_S6_PS5_21rocsparse_index_base_b.uses_flat_scratch, 1
	.set _ZN9rocsparseL19gebsrmvn_4xn_kernelILj128ELj5ELj32E21rocsparse_complex_numIfEEEvi20rocsparse_direction_NS_24const_host_device_scalarIT2_EEPKiS8_PKS5_SA_S6_PS5_21rocsparse_index_base_b.has_dyn_sized_stack, 0
	.set _ZN9rocsparseL19gebsrmvn_4xn_kernelILj128ELj5ELj32E21rocsparse_complex_numIfEEEvi20rocsparse_direction_NS_24const_host_device_scalarIT2_EEPKiS8_PKS5_SA_S6_PS5_21rocsparse_index_base_b.has_recursion, 0
	.set _ZN9rocsparseL19gebsrmvn_4xn_kernelILj128ELj5ELj32E21rocsparse_complex_numIfEEEvi20rocsparse_direction_NS_24const_host_device_scalarIT2_EEPKiS8_PKS5_SA_S6_PS5_21rocsparse_index_base_b.has_indirect_call, 0
	.section	.AMDGPU.csdata,"",@progbits
; Kernel info:
; codeLenInByte = 3504
; TotalNumSgprs: 16
; NumVgprs: 84
; ScratchSize: 0
; MemoryBound: 0
; FloatMode: 240
; IeeeMode: 1
; LDSByteSize: 0 bytes/workgroup (compile time only)
; SGPRBlocks: 0
; VGPRBlocks: 5
; NumSGPRsForWavesPerEU: 16
; NumVGPRsForWavesPerEU: 84
; NamedBarCnt: 0
; Occupancy: 10
; WaveLimiterHint : 1
; COMPUTE_PGM_RSRC2:SCRATCH_EN: 0
; COMPUTE_PGM_RSRC2:USER_SGPR: 2
; COMPUTE_PGM_RSRC2:TRAP_HANDLER: 0
; COMPUTE_PGM_RSRC2:TGID_X_EN: 1
; COMPUTE_PGM_RSRC2:TGID_Y_EN: 0
; COMPUTE_PGM_RSRC2:TGID_Z_EN: 0
; COMPUTE_PGM_RSRC2:TIDIG_COMP_CNT: 0
	.section	.text._ZN9rocsparseL19gebsrmvn_4xn_kernelILj128ELj5ELj64E21rocsparse_complex_numIfEEEvi20rocsparse_direction_NS_24const_host_device_scalarIT2_EEPKiS8_PKS5_SA_S6_PS5_21rocsparse_index_base_b,"axG",@progbits,_ZN9rocsparseL19gebsrmvn_4xn_kernelILj128ELj5ELj64E21rocsparse_complex_numIfEEEvi20rocsparse_direction_NS_24const_host_device_scalarIT2_EEPKiS8_PKS5_SA_S6_PS5_21rocsparse_index_base_b,comdat
	.globl	_ZN9rocsparseL19gebsrmvn_4xn_kernelILj128ELj5ELj64E21rocsparse_complex_numIfEEEvi20rocsparse_direction_NS_24const_host_device_scalarIT2_EEPKiS8_PKS5_SA_S6_PS5_21rocsparse_index_base_b ; -- Begin function _ZN9rocsparseL19gebsrmvn_4xn_kernelILj128ELj5ELj64E21rocsparse_complex_numIfEEEvi20rocsparse_direction_NS_24const_host_device_scalarIT2_EEPKiS8_PKS5_SA_S6_PS5_21rocsparse_index_base_b
	.p2align	8
	.type	_ZN9rocsparseL19gebsrmvn_4xn_kernelILj128ELj5ELj64E21rocsparse_complex_numIfEEEvi20rocsparse_direction_NS_24const_host_device_scalarIT2_EEPKiS8_PKS5_SA_S6_PS5_21rocsparse_index_base_b,@function
_ZN9rocsparseL19gebsrmvn_4xn_kernelILj128ELj5ELj64E21rocsparse_complex_numIfEEEvi20rocsparse_direction_NS_24const_host_device_scalarIT2_EEPKiS8_PKS5_SA_S6_PS5_21rocsparse_index_base_b: ; @_ZN9rocsparseL19gebsrmvn_4xn_kernelILj128ELj5ELj64E21rocsparse_complex_numIfEEEvi20rocsparse_direction_NS_24const_host_device_scalarIT2_EEPKiS8_PKS5_SA_S6_PS5_21rocsparse_index_base_b
; %bb.0:
	s_clause 0x2
	s_load_b64 s[12:13], s[0:1], 0x40
	s_load_b64 s[2:3], s[0:1], 0x8
	;; [unrolled: 1-line block ×3, first 2 shown]
	v_mov_b32_e32 v1, 0
	s_add_nc_u64 s[6:7], s[0:1], 8
	s_add_nc_u64 s[8:9], s[0:1], 48
	s_wait_kmcnt 0x0
	s_bitcmp1_b32 s13, 0
	s_cselect_b32 s3, s7, s3
	s_cselect_b32 s2, s6, s2
	;; [unrolled: 1-line block ×4, first 2 shown]
	s_clause 0x1
	flat_load_b64 v[2:3], v1, s[2:3]
	flat_load_b64 v[4:5], v1, s[4:5]
	s_wait_loadcnt_dscnt 0x101
	v_cmp_eq_f32_e32 vcc_lo, 0, v2
	v_cmp_eq_f32_e64 s2, 0, v3
	s_wait_loadcnt_dscnt 0x0
	v_cmp_eq_f32_e64 s3, 1.0, v4
	v_cmp_eq_f32_e64 s4, 0, v5
	s_and_b32 s2, vcc_lo, s2
	s_and_b32 s3, s3, s4
	s_delay_alu instid0(SALU_CYCLE_1) | instskip(NEXT) | instid1(SALU_CYCLE_1)
	s_and_b32 s2, s2, s3
	s_xor_b32 s2, s2, -1
	s_delay_alu instid0(SALU_CYCLE_1)
	s_and_saveexec_b32 s3, s2
	s_cbranch_execz .LBB93_19
; %bb.1:
	s_load_b64 s[2:3], s[0:1], 0x0
	s_bfe_u32 s4, ttmp6, 0x4000c
	s_and_b32 s5, ttmp6, 15
	s_add_co_i32 s4, s4, 1
	s_getreg_b32 s6, hwreg(HW_REG_IB_STS2, 6, 4)
	s_mul_i32 s4, ttmp9, s4
	v_lshrrev_b32_e32 v1, 6, v0
	s_add_co_i32 s5, s5, s4
	s_cmp_eq_u32 s6, 0
	s_cselect_b32 s4, ttmp9, s5
	s_delay_alu instid0(VALU_DEP_1) | instid1(SALU_CYCLE_1)
	v_lshl_or_b32 v6, s4, 1, v1
	s_wait_kmcnt 0x0
	s_delay_alu instid0(VALU_DEP_1)
	v_cmp_gt_i32_e32 vcc_lo, s2, v6
	s_and_b32 exec_lo, exec_lo, vcc_lo
	s_cbranch_execz .LBB93_19
; %bb.2:
	s_load_b256 s[4:11], s[0:1], 0x10
	v_ashrrev_i32_e32 v7, 31, v6
	s_cmp_lg_u32 s3, 0
	s_wait_kmcnt 0x0
	s_delay_alu instid0(VALU_DEP_1)
	v_lshl_add_u64 v[8:9], v[6:7], 2, s[4:5]
	v_and_b32_e32 v7, 63, v0
	global_load_b64 v[8:9], v[8:9], off
	s_wait_loadcnt 0x0
	v_subrev_nc_u32_e32 v0, s12, v8
	v_subrev_nc_u32_e32 v18, s12, v9
	s_delay_alu instid0(VALU_DEP_2) | instskip(NEXT) | instid1(VALU_DEP_1)
	v_add_nc_u32_e32 v19, v0, v7
	v_cmp_lt_i32_e64 s2, v19, v18
	s_cbranch_scc0 .LBB93_8
; %bb.3:
	v_mov_b32_e32 v9, 0
	s_delay_alu instid0(VALU_DEP_1)
	v_dual_mov_b32 v8, v9 :: v_dual_mov_b32 v1, v9
	v_dual_mov_b32 v0, v9 :: v_dual_mov_b32 v11, v9
	;; [unrolled: 1-line block ×3, first 2 shown]
	v_mov_b32_e32 v12, v9
	s_and_saveexec_b32 s3, s2
	s_cbranch_execz .LBB93_7
; %bb.4:
	v_mad_u32 v16, v19, 20, 16
	v_dual_mov_b32 v15, 0 :: v_dual_mov_b32 v20, v19
	s_mov_b32 s4, 0
	s_delay_alu instid0(VALU_DEP_1)
	v_dual_mov_b32 v12, v15 :: v_dual_mov_b32 v13, v15
	v_dual_mov_b32 v10, v15 :: v_dual_mov_b32 v11, v15
	;; [unrolled: 1-line block ×4, first 2 shown]
.LBB93_5:                               ; =>This Inner Loop Header: Depth=1
	global_load_b32 v21, v20, s[6:7] scale_offset
	v_dual_mov_b32 v17, v15 :: v_dual_add_nc_u32 v14, -16, v16
	s_wait_xcnt 0x0
	v_add_nc_u32_e32 v20, 64, v20
	s_delay_alu instid0(VALU_DEP_2) | instskip(NEXT) | instid1(VALU_DEP_3)
	v_lshl_add_u64 v[34:35], v[14:15], 3, s[8:9]
	v_lshl_add_u64 v[62:63], v[16:17], 3, s[8:9]
	s_clause 0x2
	global_load_b128 v[22:25], v[34:35], off offset:16
	global_load_b128 v[26:29], v[34:35], off
	global_load_b128 v[30:33], v[62:63], off
	v_cmp_ge_i32_e32 vcc_lo, v20, v18
	s_or_b32 s4, vcc_lo, s4
	s_wait_loadcnt 0x3
	v_subrev_nc_u32_e32 v17, s12, v21
	s_delay_alu instid0(VALU_DEP_1) | instskip(SKIP_3) | instid1(VALU_DEP_3)
	v_lshl_add_u32 v17, v17, 2, v17
	v_add_nc_u32_e32 v14, -12, v16
	s_wait_loadcnt 0x2
	v_xor_b32_e32 v76, 0x80000000, v25
	v_add_nc_u32_e32 v21, 2, v17
	s_delay_alu instid0(VALU_DEP_3) | instskip(SKIP_3) | instid1(VALU_DEP_2)
	v_lshl_add_u64 v[50:51], v[14:15], 3, s[8:9]
	s_wait_loadcnt 0x0
	v_dual_mov_b32 v75, v32 :: v_dual_add_nc_u32 v14, -8, v16
	v_xor_b32_e32 v74, 0x80000000, v33
	v_lshl_add_u64 v[52:53], v[14:15], 3, s[8:9]
	s_clause 0x3
	global_load_b128 v[34:37], v[50:51], off offset:16
	global_load_b128 v[38:41], v[50:51], off
	global_load_b128 v[42:45], v[52:53], off offset:16
	global_load_b128 v[46:49], v[52:53], off
	global_load_b64 v[64:65], v17, s[10:11] scale_offset
	v_dual_mov_b32 v77, v24 :: v_dual_add_nc_u32 v14, -4, v16
	v_add_nc_u32_e32 v16, 0x500, v16
	s_delay_alu instid0(VALU_DEP_2)
	v_lshl_add_u64 v[58:59], v[14:15], 3, s[8:9]
	v_add_nc_u32_e32 v14, 1, v17
	global_load_b64 v[66:67], v14, s[10:11] scale_offset
	global_load_b128 v[50:53], v[58:59], off
	global_load_b64 v[68:69], v21, s[10:11] scale_offset
	global_load_b128 v[54:57], v[58:59], off offset:16
	s_wait_xcnt 0x3
	v_dual_add_nc_u32 v14, 3, v17 :: v_dual_add_nc_u32 v17, 4, v17
	global_load_b64 v[70:71], v14, s[10:11] scale_offset
	global_load_b128 v[58:61], v[62:63], off offset:16
	global_load_b64 v[72:73], v17, s[10:11] scale_offset
	s_wait_xcnt 0x1
	v_xor_b32_e32 v62, 0x80000000, v29
	v_mov_b32_e32 v63, v28
	s_wait_loadcnt 0xb
	v_xor_b32_e32 v80, 0x80000000, v37
	s_wait_loadcnt 0xa
	v_mov_b32_e32 v79, v40
	v_xor_b32_e32 v78, 0x80000000, v41
	s_wait_loadcnt 0x8
	v_dual_mov_b32 v81, v36 :: v_dual_mov_b32 v83, v48
	s_wait_loadcnt 0x7
	v_pk_fma_f32 v[8:9], v[26:27], v[64:65], v[8:9] op_sel_hi:[1,0,1]
	v_pk_fma_f32 v[12:13], v[28:29], v[64:65], v[12:13] op_sel_hi:[1,0,1]
	;; [unrolled: 1-line block ×4, first 2 shown]
	v_xor_b32_e32 v82, 0x80000000, v49
	v_pk_fma_f32 v[8:9], v[26:27], v[64:65], v[8:9] op_sel:[1,1,0] op_sel_hi:[0,1,1] neg_lo:[1,0,0]
	v_pk_fma_f32 v[12:13], v[62:63], v[64:65], v[12:13] op_sel:[0,1,0]
	v_pk_fma_f32 v[10:11], v[22:23], v[64:65], v[10:11] op_sel:[1,1,0] op_sel_hi:[0,1,1] neg_lo:[1,0,0]
	v_pk_fma_f32 v[0:1], v[76:77], v[64:65], v[0:1] op_sel:[0,1,0]
	v_xor_b32_e32 v24, 0x80000000, v45
	s_wait_loadcnt 0x6
	v_pk_fma_f32 v[8:9], v[38:39], v[66:67], v[8:9] op_sel_hi:[1,0,1]
	v_pk_fma_f32 v[12:13], v[40:41], v[66:67], v[12:13] op_sel_hi:[1,0,1]
	;; [unrolled: 1-line block ×4, first 2 shown]
	s_wait_loadcnt 0x5
	v_dual_mov_b32 v25, v44 :: v_dual_mov_b32 v23, v52
	v_pk_fma_f32 v[8:9], v[38:39], v[66:67], v[8:9] op_sel:[1,1,0] op_sel_hi:[0,1,1] neg_lo:[1,0,0]
	v_pk_fma_f32 v[12:13], v[78:79], v[66:67], v[12:13] op_sel:[0,1,0]
	v_pk_fma_f32 v[10:11], v[34:35], v[66:67], v[10:11] op_sel:[1,1,0] op_sel_hi:[0,1,1] neg_lo:[1,0,0]
	v_pk_fma_f32 v[0:1], v[80:81], v[66:67], v[0:1] op_sel:[0,1,0]
	v_xor_b32_e32 v22, 0x80000000, v53
	s_wait_loadcnt 0x4
	v_pk_fma_f32 v[8:9], v[46:47], v[68:69], v[8:9] op_sel_hi:[1,0,1]
	v_pk_fma_f32 v[12:13], v[48:49], v[68:69], v[12:13] op_sel_hi:[1,0,1]
	;; [unrolled: 1-line block ×4, first 2 shown]
	s_wait_loadcnt 0x3
	v_xor_b32_e32 v26, 0x80000000, v57
	v_pk_fma_f32 v[8:9], v[46:47], v[68:69], v[8:9] op_sel:[1,1,0] op_sel_hi:[0,1,1] neg_lo:[1,0,0]
	v_pk_fma_f32 v[12:13], v[82:83], v[68:69], v[12:13] op_sel:[0,1,0]
	v_pk_fma_f32 v[10:11], v[42:43], v[68:69], v[10:11] op_sel:[1,1,0] op_sel_hi:[0,1,1] neg_lo:[1,0,0]
	v_pk_fma_f32 v[0:1], v[24:25], v[68:69], v[0:1] op_sel:[0,1,0]
	s_wait_loadcnt 0x1
	v_dual_mov_b32 v27, v56 :: v_dual_mov_b32 v25, v60
	v_pk_fma_f32 v[8:9], v[50:51], v[70:71], v[8:9] op_sel_hi:[1,0,1]
	v_pk_fma_f32 v[12:13], v[52:53], v[70:71], v[12:13] op_sel_hi:[1,0,1]
	;; [unrolled: 1-line block ×4, first 2 shown]
	v_xor_b32_e32 v24, 0x80000000, v61
	v_pk_fma_f32 v[8:9], v[50:51], v[70:71], v[8:9] op_sel:[1,1,0] op_sel_hi:[0,1,1] neg_lo:[1,0,0]
	v_pk_fma_f32 v[12:13], v[22:23], v[70:71], v[12:13] op_sel:[0,1,0]
	v_pk_fma_f32 v[10:11], v[54:55], v[70:71], v[10:11] op_sel:[1,1,0] op_sel_hi:[0,1,1] neg_lo:[1,0,0]
	v_pk_fma_f32 v[0:1], v[26:27], v[70:71], v[0:1] op_sel:[0,1,0]
	s_wait_loadcnt 0x0
	v_pk_fma_f32 v[8:9], v[30:31], v[72:73], v[8:9] op_sel_hi:[1,0,1]
	v_pk_fma_f32 v[12:13], v[32:33], v[72:73], v[12:13] op_sel_hi:[1,0,1]
	;; [unrolled: 1-line block ×4, first 2 shown]
	s_delay_alu instid0(VALU_DEP_4) | instskip(NEXT) | instid1(VALU_DEP_4)
	v_pk_fma_f32 v[8:9], v[30:31], v[72:73], v[8:9] op_sel:[1,1,0] op_sel_hi:[0,1,1] neg_lo:[1,0,0]
	v_pk_fma_f32 v[12:13], v[74:75], v[72:73], v[12:13] op_sel:[0,1,0]
	s_delay_alu instid0(VALU_DEP_4) | instskip(NEXT) | instid1(VALU_DEP_4)
	v_pk_fma_f32 v[10:11], v[58:59], v[72:73], v[10:11] op_sel:[1,1,0] op_sel_hi:[0,1,1] neg_lo:[1,0,0]
	v_pk_fma_f32 v[0:1], v[24:25], v[72:73], v[0:1] op_sel:[0,1,0]
	s_and_not1_b32 exec_lo, exec_lo, s4
	s_cbranch_execnz .LBB93_5
; %bb.6:
	s_or_b32 exec_lo, exec_lo, s4
.LBB93_7:
	s_delay_alu instid0(SALU_CYCLE_1)
	s_or_b32 exec_lo, exec_lo, s3
	s_cbranch_execz .LBB93_9
	s_branch .LBB93_14
.LBB93_8:
                                        ; implicit-def: $vgpr9
                                        ; implicit-def: $vgpr1
                                        ; implicit-def: $vgpr11
                                        ; implicit-def: $vgpr13
.LBB93_9:
	v_mov_b32_e32 v9, 0
	s_delay_alu instid0(VALU_DEP_1)
	v_dual_mov_b32 v8, v9 :: v_dual_mov_b32 v1, v9
	v_dual_mov_b32 v0, v9 :: v_dual_mov_b32 v11, v9
	v_dual_mov_b32 v10, v9 :: v_dual_mov_b32 v13, v9
	v_mov_b32_e32 v12, v9
	s_and_saveexec_b32 s3, s2
	s_cbranch_execz .LBB93_13
; %bb.10:
	v_mad_u32 v16, v19, 20, 19
	v_mov_b32_e32 v15, 0
	s_mov_b32 s2, 0
	s_delay_alu instid0(VALU_DEP_1)
	v_dual_mov_b32 v12, v15 :: v_dual_mov_b32 v13, v15
	v_dual_mov_b32 v10, v15 :: v_dual_mov_b32 v11, v15
	;; [unrolled: 1-line block ×4, first 2 shown]
.LBB93_11:                              ; =>This Inner Loop Header: Depth=1
	global_load_b32 v17, v19, s[6:7] scale_offset
	v_subrev_nc_u32_e32 v14, 19, v16
	v_dual_add_nc_u32 v26, -6, v16 :: v_dual_add_nc_u32 v27, -15, v16
	v_dual_add_nc_u32 v60, -2, v16 :: v_dual_add_nc_u32 v25, -11, v16
	s_delay_alu instid0(VALU_DEP_3)
	v_lshl_add_u64 v[28:29], v[14:15], 3, s[8:9]
	v_dual_add_nc_u32 v24, -8, v16 :: v_dual_add_nc_u32 v50, -3, v16
	v_dual_add_nc_u32 v20, -14, v16 :: v_dual_add_nc_u32 v21, -9, v16
	;; [unrolled: 1-line block ×3, first 2 shown]
	s_clause 0x8
	global_load_b64 v[30:31], v27, s[8:9] scale_offset
	global_load_b64 v[32:33], v25, s[8:9] scale_offset
	global_load_b64 v[34:35], v26, s[8:9] scale_offset
	global_load_b64 v[36:37], v20, s[8:9] scale_offset
	global_load_b64 v[38:39], v21, s[8:9] scale_offset
	global_load_b64 v[40:41], v22, s[8:9] scale_offset
	global_load_b64 v[42:43], v23, s[8:9] scale_offset
	global_load_b64 v[44:45], v24, s[8:9] scale_offset
	global_load_b128 v[20:23], v[28:29], off offset:16
	v_dual_add_nc_u32 v54, -12, v16 :: v_dual_add_nc_u32 v55, -7, v16
	v_dual_add_nc_u32 v66, -1, v16 :: v_dual_add_nc_u32 v61, -10, v16
	v_add_nc_u32_e32 v19, 64, v19
	s_delay_alu instid0(VALU_DEP_1) | instskip(SKIP_3) | instid1(VALU_DEP_1)
	v_cmp_ge_i32_e32 vcc_lo, v19, v18
	s_or_b32 s2, vcc_lo, s2
	s_wait_loadcnt 0x9
	v_subrev_nc_u32_e32 v14, s12, v17
	v_lshl_add_u32 v14, v14, 2, v14
	global_load_b128 v[24:27], v[28:29], off
	global_load_b64 v[46:47], v14, s[10:11] scale_offset
	global_load_b64 v[48:49], v50, s[8:9] scale_offset
	v_dual_add_nc_u32 v67, -5, v16 :: v_dual_add_nc_u32 v17, 1, v14
	global_load_b64 v[28:29], v54, s[8:9] scale_offset
	global_load_b64 v[50:51], v17, s[10:11] scale_offset
	;; [unrolled: 1-line block ×3, first 2 shown]
	s_wait_xcnt 0x1
	v_add_nc_u32_e32 v17, 2, v14
	global_load_b64 v[54:55], v60, s[8:9] scale_offset
	global_load_b64 v[56:57], v17, s[10:11] scale_offset
	;; [unrolled: 1-line block ×3, first 2 shown]
	s_wait_xcnt 0x1
	v_dual_add_nc_u32 v17, 3, v14 :: v_dual_add_nc_u32 v14, 4, v14
	s_wait_loadcnt 0x8
	v_mov_b32_e32 v71, v26
	global_load_b64 v[60:61], v66, s[8:9] scale_offset
	global_load_b64 v[62:63], v17, s[10:11] scale_offset
	s_clause 0x1
	global_load_b64 v[64:65], v67, s[8:9] scale_offset
	global_load_b64 v[66:67], v16, s[8:9] scale_offset
	;; [unrolled: 1-line block ×3, first 2 shown]
	s_wait_loadcnt 0xc
	v_pk_fma_f32 v[8:9], v[24:25], v[46:47], v[8:9] op_sel_hi:[1,0,1]
	v_pk_fma_f32 v[12:13], v[36:37], v[46:47], v[12:13] op_sel_hi:[1,0,1]
	;; [unrolled: 1-line block ×4, first 2 shown]
	v_xor_b32_e32 v70, 0x80000000, v27
	v_pk_fma_f32 v[8:9], v[24:25], v[46:47], v[8:9] op_sel:[1,1,0] op_sel_hi:[0,1,1] neg_lo:[1,0,0]
	v_pk_fma_f32 v[12:13], v[36:37], v[46:47], v[12:13] op_sel:[1,1,0] op_sel_hi:[0,1,1] neg_lo:[1,0,0]
	;; [unrolled: 1-line block ×4, first 2 shown]
	v_xor_b32_e32 v24, 0x80000000, v23
	s_wait_loadcnt 0x9
	v_pk_fma_f32 v[8:9], v[26:27], v[50:51], v[8:9] op_sel_hi:[1,0,1]
	v_pk_fma_f32 v[12:13], v[42:43], v[50:51], v[12:13] op_sel_hi:[1,0,1]
	;; [unrolled: 1-line block ×4, first 2 shown]
	v_mov_b32_e32 v25, v22
	v_pk_fma_f32 v[8:9], v[70:71], v[50:51], v[8:9] op_sel:[0,1,0]
	v_pk_fma_f32 v[12:13], v[42:43], v[50:51], v[12:13] op_sel:[1,1,0] op_sel_hi:[0,1,1] neg_lo:[1,0,0]
	v_pk_fma_f32 v[10:11], v[44:45], v[50:51], v[10:11] op_sel:[1,1,0] op_sel_hi:[0,1,1] neg_lo:[1,0,0]
	;; [unrolled: 1-line block ×3, first 2 shown]
	s_wait_xcnt 0x1
	v_add_nc_u32_e32 v16, 0x500, v16
	s_wait_loadcnt 0x6
	v_pk_fma_f32 v[8:9], v[20:21], v[56:57], v[8:9] op_sel_hi:[1,0,1]
	v_pk_fma_f32 v[12:13], v[28:29], v[56:57], v[12:13] op_sel_hi:[1,0,1]
	v_pk_fma_f32 v[10:11], v[52:53], v[56:57], v[10:11] op_sel_hi:[1,0,1]
	v_pk_fma_f32 v[0:1], v[54:55], v[56:57], v[0:1] op_sel_hi:[1,0,1]
	s_delay_alu instid0(VALU_DEP_4) | instskip(NEXT) | instid1(VALU_DEP_4)
	v_pk_fma_f32 v[8:9], v[20:21], v[56:57], v[8:9] op_sel:[1,1,0] op_sel_hi:[0,1,1] neg_lo:[1,0,0]
	v_pk_fma_f32 v[12:13], v[28:29], v[56:57], v[12:13] op_sel:[1,1,0] op_sel_hi:[0,1,1] neg_lo:[1,0,0]
	s_delay_alu instid0(VALU_DEP_4) | instskip(NEXT) | instid1(VALU_DEP_4)
	v_pk_fma_f32 v[10:11], v[52:53], v[56:57], v[10:11] op_sel:[1,1,0] op_sel_hi:[0,1,1] neg_lo:[1,0,0]
	v_pk_fma_f32 v[0:1], v[54:55], v[56:57], v[0:1] op_sel:[1,1,0] op_sel_hi:[0,1,1] neg_lo:[1,0,0]
	s_wait_loadcnt 0x3
	v_pk_fma_f32 v[8:9], v[22:23], v[62:63], v[8:9] op_sel_hi:[1,0,1]
	v_pk_fma_f32 v[12:13], v[32:33], v[62:63], v[12:13] op_sel_hi:[1,0,1]
	;; [unrolled: 1-line block ×4, first 2 shown]
	s_delay_alu instid0(VALU_DEP_4) | instskip(NEXT) | instid1(VALU_DEP_4)
	v_pk_fma_f32 v[8:9], v[24:25], v[62:63], v[8:9] op_sel:[0,1,0]
	v_pk_fma_f32 v[12:13], v[32:33], v[62:63], v[12:13] op_sel:[1,1,0] op_sel_hi:[0,1,1] neg_lo:[1,0,0]
	s_delay_alu instid0(VALU_DEP_4) | instskip(NEXT) | instid1(VALU_DEP_4)
	v_pk_fma_f32 v[10:11], v[34:35], v[62:63], v[10:11] op_sel:[1,1,0] op_sel_hi:[0,1,1] neg_lo:[1,0,0]
	v_pk_fma_f32 v[0:1], v[60:61], v[62:63], v[0:1] op_sel:[1,1,0] op_sel_hi:[0,1,1] neg_lo:[1,0,0]
	s_wait_loadcnt 0x0
	v_pk_fma_f32 v[8:9], v[30:31], v[68:69], v[8:9] op_sel_hi:[1,0,1]
	v_pk_fma_f32 v[12:13], v[58:59], v[68:69], v[12:13] op_sel_hi:[1,0,1]
	;; [unrolled: 1-line block ×4, first 2 shown]
	s_delay_alu instid0(VALU_DEP_4) | instskip(NEXT) | instid1(VALU_DEP_4)
	v_pk_fma_f32 v[8:9], v[30:31], v[68:69], v[8:9] op_sel:[1,1,0] op_sel_hi:[0,1,1] neg_lo:[1,0,0]
	v_pk_fma_f32 v[12:13], v[58:59], v[68:69], v[12:13] op_sel:[1,1,0] op_sel_hi:[0,1,1] neg_lo:[1,0,0]
	s_delay_alu instid0(VALU_DEP_4) | instskip(NEXT) | instid1(VALU_DEP_4)
	v_pk_fma_f32 v[10:11], v[64:65], v[68:69], v[10:11] op_sel:[1,1,0] op_sel_hi:[0,1,1] neg_lo:[1,0,0]
	v_pk_fma_f32 v[0:1], v[66:67], v[68:69], v[0:1] op_sel:[1,1,0] op_sel_hi:[0,1,1] neg_lo:[1,0,0]
	s_and_not1_b32 exec_lo, exec_lo, s2
	s_cbranch_execnz .LBB93_11
; %bb.12:
	s_or_b32 exec_lo, exec_lo, s2
.LBB93_13:
	s_delay_alu instid0(SALU_CYCLE_1)
	s_or_b32 exec_lo, exec_lo, s3
.LBB93_14:
	v_mbcnt_lo_u32_b32 v14, -1, 0
	s_delay_alu instid0(VALU_DEP_1) | instskip(SKIP_1) | instid1(VALU_DEP_1)
	v_xor_b32_e32 v23, 16, v14
	v_or_b32_e32 v15, 32, v14
	v_cmp_gt_i32_e32 vcc_lo, 32, v15
	v_cndmask_b32_e32 v15, v14, v15, vcc_lo
	s_delay_alu instid0(VALU_DEP_1)
	v_lshlrev_b32_e32 v15, 2, v15
	ds_bpermute_b32 v17, v15, v9
	s_wait_dscnt 0x0
	v_add_f32_e32 v9, v9, v17
	ds_bpermute_b32 v19, v15, v13
	ds_bpermute_b32 v16, v15, v8
	;; [unrolled: 1-line block ×7, first 2 shown]
	s_wait_dscnt 0x6
	v_add_f32_e32 v13, v13, v19
	v_cmp_gt_i32_e32 vcc_lo, 32, v23
	s_wait_dscnt 0x5
	v_add_f32_e32 v8, v8, v16
	s_wait_dscnt 0x2
	v_dual_add_f32 v10, v10, v20 :: v_dual_add_f32 v11, v11, v21
	s_wait_dscnt 0x0
	v_dual_add_f32 v0, v0, v22 :: v_dual_add_f32 v1, v1, v15
	v_dual_cndmask_b32 v23, v14, v23 :: v_dual_add_f32 v12, v12, v18
	s_delay_alu instid0(VALU_DEP_1)
	v_lshlrev_b32_e32 v23, 2, v23
	ds_bpermute_b32 v15, v23, v8
	ds_bpermute_b32 v16, v23, v9
	;; [unrolled: 1-line block ×8, first 2 shown]
	s_wait_dscnt 0x7
	v_dual_add_f32 v8, v8, v15 :: v_dual_bitop2_b32 v23, 8, v14 bitop3:0x14
	s_delay_alu instid0(VALU_DEP_1)
	v_cmp_gt_i32_e32 vcc_lo, 32, v23
	s_wait_dscnt 0x6
	v_add_f32_e32 v9, v9, v16
	s_wait_dscnt 0x3
	v_dual_add_f32 v13, v13, v18 :: v_dual_add_f32 v10, v10, v19
	s_wait_dscnt 0x1
	v_dual_add_f32 v11, v11, v20 :: v_dual_add_f32 v0, v0, v21
	v_dual_cndmask_b32 v23, v14, v23 :: v_dual_add_f32 v12, v12, v17
	s_wait_dscnt 0x0
	s_delay_alu instid0(VALU_DEP_1)
	v_dual_add_f32 v1, v1, v22 :: v_dual_lshlrev_b32 v23, 2, v23
	ds_bpermute_b32 v15, v23, v8
	ds_bpermute_b32 v16, v23, v9
	;; [unrolled: 1-line block ×8, first 2 shown]
	s_wait_dscnt 0x7
	v_dual_add_f32 v8, v8, v15 :: v_dual_bitop2_b32 v23, 4, v14 bitop3:0x14
	s_delay_alu instid0(VALU_DEP_1)
	v_cmp_gt_i32_e32 vcc_lo, 32, v23
	s_wait_dscnt 0x4
	v_dual_add_f32 v12, v12, v17 :: v_dual_add_f32 v13, v13, v18
	s_wait_dscnt 0x3
	v_dual_add_f32 v9, v9, v16 :: v_dual_add_f32 v10, v10, v19
	s_wait_dscnt 0x2
	v_dual_add_f32 v11, v11, v20 :: v_dual_cndmask_b32 v23, v14, v23, vcc_lo
	s_wait_dscnt 0x0
	v_dual_add_f32 v0, v0, v21 :: v_dual_add_f32 v1, v1, v22
	s_delay_alu instid0(VALU_DEP_2)
	v_lshlrev_b32_e32 v23, 2, v23
	ds_bpermute_b32 v15, v23, v8
	ds_bpermute_b32 v16, v23, v9
	;; [unrolled: 1-line block ×8, first 2 shown]
	s_wait_dscnt 0x7
	v_dual_add_f32 v8, v8, v15 :: v_dual_bitop2_b32 v23, 2, v14 bitop3:0x14
	s_delay_alu instid0(VALU_DEP_1)
	v_cmp_gt_i32_e32 vcc_lo, 32, v23
	s_wait_dscnt 0x5
	v_dual_add_f32 v9, v9, v16 :: v_dual_add_f32 v12, v12, v17
	s_wait_dscnt 0x3
	v_dual_add_f32 v13, v13, v18 :: v_dual_add_f32 v15, v10, v19
	s_wait_dscnt 0x2
	v_dual_cndmask_b32 v23, v14, v23 :: v_dual_add_f32 v16, v11, v20
	s_wait_dscnt 0x0
	v_dual_add_f32 v17, v0, v21 :: v_dual_add_f32 v18, v1, v22
	s_delay_alu instid0(VALU_DEP_2)
	v_lshlrev_b32_e32 v23, 2, v23
	ds_bpermute_b32 v0, v23, v8
	ds_bpermute_b32 v1, v23, v9
	;; [unrolled: 1-line block ×8, first 2 shown]
	s_wait_dscnt 0x7
	v_dual_add_f32 v0, v8, v0 :: v_dual_bitop2_b32 v23, 1, v14 bitop3:0x14
	s_delay_alu instid0(VALU_DEP_1)
	v_cmp_gt_i32_e32 vcc_lo, 32, v23
	s_wait_dscnt 0x5
	v_dual_add_f32 v8, v9, v1 :: v_dual_add_f32 v10, v12, v10
	s_wait_dscnt 0x4
	v_add_f32_e32 v11, v13, v11
	s_wait_dscnt 0x2
	v_dual_add_f32 v12, v15, v19 :: v_dual_add_f32 v13, v16, v20
	s_wait_dscnt 0x1
	v_dual_cndmask_b32 v14, v14, v23 :: v_dual_add_f32 v1, v17, v21
	s_wait_dscnt 0x0
	v_add_f32_e32 v9, v18, v22
	v_cmp_eq_u32_e32 vcc_lo, 63, v7
	s_delay_alu instid0(VALU_DEP_3)
	v_lshlrev_b32_e32 v23, 2, v14
	ds_bpermute_b32 v16, v23, v0
	ds_bpermute_b32 v17, v23, v8
	;; [unrolled: 1-line block ×8, first 2 shown]
	s_and_b32 exec_lo, exec_lo, vcc_lo
	s_cbranch_execz .LBB93_19
; %bb.15:
	s_load_b64 s[2:3], s[0:1], 0x38
	v_cmp_eq_f32_e32 vcc_lo, 0, v4
	s_wait_xcnt 0x0
	v_cmp_eq_f32_e64 s0, 0, v5
	s_wait_dscnt 0x7
	v_add_f32_e32 v0, v0, v16
	s_wait_dscnt 0x5
	v_dual_add_f32 v20, v8, v17 :: v_dual_add_f32 v8, v10, v18
	s_wait_dscnt 0x3
	v_dual_add_f32 v18, v11, v19 :: v_dual_add_f32 v10, v12, v21
	s_wait_dscnt 0x2
	v_add_f32_e32 v16, v13, v22
	s_wait_dscnt 0x1
	v_add_f32_e32 v12, v1, v14
	;; [unrolled: 2-line block ×3, first 2 shown]
	s_and_b32 s0, vcc_lo, s0
	s_delay_alu instid0(SALU_CYCLE_1) | instskip(NEXT) | instid1(SALU_CYCLE_1)
	s_and_saveexec_b32 s1, s0
	s_xor_b32 s0, exec_lo, s1
	s_cbranch_execz .LBB93_17
; %bb.16:
	v_xor_b32_e32 v4, 0x80000000, v3
	v_dual_mov_b32 v5, v2 :: v_dual_lshlrev_b32 v6, 2, v6
	s_delay_alu instid0(VALU_DEP_1) | instskip(NEXT) | instid1(VALU_DEP_2)
	v_ashrrev_i32_e32 v7, 31, v6
	v_pk_mul_f32 v[20:21], v[20:21], v[4:5] op_sel_hi:[0,1]
	v_pk_mul_f32 v[18:19], v[18:19], v[4:5] op_sel_hi:[0,1]
	;; [unrolled: 1-line block ×4, first 2 shown]
	s_wait_kmcnt 0x0
	v_lshl_add_u64 v[22:23], v[6:7], 3, s[2:3]
	v_pk_fma_f32 v[4:5], v[2:3], v[0:1], v[20:21] op_sel_hi:[1,0,1]
	v_pk_fma_f32 v[6:7], v[2:3], v[8:9], v[18:19] op_sel_hi:[1,0,1]
	;; [unrolled: 1-line block ×4, first 2 shown]
	s_clause 0x1
	global_store_b128 v[22:23], v[4:7], off
	global_store_b128 v[22:23], v[0:3], off offset:16
                                        ; implicit-def: $vgpr6
                                        ; implicit-def: $vgpr0
                                        ; implicit-def: $vgpr20
                                        ; implicit-def: $vgpr8
                                        ; implicit-def: $vgpr18
                                        ; implicit-def: $vgpr10
                                        ; implicit-def: $vgpr16
                                        ; implicit-def: $vgpr12
                                        ; implicit-def: $vgpr14
                                        ; implicit-def: $vgpr2_vgpr3
                                        ; implicit-def: $vgpr4_vgpr5
.LBB93_17:
	s_wait_xcnt 0x0
	s_and_not1_saveexec_b32 s0, s0
	s_cbranch_execz .LBB93_19
; %bb.18:
	v_lshlrev_b32_e32 v6, 2, v6
	v_xor_b32_e32 v32, 0x80000000, v5
	s_delay_alu instid0(VALU_DEP_2) | instskip(SKIP_1) | instid1(VALU_DEP_1)
	v_dual_mov_b32 v33, v4 :: v_dual_ashrrev_i32 v7, 31, v6
	s_wait_kmcnt 0x0
	v_lshl_add_u64 v[30:31], v[6:7], 3, s[2:3]
	v_xor_b32_e32 v6, 0x80000000, v3
	v_mov_b32_e32 v7, v2
	s_clause 0x1
	global_load_b128 v[22:25], v[30:31], off
	global_load_b128 v[26:29], v[30:31], off offset:16
	v_pk_mul_f32 v[20:21], v[20:21], v[6:7] op_sel_hi:[0,1]
	v_pk_mul_f32 v[18:19], v[18:19], v[6:7] op_sel_hi:[0,1]
	v_pk_mul_f32 v[16:17], v[16:17], v[6:7] op_sel_hi:[0,1]
	v_pk_mul_f32 v[6:7], v[14:15], v[6:7] op_sel_hi:[0,1]
	s_delay_alu instid0(VALU_DEP_4) | instskip(NEXT) | instid1(VALU_DEP_4)
	v_pk_fma_f32 v[0:1], v[2:3], v[0:1], v[20:21] op_sel_hi:[1,0,1]
	v_pk_fma_f32 v[8:9], v[2:3], v[8:9], v[18:19] op_sel_hi:[1,0,1]
	s_delay_alu instid0(VALU_DEP_4) | instskip(NEXT) | instid1(VALU_DEP_4)
	v_pk_fma_f32 v[10:11], v[2:3], v[10:11], v[16:17] op_sel_hi:[1,0,1]
	v_pk_fma_f32 v[2:3], v[2:3], v[12:13], v[6:7] op_sel_hi:[1,0,1]
	s_wait_loadcnt 0x1
	v_pk_fma_f32 v[0:1], v[4:5], v[22:23], v[0:1] op_sel_hi:[1,0,1]
	v_pk_fma_f32 v[6:7], v[4:5], v[24:25], v[8:9] op_sel_hi:[1,0,1]
	s_wait_loadcnt 0x0
	v_dual_mov_b32 v8, v25 :: v_dual_mov_b32 v14, v29
	v_pk_fma_f32 v[10:11], v[4:5], v[26:27], v[10:11] op_sel_hi:[1,0,1]
	v_pk_fma_f32 v[12:13], v[4:5], v[28:29], v[2:3] op_sel_hi:[1,0,1]
	v_pk_fma_f32 v[0:1], v[32:33], v[22:23], v[0:1] op_sel:[0,1,0]
	s_delay_alu instid0(VALU_DEP_4) | instskip(NEXT) | instid1(VALU_DEP_4)
	v_pk_fma_f32 v[2:3], v[32:33], v[8:9], v[6:7] op_sel_hi:[1,0,1]
	v_pk_fma_f32 v[4:5], v[32:33], v[26:27], v[10:11] op_sel:[0,1,0]
	s_delay_alu instid0(VALU_DEP_4)
	v_pk_fma_f32 v[6:7], v[32:33], v[14:15], v[12:13] op_sel_hi:[1,0,1]
	s_clause 0x1
	global_store_b128 v[30:31], v[0:3], off
	global_store_b128 v[30:31], v[4:7], off offset:16
.LBB93_19:
	s_sendmsg sendmsg(MSG_DEALLOC_VGPRS)
	s_endpgm
	.section	.rodata,"a",@progbits
	.p2align	6, 0x0
	.amdhsa_kernel _ZN9rocsparseL19gebsrmvn_4xn_kernelILj128ELj5ELj64E21rocsparse_complex_numIfEEEvi20rocsparse_direction_NS_24const_host_device_scalarIT2_EEPKiS8_PKS5_SA_S6_PS5_21rocsparse_index_base_b
		.amdhsa_group_segment_fixed_size 0
		.amdhsa_private_segment_fixed_size 0
		.amdhsa_kernarg_size 72
		.amdhsa_user_sgpr_count 2
		.amdhsa_user_sgpr_dispatch_ptr 0
		.amdhsa_user_sgpr_queue_ptr 0
		.amdhsa_user_sgpr_kernarg_segment_ptr 1
		.amdhsa_user_sgpr_dispatch_id 0
		.amdhsa_user_sgpr_kernarg_preload_length 0
		.amdhsa_user_sgpr_kernarg_preload_offset 0
		.amdhsa_user_sgpr_private_segment_size 0
		.amdhsa_wavefront_size32 1
		.amdhsa_uses_dynamic_stack 0
		.amdhsa_enable_private_segment 0
		.amdhsa_system_sgpr_workgroup_id_x 1
		.amdhsa_system_sgpr_workgroup_id_y 0
		.amdhsa_system_sgpr_workgroup_id_z 0
		.amdhsa_system_sgpr_workgroup_info 0
		.amdhsa_system_vgpr_workitem_id 0
		.amdhsa_next_free_vgpr 84
		.amdhsa_next_free_sgpr 14
		.amdhsa_named_barrier_count 0
		.amdhsa_reserve_vcc 1
		.amdhsa_float_round_mode_32 0
		.amdhsa_float_round_mode_16_64 0
		.amdhsa_float_denorm_mode_32 3
		.amdhsa_float_denorm_mode_16_64 3
		.amdhsa_fp16_overflow 0
		.amdhsa_memory_ordered 1
		.amdhsa_forward_progress 1
		.amdhsa_inst_pref_size 29
		.amdhsa_round_robin_scheduling 0
		.amdhsa_exception_fp_ieee_invalid_op 0
		.amdhsa_exception_fp_denorm_src 0
		.amdhsa_exception_fp_ieee_div_zero 0
		.amdhsa_exception_fp_ieee_overflow 0
		.amdhsa_exception_fp_ieee_underflow 0
		.amdhsa_exception_fp_ieee_inexact 0
		.amdhsa_exception_int_div_zero 0
	.end_amdhsa_kernel
	.section	.text._ZN9rocsparseL19gebsrmvn_4xn_kernelILj128ELj5ELj64E21rocsparse_complex_numIfEEEvi20rocsparse_direction_NS_24const_host_device_scalarIT2_EEPKiS8_PKS5_SA_S6_PS5_21rocsparse_index_base_b,"axG",@progbits,_ZN9rocsparseL19gebsrmvn_4xn_kernelILj128ELj5ELj64E21rocsparse_complex_numIfEEEvi20rocsparse_direction_NS_24const_host_device_scalarIT2_EEPKiS8_PKS5_SA_S6_PS5_21rocsparse_index_base_b,comdat
.Lfunc_end93:
	.size	_ZN9rocsparseL19gebsrmvn_4xn_kernelILj128ELj5ELj64E21rocsparse_complex_numIfEEEvi20rocsparse_direction_NS_24const_host_device_scalarIT2_EEPKiS8_PKS5_SA_S6_PS5_21rocsparse_index_base_b, .Lfunc_end93-_ZN9rocsparseL19gebsrmvn_4xn_kernelILj128ELj5ELj64E21rocsparse_complex_numIfEEEvi20rocsparse_direction_NS_24const_host_device_scalarIT2_EEPKiS8_PKS5_SA_S6_PS5_21rocsparse_index_base_b
                                        ; -- End function
	.set _ZN9rocsparseL19gebsrmvn_4xn_kernelILj128ELj5ELj64E21rocsparse_complex_numIfEEEvi20rocsparse_direction_NS_24const_host_device_scalarIT2_EEPKiS8_PKS5_SA_S6_PS5_21rocsparse_index_base_b.num_vgpr, 84
	.set _ZN9rocsparseL19gebsrmvn_4xn_kernelILj128ELj5ELj64E21rocsparse_complex_numIfEEEvi20rocsparse_direction_NS_24const_host_device_scalarIT2_EEPKiS8_PKS5_SA_S6_PS5_21rocsparse_index_base_b.num_agpr, 0
	.set _ZN9rocsparseL19gebsrmvn_4xn_kernelILj128ELj5ELj64E21rocsparse_complex_numIfEEEvi20rocsparse_direction_NS_24const_host_device_scalarIT2_EEPKiS8_PKS5_SA_S6_PS5_21rocsparse_index_base_b.numbered_sgpr, 14
	.set _ZN9rocsparseL19gebsrmvn_4xn_kernelILj128ELj5ELj64E21rocsparse_complex_numIfEEEvi20rocsparse_direction_NS_24const_host_device_scalarIT2_EEPKiS8_PKS5_SA_S6_PS5_21rocsparse_index_base_b.num_named_barrier, 0
	.set _ZN9rocsparseL19gebsrmvn_4xn_kernelILj128ELj5ELj64E21rocsparse_complex_numIfEEEvi20rocsparse_direction_NS_24const_host_device_scalarIT2_EEPKiS8_PKS5_SA_S6_PS5_21rocsparse_index_base_b.private_seg_size, 0
	.set _ZN9rocsparseL19gebsrmvn_4xn_kernelILj128ELj5ELj64E21rocsparse_complex_numIfEEEvi20rocsparse_direction_NS_24const_host_device_scalarIT2_EEPKiS8_PKS5_SA_S6_PS5_21rocsparse_index_base_b.uses_vcc, 1
	.set _ZN9rocsparseL19gebsrmvn_4xn_kernelILj128ELj5ELj64E21rocsparse_complex_numIfEEEvi20rocsparse_direction_NS_24const_host_device_scalarIT2_EEPKiS8_PKS5_SA_S6_PS5_21rocsparse_index_base_b.uses_flat_scratch, 1
	.set _ZN9rocsparseL19gebsrmvn_4xn_kernelILj128ELj5ELj64E21rocsparse_complex_numIfEEEvi20rocsparse_direction_NS_24const_host_device_scalarIT2_EEPKiS8_PKS5_SA_S6_PS5_21rocsparse_index_base_b.has_dyn_sized_stack, 0
	.set _ZN9rocsparseL19gebsrmvn_4xn_kernelILj128ELj5ELj64E21rocsparse_complex_numIfEEEvi20rocsparse_direction_NS_24const_host_device_scalarIT2_EEPKiS8_PKS5_SA_S6_PS5_21rocsparse_index_base_b.has_recursion, 0
	.set _ZN9rocsparseL19gebsrmvn_4xn_kernelILj128ELj5ELj64E21rocsparse_complex_numIfEEEvi20rocsparse_direction_NS_24const_host_device_scalarIT2_EEPKiS8_PKS5_SA_S6_PS5_21rocsparse_index_base_b.has_indirect_call, 0
	.section	.AMDGPU.csdata,"",@progbits
; Kernel info:
; codeLenInByte = 3652
; TotalNumSgprs: 16
; NumVgprs: 84
; ScratchSize: 0
; MemoryBound: 0
; FloatMode: 240
; IeeeMode: 1
; LDSByteSize: 0 bytes/workgroup (compile time only)
; SGPRBlocks: 0
; VGPRBlocks: 5
; NumSGPRsForWavesPerEU: 16
; NumVGPRsForWavesPerEU: 84
; NamedBarCnt: 0
; Occupancy: 10
; WaveLimiterHint : 1
; COMPUTE_PGM_RSRC2:SCRATCH_EN: 0
; COMPUTE_PGM_RSRC2:USER_SGPR: 2
; COMPUTE_PGM_RSRC2:TRAP_HANDLER: 0
; COMPUTE_PGM_RSRC2:TGID_X_EN: 1
; COMPUTE_PGM_RSRC2:TGID_Y_EN: 0
; COMPUTE_PGM_RSRC2:TGID_Z_EN: 0
; COMPUTE_PGM_RSRC2:TIDIG_COMP_CNT: 0
	.section	.text._ZN9rocsparseL19gebsrmvn_4xn_kernelILj128ELj6ELj4E21rocsparse_complex_numIfEEEvi20rocsparse_direction_NS_24const_host_device_scalarIT2_EEPKiS8_PKS5_SA_S6_PS5_21rocsparse_index_base_b,"axG",@progbits,_ZN9rocsparseL19gebsrmvn_4xn_kernelILj128ELj6ELj4E21rocsparse_complex_numIfEEEvi20rocsparse_direction_NS_24const_host_device_scalarIT2_EEPKiS8_PKS5_SA_S6_PS5_21rocsparse_index_base_b,comdat
	.globl	_ZN9rocsparseL19gebsrmvn_4xn_kernelILj128ELj6ELj4E21rocsparse_complex_numIfEEEvi20rocsparse_direction_NS_24const_host_device_scalarIT2_EEPKiS8_PKS5_SA_S6_PS5_21rocsparse_index_base_b ; -- Begin function _ZN9rocsparseL19gebsrmvn_4xn_kernelILj128ELj6ELj4E21rocsparse_complex_numIfEEEvi20rocsparse_direction_NS_24const_host_device_scalarIT2_EEPKiS8_PKS5_SA_S6_PS5_21rocsparse_index_base_b
	.p2align	8
	.type	_ZN9rocsparseL19gebsrmvn_4xn_kernelILj128ELj6ELj4E21rocsparse_complex_numIfEEEvi20rocsparse_direction_NS_24const_host_device_scalarIT2_EEPKiS8_PKS5_SA_S6_PS5_21rocsparse_index_base_b,@function
_ZN9rocsparseL19gebsrmvn_4xn_kernelILj128ELj6ELj4E21rocsparse_complex_numIfEEEvi20rocsparse_direction_NS_24const_host_device_scalarIT2_EEPKiS8_PKS5_SA_S6_PS5_21rocsparse_index_base_b: ; @_ZN9rocsparseL19gebsrmvn_4xn_kernelILj128ELj6ELj4E21rocsparse_complex_numIfEEEvi20rocsparse_direction_NS_24const_host_device_scalarIT2_EEPKiS8_PKS5_SA_S6_PS5_21rocsparse_index_base_b
; %bb.0:
	s_clause 0x2
	s_load_b64 s[12:13], s[0:1], 0x40
	s_load_b64 s[2:3], s[0:1], 0x8
	;; [unrolled: 1-line block ×3, first 2 shown]
	v_mov_b32_e32 v1, 0
	s_add_nc_u64 s[6:7], s[0:1], 8
	s_add_nc_u64 s[8:9], s[0:1], 48
	s_wait_kmcnt 0x0
	s_bitcmp1_b32 s13, 0
	s_cselect_b32 s3, s7, s3
	s_cselect_b32 s2, s6, s2
	;; [unrolled: 1-line block ×4, first 2 shown]
	s_clause 0x1
	flat_load_b64 v[2:3], v1, s[2:3]
	flat_load_b64 v[4:5], v1, s[4:5]
	s_wait_loadcnt_dscnt 0x101
	v_cmp_eq_f32_e32 vcc_lo, 0, v2
	v_cmp_eq_f32_e64 s2, 0, v3
	s_wait_loadcnt_dscnt 0x0
	v_cmp_eq_f32_e64 s3, 1.0, v4
	v_cmp_eq_f32_e64 s4, 0, v5
	s_and_b32 s2, vcc_lo, s2
	s_and_b32 s3, s3, s4
	s_delay_alu instid0(SALU_CYCLE_1) | instskip(NEXT) | instid1(SALU_CYCLE_1)
	s_and_b32 s2, s2, s3
	s_xor_b32 s2, s2, -1
	s_delay_alu instid0(SALU_CYCLE_1)
	s_and_saveexec_b32 s3, s2
	s_cbranch_execz .LBB94_19
; %bb.1:
	s_load_b64 s[2:3], s[0:1], 0x0
	s_bfe_u32 s4, ttmp6, 0x4000c
	s_and_b32 s5, ttmp6, 15
	s_add_co_i32 s4, s4, 1
	s_getreg_b32 s6, hwreg(HW_REG_IB_STS2, 6, 4)
	s_mul_i32 s4, ttmp9, s4
	v_lshrrev_b32_e32 v1, 2, v0
	s_add_co_i32 s5, s5, s4
	s_cmp_eq_u32 s6, 0
	s_cselect_b32 s4, ttmp9, s5
	s_delay_alu instid0(VALU_DEP_1) | instid1(SALU_CYCLE_1)
	v_lshl_or_b32 v6, s4, 5, v1
	s_wait_kmcnt 0x0
	s_delay_alu instid0(VALU_DEP_1)
	v_cmp_gt_i32_e32 vcc_lo, s2, v6
	s_and_b32 exec_lo, exec_lo, vcc_lo
	s_cbranch_execz .LBB94_19
; %bb.2:
	s_load_b256 s[4:11], s[0:1], 0x10
	v_ashrrev_i32_e32 v7, 31, v6
	s_cmp_lg_u32 s3, 0
	s_wait_kmcnt 0x0
	s_delay_alu instid0(VALU_DEP_1)
	v_lshl_add_u64 v[8:9], v[6:7], 2, s[4:5]
	v_and_b32_e32 v7, 3, v0
	global_load_b64 v[8:9], v[8:9], off
	s_wait_loadcnt 0x0
	v_subrev_nc_u32_e32 v0, s12, v8
	v_subrev_nc_u32_e32 v18, s12, v9
	s_delay_alu instid0(VALU_DEP_2) | instskip(NEXT) | instid1(VALU_DEP_1)
	v_add_nc_u32_e32 v19, v0, v7
	v_cmp_lt_i32_e64 s2, v19, v18
	s_cbranch_scc0 .LBB94_8
; %bb.3:
	v_mov_b32_e32 v9, 0
	s_delay_alu instid0(VALU_DEP_1)
	v_dual_mov_b32 v8, v9 :: v_dual_mov_b32 v1, v9
	v_dual_mov_b32 v0, v9 :: v_dual_mov_b32 v11, v9
	;; [unrolled: 1-line block ×3, first 2 shown]
	v_mov_b32_e32 v12, v9
	s_and_saveexec_b32 s3, s2
	s_cbranch_execz .LBB94_7
; %bb.4:
	v_mad_u32 v16, v19, 24, 20
	v_dual_mov_b32 v15, 0 :: v_dual_mov_b32 v20, v19
	s_mov_b32 s4, 0
	s_delay_alu instid0(VALU_DEP_1)
	v_dual_mov_b32 v0, v15 :: v_dual_mov_b32 v1, v15
	v_dual_mov_b32 v10, v15 :: v_dual_mov_b32 v11, v15
	;; [unrolled: 1-line block ×4, first 2 shown]
.LBB94_5:                               ; =>This Inner Loop Header: Depth=1
	global_load_b32 v21, v20, s[6:7] scale_offset
	v_subrev_nc_u32_e32 v14, 20, v16
	v_dual_mov_b32 v59, v15 :: v_dual_mov_b32 v17, v15
	s_wait_xcnt 0x0
	v_add_nc_u32_e32 v20, 4, v20
	s_delay_alu instid0(VALU_DEP_3) | instskip(SKIP_2) | instid1(VALU_DEP_4)
	v_lshl_add_u64 v[50:51], v[14:15], 3, s[8:9]
	v_add_nc_u32_e32 v14, -12, v16
	v_lshl_add_u64 v[82:83], v[16:17], 3, s[8:9]
	v_cmp_ge_i32_e32 vcc_lo, v20, v18
	s_delay_alu instid0(VALU_DEP_3)
	v_lshl_add_u64 v[52:53], v[14:15], 3, s[8:9]
	s_clause 0x6
	global_load_b128 v[22:25], v[50:51], off
	global_load_b128 v[26:29], v[50:51], off offset:16
	global_load_b128 v[30:33], v[50:51], off offset:48
	;; [unrolled: 1-line block ×3, first 2 shown]
	global_load_b128 v[38:41], v[82:83], off
	global_load_b128 v[42:45], v[52:53], off offset:16
	global_load_b128 v[46:49], v[52:53], off
	s_or_b32 s4, vcc_lo, s4
	s_wait_loadcnt 0x7
	v_subrev_nc_u32_e32 v14, s12, v21
	s_delay_alu instid0(VALU_DEP_1)
	v_mul_lo_u32 v58, v14, 6
	s_wait_loadcnt 0x4
	v_xor_b32_e32 v90, 0x80000000, v33
	v_mov_b32_e32 v91, v32
	s_wait_loadcnt 0x2
	v_xor_b32_e32 v88, 0x80000000, v41
	s_wait_loadcnt 0x1
	v_xor_b32_e32 v96, 0x80000000, v45
	s_wait_loadcnt 0x0
	v_mov_b32_e32 v95, v48
	v_xor_b32_e32 v94, 0x80000000, v49
	v_mov_b32_e32 v89, v40
	v_lshl_add_u64 v[50:51], v[58:59], 3, s[10:11]
	v_add_nc_u32_e32 v14, 2, v58
	global_load_b128 v[50:53], v[50:51], off
	v_lshl_add_u64 v[54:55], v[14:15], 3, s[10:11]
	v_add_nc_u32_e32 v14, -8, v16
	global_load_b128 v[54:57], v[54:55], off
	v_lshl_add_u64 v[66:67], v[14:15], 3, s[8:9]
	v_dual_mov_b32 v97, v44 :: v_dual_add_nc_u32 v14, -4, v16
	v_add_nc_u32_e32 v16, 0x60, v16
	s_delay_alu instid0(VALU_DEP_2)
	v_lshl_add_u64 v[84:85], v[14:15], 3, s[8:9]
	v_add_nc_u32_e32 v14, 4, v58
	s_clause 0x1
	global_load_b128 v[58:61], v[66:67], off offset:16
	global_load_b128 v[62:65], v[66:67], off
	v_lshl_add_u64 v[86:87], v[14:15], 3, s[10:11]
	s_clause 0x1
	global_load_b128 v[66:69], v[84:85], off offset:16
	global_load_b128 v[70:73], v[84:85], off
	global_load_b128 v[74:77], v[86:87], off
	global_load_b128 v[78:81], v[82:83], off offset:16
	s_wait_xcnt 0x0
	v_xor_b32_e32 v82, 0x80000000, v25
	v_mov_b32_e32 v83, v24
	v_xor_b32_e32 v84, 0x80000000, v29
	v_mov_b32_e32 v85, v28
	;; [unrolled: 2-line block ×3, first 2 shown]
	s_wait_loadcnt 0x7
	v_pk_fma_f32 v[8:9], v[22:23], v[50:51], v[8:9] op_sel_hi:[1,0,1]
	v_pk_fma_f32 v[12:13], v[24:25], v[50:51], v[12:13] op_sel_hi:[1,0,1]
	;; [unrolled: 1-line block ×4, first 2 shown]
	v_mov_b32_e32 v14, v53
	v_pk_fma_f32 v[8:9], v[22:23], v[50:51], v[8:9] op_sel:[1,1,0] op_sel_hi:[0,1,1] neg_lo:[1,0,0]
	v_pk_fma_f32 v[12:13], v[82:83], v[50:51], v[12:13] op_sel:[0,1,0]
	v_pk_fma_f32 v[10:11], v[26:27], v[50:51], v[10:11] op_sel:[1,1,0] op_sel_hi:[0,1,1] neg_lo:[1,0,0]
	v_pk_fma_f32 v[0:1], v[84:85], v[50:51], v[0:1] op_sel:[0,1,0]
	s_wait_loadcnt 0x6
	v_mov_b32_e32 v22, v57
	v_pk_fma_f32 v[8:9], v[34:35], v[52:53], v[8:9] op_sel_hi:[1,0,1]
	v_pk_fma_f32 v[12:13], v[36:37], v[52:53], v[12:13] op_sel_hi:[1,0,1]
	;; [unrolled: 1-line block ×4, first 2 shown]
	s_wait_loadcnt 0x5
	v_xor_b32_e32 v26, 0x80000000, v61
	v_pk_fma_f32 v[8:9], v[34:35], v[14:15], v[8:9] op_sel:[1,0,0] op_sel_hi:[0,0,1] neg_lo:[1,0,0]
	v_pk_fma_f32 v[12:13], v[86:87], v[14:15], v[12:13] op_sel_hi:[1,0,1]
	v_pk_fma_f32 v[10:11], v[30:31], v[14:15], v[10:11] op_sel:[1,0,0] op_sel_hi:[0,0,1] neg_lo:[1,0,0]
	v_pk_fma_f32 v[0:1], v[90:91], v[14:15], v[0:1] op_sel_hi:[1,0,1]
	s_wait_loadcnt 0x4
	v_xor_b32_e32 v24, 0x80000000, v65
	v_pk_fma_f32 v[8:9], v[46:47], v[54:55], v[8:9] op_sel_hi:[1,0,1]
	v_pk_fma_f32 v[12:13], v[48:49], v[54:55], v[12:13] op_sel_hi:[1,0,1]
	;; [unrolled: 1-line block ×4, first 2 shown]
	v_mov_b32_e32 v25, v64
	v_pk_fma_f32 v[8:9], v[46:47], v[54:55], v[8:9] op_sel:[1,1,0] op_sel_hi:[0,1,1] neg_lo:[1,0,0]
	v_pk_fma_f32 v[12:13], v[94:95], v[54:55], v[12:13] op_sel:[0,1,0]
	v_pk_fma_f32 v[10:11], v[42:43], v[54:55], v[10:11] op_sel:[1,1,0] op_sel_hi:[0,1,1] neg_lo:[1,0,0]
	v_pk_fma_f32 v[0:1], v[96:97], v[54:55], v[0:1] op_sel:[0,1,0]
	s_wait_loadcnt 0x2
	v_dual_mov_b32 v27, v60 :: v_dual_mov_b32 v29, v72
	v_pk_fma_f32 v[8:9], v[62:63], v[56:57], v[8:9] op_sel_hi:[1,0,1]
	v_pk_fma_f32 v[12:13], v[64:65], v[56:57], v[12:13] op_sel_hi:[1,0,1]
	;; [unrolled: 1-line block ×4, first 2 shown]
	v_xor_b32_e32 v28, 0x80000000, v73
	v_pk_fma_f32 v[8:9], v[62:63], v[22:23], v[8:9] op_sel:[1,0,0] op_sel_hi:[0,0,1] neg_lo:[1,0,0]
	v_pk_fma_f32 v[12:13], v[24:25], v[22:23], v[12:13] op_sel_hi:[1,0,1]
	v_pk_fma_f32 v[10:11], v[58:59], v[22:23], v[10:11] op_sel:[1,0,0] op_sel_hi:[0,0,1] neg_lo:[1,0,0]
	v_pk_fma_f32 v[0:1], v[26:27], v[22:23], v[0:1] op_sel_hi:[1,0,1]
	v_xor_b32_e32 v30, 0x80000000, v69
	s_wait_loadcnt 0x0
	v_dual_mov_b32 v31, v68 :: v_dual_mov_b32 v93, v80
	v_pk_fma_f32 v[8:9], v[70:71], v[74:75], v[8:9] op_sel_hi:[1,0,1]
	v_pk_fma_f32 v[12:13], v[72:73], v[74:75], v[12:13] op_sel_hi:[1,0,1]
	;; [unrolled: 1-line block ×4, first 2 shown]
	v_xor_b32_e32 v92, 0x80000000, v81
	v_pk_fma_f32 v[8:9], v[70:71], v[74:75], v[8:9] op_sel:[1,1,0] op_sel_hi:[0,1,1] neg_lo:[1,0,0]
	v_pk_fma_f32 v[12:13], v[28:29], v[74:75], v[12:13] op_sel:[0,1,0]
	v_pk_fma_f32 v[10:11], v[66:67], v[74:75], v[10:11] op_sel:[1,1,0] op_sel_hi:[0,1,1] neg_lo:[1,0,0]
	v_pk_fma_f32 v[0:1], v[30:31], v[74:75], v[0:1] op_sel:[0,1,0]
	v_mov_b32_e32 v14, v77
	v_pk_fma_f32 v[8:9], v[38:39], v[76:77], v[8:9] op_sel_hi:[1,0,1]
	v_pk_fma_f32 v[12:13], v[40:41], v[76:77], v[12:13] op_sel_hi:[1,0,1]
	;; [unrolled: 1-line block ×4, first 2 shown]
	s_delay_alu instid0(VALU_DEP_4) | instskip(NEXT) | instid1(VALU_DEP_4)
	v_pk_fma_f32 v[8:9], v[38:39], v[14:15], v[8:9] op_sel:[1,0,0] op_sel_hi:[0,0,1] neg_lo:[1,0,0]
	v_pk_fma_f32 v[12:13], v[88:89], v[14:15], v[12:13] op_sel_hi:[1,0,1]
	s_delay_alu instid0(VALU_DEP_4) | instskip(NEXT) | instid1(VALU_DEP_4)
	v_pk_fma_f32 v[10:11], v[78:79], v[14:15], v[10:11] op_sel:[1,0,0] op_sel_hi:[0,0,1] neg_lo:[1,0,0]
	v_pk_fma_f32 v[0:1], v[92:93], v[14:15], v[0:1] op_sel_hi:[1,0,1]
	s_and_not1_b32 exec_lo, exec_lo, s4
	s_cbranch_execnz .LBB94_5
; %bb.6:
	s_or_b32 exec_lo, exec_lo, s4
.LBB94_7:
	s_delay_alu instid0(SALU_CYCLE_1)
	s_or_b32 exec_lo, exec_lo, s3
	s_cbranch_execz .LBB94_9
	s_branch .LBB94_14
.LBB94_8:
                                        ; implicit-def: $vgpr9
                                        ; implicit-def: $vgpr1
                                        ; implicit-def: $vgpr11
                                        ; implicit-def: $vgpr13
.LBB94_9:
	v_mov_b32_e32 v9, 0
	s_delay_alu instid0(VALU_DEP_1)
	v_dual_mov_b32 v8, v9 :: v_dual_mov_b32 v1, v9
	v_dual_mov_b32 v0, v9 :: v_dual_mov_b32 v11, v9
	;; [unrolled: 1-line block ×3, first 2 shown]
	v_mov_b32_e32 v12, v9
	s_and_saveexec_b32 s3, s2
	s_cbranch_execz .LBB94_13
; %bb.10:
	v_mad_u32 v16, v19, 24, 23
	v_mov_b32_e32 v15, 0
	s_mov_b32 s2, 0
	s_delay_alu instid0(VALU_DEP_1)
	v_dual_mov_b32 v0, v15 :: v_dual_mov_b32 v1, v15
	v_dual_mov_b32 v10, v15 :: v_dual_mov_b32 v11, v15
	;; [unrolled: 1-line block ×4, first 2 shown]
.LBB94_11:                              ; =>This Inner Loop Header: Depth=1
	global_load_b32 v17, v19, s[6:7] scale_offset
	v_subrev_nc_u32_e32 v14, 23, v16
	v_dual_add_nc_u32 v28, -11, v16 :: v_dual_add_nc_u32 v29, -5, v16
	v_dual_mov_b32 v41, v15 :: v_dual_add_nc_u32 v32, -10, v16
	s_delay_alu instid0(VALU_DEP_3)
	v_lshl_add_u64 v[48:49], v[14:15], 3, s[8:9]
	v_dual_add_nc_u32 v33, -4, v16 :: v_dual_add_nc_u32 v34, -15, v16
	s_clause 0x3
	global_load_b64 v[50:51], v28, s[8:9] scale_offset
	global_load_b64 v[52:53], v29, s[8:9] scale_offset
	global_load_b128 v[20:23], v[48:49], off
	global_load_b128 v[24:27], v[48:49], off offset:48
	v_dual_add_nc_u32 v37, -14, v16 :: v_dual_add_nc_u32 v44, -8, v16
	v_dual_add_nc_u32 v35, -9, v16 :: v_dual_add_nc_u32 v36, -3, v16
	;; [unrolled: 1-line block ×3, first 2 shown]
	s_wait_xcnt 0x4
	v_dual_add_nc_u32 v47, -7, v16 :: v_dual_add_nc_u32 v19, 4, v19
	s_delay_alu instid0(VALU_DEP_1) | instskip(SKIP_4) | instid1(VALU_DEP_2)
	v_cmp_ge_i32_e32 vcc_lo, v19, v18
	s_or_b32 s2, vcc_lo, s2
	s_wait_loadcnt 0x4
	v_subrev_nc_u32_e32 v14, s12, v17
	v_add_nc_u32_e32 v17, -12, v16
	v_mul_lo_u32 v40, v14, 6
	s_wait_loadcnt 0x1
	v_mov_b32_e32 v81, v22
	v_xor_b32_e32 v80, 0x80000000, v23
	s_delay_alu instid0(VALU_DEP_3)
	v_lshl_add_u64 v[28:29], v[40:41], 3, s[10:11]
	v_add_nc_u32_e32 v14, 2, v40
	v_add_nc_u32_e32 v41, -1, v16
	global_load_b128 v[28:31], v[28:29], off
	s_clause 0x4
	global_load_b64 v[54:55], v34, s[8:9] scale_offset
	global_load_b64 v[56:57], v37, s[8:9] scale_offset
	;; [unrolled: 1-line block ×5, first 2 shown]
	v_lshl_add_u64 v[42:43], v[14:15], 3, s[10:11]
	s_clause 0x1
	global_load_b64 v[64:65], v36, s[8:9] scale_offset
	global_load_b128 v[32:35], v[48:49], off offset:16
	global_load_b128 v[36:39], v[42:43], off
	s_clause 0x4
	global_load_b64 v[66:67], v46, s[8:9] scale_offset
	global_load_b64 v[68:69], v17, s[8:9] scale_offset
	;; [unrolled: 1-line block ×5, first 2 shown]
	v_add_nc_u32_e32 v14, 4, v40
	s_wait_loadcnt 0xd
	v_pk_fma_f32 v[10:11], v[50:51], v[28:29], v[10:11] op_sel_hi:[1,0,1]
	v_pk_fma_f32 v[8:9], v[20:21], v[28:29], v[8:9] op_sel_hi:[1,0,1]
	;; [unrolled: 1-line block ×4, first 2 shown]
	s_delay_alu instid0(VALU_DEP_4)
	v_pk_fma_f32 v[10:11], v[50:51], v[28:29], v[10:11] op_sel:[1,1,0] op_sel_hi:[0,1,1] neg_lo:[1,0,0]
	v_mov_b32_e32 v51, v26
	v_lshl_add_u64 v[78:79], v[14:15], 3, s[10:11]
	v_add_nc_u32_e32 v14, -6, v16
	s_clause 0x1
	global_load_b64 v[76:77], v41, s[8:9] scale_offset
	global_load_b128 v[40:43], v[48:49], off offset:32
	global_load_b128 v[44:47], v[78:79], off
	s_clause 0x1
	global_load_b64 v[48:49], v14, s[8:9] scale_offset
	global_load_b64 v[78:79], v16, s[8:9] scale_offset
	v_pk_fma_f32 v[8:9], v[20:21], v[28:29], v[8:9] op_sel:[1,1,0] op_sel_hi:[0,1,1] neg_lo:[1,0,0]
	v_pk_fma_f32 v[12:13], v[24:25], v[28:29], v[12:13] op_sel:[1,1,0] op_sel_hi:[0,1,1] neg_lo:[1,0,0]
	;; [unrolled: 1-line block ×3, first 2 shown]
	v_xor_b32_e32 v50, 0x80000000, v27
	s_wait_xcnt 0x1
	v_mov_b32_e32 v14, v31
	v_pk_fma_f32 v[8:9], v[22:23], v[30:31], v[8:9] op_sel_hi:[1,0,1]
	v_pk_fma_f32 v[12:13], v[26:27], v[30:31], v[12:13] op_sel_hi:[1,0,1]
	s_wait_loadcnt 0xe
	v_pk_fma_f32 v[10:11], v[60:61], v[30:31], v[10:11] op_sel_hi:[1,0,1]
	s_wait_loadcnt 0xd
	;; [unrolled: 2-line block ×3, first 2 shown]
	v_xor_b32_e32 v20, 0x80000000, v35
	v_pk_fma_f32 v[8:9], v[80:81], v[14:15], v[8:9] op_sel_hi:[1,0,1]
	v_pk_fma_f32 v[12:13], v[50:51], v[14:15], v[12:13] op_sel_hi:[1,0,1]
	v_pk_fma_f32 v[10:11], v[60:61], v[14:15], v[10:11] op_sel:[1,0,0] op_sel_hi:[0,0,1] neg_lo:[1,0,0]
	v_pk_fma_f32 v[0:1], v[62:63], v[14:15], v[0:1] op_sel:[1,0,0] op_sel_hi:[0,0,1] neg_lo:[1,0,0]
	s_wait_loadcnt 0xa
	v_dual_mov_b32 v21, v34 :: v_dual_mov_b32 v14, v39
	v_pk_fma_f32 v[8:9], v[32:33], v[36:37], v[8:9] op_sel_hi:[1,0,1]
	v_pk_fma_f32 v[12:13], v[54:55], v[36:37], v[12:13] op_sel_hi:[1,0,1]
	;; [unrolled: 1-line block ×4, first 2 shown]
	s_wait_xcnt 0x0
	v_add_nc_u32_e32 v16, 0x60, v16
	v_pk_fma_f32 v[8:9], v[32:33], v[36:37], v[8:9] op_sel:[1,1,0] op_sel_hi:[0,1,1] neg_lo:[1,0,0]
	v_pk_fma_f32 v[12:13], v[54:55], v[36:37], v[12:13] op_sel:[1,1,0] op_sel_hi:[0,1,1] neg_lo:[1,0,0]
	;; [unrolled: 1-line block ×4, first 2 shown]
	s_delay_alu instid0(VALU_DEP_4) | instskip(NEXT) | instid1(VALU_DEP_4)
	v_pk_fma_f32 v[8:9], v[34:35], v[38:39], v[8:9] op_sel_hi:[1,0,1]
	v_pk_fma_f32 v[12:13], v[56:57], v[38:39], v[12:13] op_sel_hi:[1,0,1]
	s_wait_loadcnt 0x6
	v_pk_fma_f32 v[10:11], v[72:73], v[38:39], v[10:11] op_sel_hi:[1,0,1]
	s_wait_loadcnt 0x5
	v_pk_fma_f32 v[0:1], v[74:75], v[38:39], v[0:1] op_sel_hi:[1,0,1]
	v_pk_fma_f32 v[8:9], v[20:21], v[14:15], v[8:9] op_sel_hi:[1,0,1]
	v_pk_fma_f32 v[12:13], v[56:57], v[14:15], v[12:13] op_sel:[1,0,0] op_sel_hi:[0,0,1] neg_lo:[1,0,0]
	v_pk_fma_f32 v[10:11], v[72:73], v[14:15], v[10:11] op_sel:[1,0,0] op_sel_hi:[0,0,1] neg_lo:[1,0,0]
	s_delay_alu instid0(VALU_DEP_4)
	v_pk_fma_f32 v[0:1], v[74:75], v[14:15], v[0:1] op_sel:[1,0,0] op_sel_hi:[0,0,1] neg_lo:[1,0,0]
	s_wait_loadcnt 0x3
	v_xor_b32_e32 v20, 0x80000000, v43
	s_wait_loadcnt 0x2
	v_pk_fma_f32 v[8:9], v[40:41], v[44:45], v[8:9] op_sel_hi:[1,0,1]
	v_pk_fma_f32 v[12:13], v[66:67], v[44:45], v[12:13] op_sel_hi:[1,0,1]
	;; [unrolled: 1-line block ×4, first 2 shown]
	v_mov_b32_e32 v21, v42
	v_pk_fma_f32 v[8:9], v[40:41], v[44:45], v[8:9] op_sel:[1,1,0] op_sel_hi:[0,1,1] neg_lo:[1,0,0]
	v_pk_fma_f32 v[12:13], v[66:67], v[44:45], v[12:13] op_sel:[1,1,0] op_sel_hi:[0,1,1] neg_lo:[1,0,0]
	;; [unrolled: 1-line block ×4, first 2 shown]
	v_mov_b32_e32 v14, v47
	v_pk_fma_f32 v[8:9], v[42:43], v[46:47], v[8:9] op_sel_hi:[1,0,1]
	v_pk_fma_f32 v[12:13], v[68:69], v[46:47], v[12:13] op_sel_hi:[1,0,1]
	s_wait_loadcnt 0x1
	v_pk_fma_f32 v[10:11], v[48:49], v[46:47], v[10:11] op_sel_hi:[1,0,1]
	s_wait_loadcnt 0x0
	v_pk_fma_f32 v[0:1], v[78:79], v[46:47], v[0:1] op_sel_hi:[1,0,1]
	v_pk_fma_f32 v[8:9], v[20:21], v[14:15], v[8:9] op_sel_hi:[1,0,1]
	v_pk_fma_f32 v[12:13], v[68:69], v[14:15], v[12:13] op_sel:[1,0,0] op_sel_hi:[0,0,1] neg_lo:[1,0,0]
	v_pk_fma_f32 v[10:11], v[48:49], v[14:15], v[10:11] op_sel:[1,0,0] op_sel_hi:[0,0,1] neg_lo:[1,0,0]
	s_delay_alu instid0(VALU_DEP_4)
	v_pk_fma_f32 v[0:1], v[78:79], v[14:15], v[0:1] op_sel:[1,0,0] op_sel_hi:[0,0,1] neg_lo:[1,0,0]
	s_and_not1_b32 exec_lo, exec_lo, s2
	s_cbranch_execnz .LBB94_11
; %bb.12:
	s_or_b32 exec_lo, exec_lo, s2
.LBB94_13:
	s_delay_alu instid0(SALU_CYCLE_1)
	s_or_b32 exec_lo, exec_lo, s3
.LBB94_14:
	v_mbcnt_lo_u32_b32 v14, -1, 0
	s_delay_alu instid0(VALU_DEP_1) | instskip(SKIP_1) | instid1(VALU_DEP_1)
	v_xor_b32_e32 v23, 1, v14
	v_xor_b32_e32 v15, 2, v14
	v_cmp_gt_i32_e32 vcc_lo, 32, v15
	v_cndmask_b32_e32 v15, v14, v15, vcc_lo
	s_delay_alu instid0(VALU_DEP_4) | instskip(SKIP_2) | instid1(VALU_DEP_2)
	v_cmp_gt_i32_e32 vcc_lo, 32, v23
	v_cndmask_b32_e32 v14, v14, v23, vcc_lo
	v_cmp_eq_u32_e32 vcc_lo, 3, v7
	v_dual_lshlrev_b32 v23, 2, v14 :: v_dual_lshlrev_b32 v15, 2, v15
	ds_bpermute_b32 v16, v15, v8
	s_wait_dscnt 0x0
	v_add_f32_e32 v8, v8, v16
	ds_bpermute_b32 v17, v15, v9
	ds_bpermute_b32 v18, v15, v12
	;; [unrolled: 1-line block ×7, first 2 shown]
	s_wait_dscnt 0x5
	v_dual_add_f32 v14, v9, v17 :: v_dual_add_f32 v12, v12, v18
	s_wait_dscnt 0x3
	v_dual_add_f32 v13, v13, v19 :: v_dual_add_f32 v10, v10, v20
	;; [unrolled: 2-line block ×3, first 2 shown]
	s_wait_dscnt 0x0
	v_add_f32_e32 v1, v1, v15
	ds_bpermute_b32 v0, v23, v8
	ds_bpermute_b32 v16, v23, v14
	;; [unrolled: 1-line block ×8, first 2 shown]
	s_and_b32 exec_lo, exec_lo, vcc_lo
	s_cbranch_execz .LBB94_19
; %bb.15:
	s_load_b64 s[2:3], s[0:1], 0x38
	v_cmp_eq_f32_e32 vcc_lo, 0, v4
	s_wait_xcnt 0x0
	v_cmp_eq_f32_e64 s0, 0, v5
	s_wait_dscnt 0x7
	v_add_f32_e32 v0, v8, v0
	s_wait_dscnt 0x5
	v_dual_add_f32 v20, v14, v16 :: v_dual_add_f32 v8, v12, v18
	s_wait_dscnt 0x3
	v_dual_add_f32 v18, v13, v19 :: v_dual_add_f32 v10, v10, v21
	;; [unrolled: 2-line block ×3, first 2 shown]
	s_wait_dscnt 0x0
	v_add_f32_e32 v14, v1, v17
	s_and_b32 s0, vcc_lo, s0
	s_delay_alu instid0(SALU_CYCLE_1) | instskip(NEXT) | instid1(SALU_CYCLE_1)
	s_and_saveexec_b32 s1, s0
	s_xor_b32 s0, exec_lo, s1
	s_cbranch_execz .LBB94_17
; %bb.16:
	v_xor_b32_e32 v4, 0x80000000, v3
	v_dual_mov_b32 v5, v2 :: v_dual_lshlrev_b32 v6, 2, v6
	s_delay_alu instid0(VALU_DEP_1) | instskip(NEXT) | instid1(VALU_DEP_2)
	v_ashrrev_i32_e32 v7, 31, v6
	v_pk_mul_f32 v[20:21], v[20:21], v[4:5] op_sel_hi:[0,1]
	v_pk_mul_f32 v[18:19], v[18:19], v[4:5] op_sel_hi:[0,1]
	;; [unrolled: 1-line block ×4, first 2 shown]
	s_wait_kmcnt 0x0
	v_lshl_add_u64 v[22:23], v[6:7], 3, s[2:3]
	v_pk_fma_f32 v[4:5], v[2:3], v[0:1], v[20:21] op_sel_hi:[1,0,1]
	v_pk_fma_f32 v[6:7], v[2:3], v[8:9], v[18:19] op_sel_hi:[1,0,1]
	;; [unrolled: 1-line block ×4, first 2 shown]
	s_clause 0x1
	global_store_b128 v[22:23], v[4:7], off
	global_store_b128 v[22:23], v[0:3], off offset:16
                                        ; implicit-def: $vgpr6
                                        ; implicit-def: $vgpr0
                                        ; implicit-def: $vgpr20
                                        ; implicit-def: $vgpr8
                                        ; implicit-def: $vgpr18
                                        ; implicit-def: $vgpr10
                                        ; implicit-def: $vgpr16
                                        ; implicit-def: $vgpr12
                                        ; implicit-def: $vgpr14
                                        ; implicit-def: $vgpr2_vgpr3
                                        ; implicit-def: $vgpr4_vgpr5
.LBB94_17:
	s_wait_xcnt 0x0
	s_and_not1_saveexec_b32 s0, s0
	s_cbranch_execz .LBB94_19
; %bb.18:
	v_lshlrev_b32_e32 v6, 2, v6
	v_xor_b32_e32 v32, 0x80000000, v5
	s_delay_alu instid0(VALU_DEP_2) | instskip(SKIP_1) | instid1(VALU_DEP_1)
	v_dual_mov_b32 v33, v4 :: v_dual_ashrrev_i32 v7, 31, v6
	s_wait_kmcnt 0x0
	v_lshl_add_u64 v[30:31], v[6:7], 3, s[2:3]
	v_xor_b32_e32 v6, 0x80000000, v3
	v_mov_b32_e32 v7, v2
	s_clause 0x1
	global_load_b128 v[22:25], v[30:31], off
	global_load_b128 v[26:29], v[30:31], off offset:16
	v_pk_mul_f32 v[20:21], v[20:21], v[6:7] op_sel_hi:[0,1]
	v_pk_mul_f32 v[18:19], v[18:19], v[6:7] op_sel_hi:[0,1]
	v_pk_mul_f32 v[16:17], v[16:17], v[6:7] op_sel_hi:[0,1]
	v_pk_mul_f32 v[6:7], v[14:15], v[6:7] op_sel_hi:[0,1]
	s_delay_alu instid0(VALU_DEP_4) | instskip(NEXT) | instid1(VALU_DEP_4)
	v_pk_fma_f32 v[0:1], v[2:3], v[0:1], v[20:21] op_sel_hi:[1,0,1]
	v_pk_fma_f32 v[8:9], v[2:3], v[8:9], v[18:19] op_sel_hi:[1,0,1]
	s_delay_alu instid0(VALU_DEP_4) | instskip(NEXT) | instid1(VALU_DEP_4)
	v_pk_fma_f32 v[10:11], v[2:3], v[10:11], v[16:17] op_sel_hi:[1,0,1]
	v_pk_fma_f32 v[2:3], v[2:3], v[12:13], v[6:7] op_sel_hi:[1,0,1]
	s_wait_loadcnt 0x1
	v_pk_fma_f32 v[0:1], v[4:5], v[22:23], v[0:1] op_sel_hi:[1,0,1]
	v_pk_fma_f32 v[6:7], v[4:5], v[24:25], v[8:9] op_sel_hi:[1,0,1]
	s_wait_loadcnt 0x0
	v_dual_mov_b32 v8, v25 :: v_dual_mov_b32 v14, v29
	v_pk_fma_f32 v[10:11], v[4:5], v[26:27], v[10:11] op_sel_hi:[1,0,1]
	v_pk_fma_f32 v[12:13], v[4:5], v[28:29], v[2:3] op_sel_hi:[1,0,1]
	v_pk_fma_f32 v[0:1], v[32:33], v[22:23], v[0:1] op_sel:[0,1,0]
	s_delay_alu instid0(VALU_DEP_4) | instskip(NEXT) | instid1(VALU_DEP_4)
	v_pk_fma_f32 v[2:3], v[32:33], v[8:9], v[6:7] op_sel_hi:[1,0,1]
	v_pk_fma_f32 v[4:5], v[32:33], v[26:27], v[10:11] op_sel:[0,1,0]
	s_delay_alu instid0(VALU_DEP_4)
	v_pk_fma_f32 v[6:7], v[32:33], v[14:15], v[12:13] op_sel_hi:[1,0,1]
	s_clause 0x1
	global_store_b128 v[30:31], v[0:3], off
	global_store_b128 v[30:31], v[4:7], off offset:16
.LBB94_19:
	s_sendmsg sendmsg(MSG_DEALLOC_VGPRS)
	s_endpgm
	.section	.rodata,"a",@progbits
	.p2align	6, 0x0
	.amdhsa_kernel _ZN9rocsparseL19gebsrmvn_4xn_kernelILj128ELj6ELj4E21rocsparse_complex_numIfEEEvi20rocsparse_direction_NS_24const_host_device_scalarIT2_EEPKiS8_PKS5_SA_S6_PS5_21rocsparse_index_base_b
		.amdhsa_group_segment_fixed_size 0
		.amdhsa_private_segment_fixed_size 0
		.amdhsa_kernarg_size 72
		.amdhsa_user_sgpr_count 2
		.amdhsa_user_sgpr_dispatch_ptr 0
		.amdhsa_user_sgpr_queue_ptr 0
		.amdhsa_user_sgpr_kernarg_segment_ptr 1
		.amdhsa_user_sgpr_dispatch_id 0
		.amdhsa_user_sgpr_kernarg_preload_length 0
		.amdhsa_user_sgpr_kernarg_preload_offset 0
		.amdhsa_user_sgpr_private_segment_size 0
		.amdhsa_wavefront_size32 1
		.amdhsa_uses_dynamic_stack 0
		.amdhsa_enable_private_segment 0
		.amdhsa_system_sgpr_workgroup_id_x 1
		.amdhsa_system_sgpr_workgroup_id_y 0
		.amdhsa_system_sgpr_workgroup_id_z 0
		.amdhsa_system_sgpr_workgroup_info 0
		.amdhsa_system_vgpr_workitem_id 0
		.amdhsa_next_free_vgpr 98
		.amdhsa_next_free_sgpr 14
		.amdhsa_named_barrier_count 0
		.amdhsa_reserve_vcc 1
		.amdhsa_float_round_mode_32 0
		.amdhsa_float_round_mode_16_64 0
		.amdhsa_float_denorm_mode_32 3
		.amdhsa_float_denorm_mode_16_64 3
		.amdhsa_fp16_overflow 0
		.amdhsa_memory_ordered 1
		.amdhsa_forward_progress 1
		.amdhsa_inst_pref_size 26
		.amdhsa_round_robin_scheduling 0
		.amdhsa_exception_fp_ieee_invalid_op 0
		.amdhsa_exception_fp_denorm_src 0
		.amdhsa_exception_fp_ieee_div_zero 0
		.amdhsa_exception_fp_ieee_overflow 0
		.amdhsa_exception_fp_ieee_underflow 0
		.amdhsa_exception_fp_ieee_inexact 0
		.amdhsa_exception_int_div_zero 0
	.end_amdhsa_kernel
	.section	.text._ZN9rocsparseL19gebsrmvn_4xn_kernelILj128ELj6ELj4E21rocsparse_complex_numIfEEEvi20rocsparse_direction_NS_24const_host_device_scalarIT2_EEPKiS8_PKS5_SA_S6_PS5_21rocsparse_index_base_b,"axG",@progbits,_ZN9rocsparseL19gebsrmvn_4xn_kernelILj128ELj6ELj4E21rocsparse_complex_numIfEEEvi20rocsparse_direction_NS_24const_host_device_scalarIT2_EEPKiS8_PKS5_SA_S6_PS5_21rocsparse_index_base_b,comdat
.Lfunc_end94:
	.size	_ZN9rocsparseL19gebsrmvn_4xn_kernelILj128ELj6ELj4E21rocsparse_complex_numIfEEEvi20rocsparse_direction_NS_24const_host_device_scalarIT2_EEPKiS8_PKS5_SA_S6_PS5_21rocsparse_index_base_b, .Lfunc_end94-_ZN9rocsparseL19gebsrmvn_4xn_kernelILj128ELj6ELj4E21rocsparse_complex_numIfEEEvi20rocsparse_direction_NS_24const_host_device_scalarIT2_EEPKiS8_PKS5_SA_S6_PS5_21rocsparse_index_base_b
                                        ; -- End function
	.set _ZN9rocsparseL19gebsrmvn_4xn_kernelILj128ELj6ELj4E21rocsparse_complex_numIfEEEvi20rocsparse_direction_NS_24const_host_device_scalarIT2_EEPKiS8_PKS5_SA_S6_PS5_21rocsparse_index_base_b.num_vgpr, 98
	.set _ZN9rocsparseL19gebsrmvn_4xn_kernelILj128ELj6ELj4E21rocsparse_complex_numIfEEEvi20rocsparse_direction_NS_24const_host_device_scalarIT2_EEPKiS8_PKS5_SA_S6_PS5_21rocsparse_index_base_b.num_agpr, 0
	.set _ZN9rocsparseL19gebsrmvn_4xn_kernelILj128ELj6ELj4E21rocsparse_complex_numIfEEEvi20rocsparse_direction_NS_24const_host_device_scalarIT2_EEPKiS8_PKS5_SA_S6_PS5_21rocsparse_index_base_b.numbered_sgpr, 14
	.set _ZN9rocsparseL19gebsrmvn_4xn_kernelILj128ELj6ELj4E21rocsparse_complex_numIfEEEvi20rocsparse_direction_NS_24const_host_device_scalarIT2_EEPKiS8_PKS5_SA_S6_PS5_21rocsparse_index_base_b.num_named_barrier, 0
	.set _ZN9rocsparseL19gebsrmvn_4xn_kernelILj128ELj6ELj4E21rocsparse_complex_numIfEEEvi20rocsparse_direction_NS_24const_host_device_scalarIT2_EEPKiS8_PKS5_SA_S6_PS5_21rocsparse_index_base_b.private_seg_size, 0
	.set _ZN9rocsparseL19gebsrmvn_4xn_kernelILj128ELj6ELj4E21rocsparse_complex_numIfEEEvi20rocsparse_direction_NS_24const_host_device_scalarIT2_EEPKiS8_PKS5_SA_S6_PS5_21rocsparse_index_base_b.uses_vcc, 1
	.set _ZN9rocsparseL19gebsrmvn_4xn_kernelILj128ELj6ELj4E21rocsparse_complex_numIfEEEvi20rocsparse_direction_NS_24const_host_device_scalarIT2_EEPKiS8_PKS5_SA_S6_PS5_21rocsparse_index_base_b.uses_flat_scratch, 1
	.set _ZN9rocsparseL19gebsrmvn_4xn_kernelILj128ELj6ELj4E21rocsparse_complex_numIfEEEvi20rocsparse_direction_NS_24const_host_device_scalarIT2_EEPKiS8_PKS5_SA_S6_PS5_21rocsparse_index_base_b.has_dyn_sized_stack, 0
	.set _ZN9rocsparseL19gebsrmvn_4xn_kernelILj128ELj6ELj4E21rocsparse_complex_numIfEEEvi20rocsparse_direction_NS_24const_host_device_scalarIT2_EEPKiS8_PKS5_SA_S6_PS5_21rocsparse_index_base_b.has_recursion, 0
	.set _ZN9rocsparseL19gebsrmvn_4xn_kernelILj128ELj6ELj4E21rocsparse_complex_numIfEEEvi20rocsparse_direction_NS_24const_host_device_scalarIT2_EEPKiS8_PKS5_SA_S6_PS5_21rocsparse_index_base_b.has_indirect_call, 0
	.section	.AMDGPU.csdata,"",@progbits
; Kernel info:
; codeLenInByte = 3316
; TotalNumSgprs: 16
; NumVgprs: 98
; ScratchSize: 0
; MemoryBound: 0
; FloatMode: 240
; IeeeMode: 1
; LDSByteSize: 0 bytes/workgroup (compile time only)
; SGPRBlocks: 0
; VGPRBlocks: 6
; NumSGPRsForWavesPerEU: 16
; NumVGPRsForWavesPerEU: 98
; NamedBarCnt: 0
; Occupancy: 9
; WaveLimiterHint : 1
; COMPUTE_PGM_RSRC2:SCRATCH_EN: 0
; COMPUTE_PGM_RSRC2:USER_SGPR: 2
; COMPUTE_PGM_RSRC2:TRAP_HANDLER: 0
; COMPUTE_PGM_RSRC2:TGID_X_EN: 1
; COMPUTE_PGM_RSRC2:TGID_Y_EN: 0
; COMPUTE_PGM_RSRC2:TGID_Z_EN: 0
; COMPUTE_PGM_RSRC2:TIDIG_COMP_CNT: 0
	.section	.text._ZN9rocsparseL19gebsrmvn_4xn_kernelILj128ELj6ELj8E21rocsparse_complex_numIfEEEvi20rocsparse_direction_NS_24const_host_device_scalarIT2_EEPKiS8_PKS5_SA_S6_PS5_21rocsparse_index_base_b,"axG",@progbits,_ZN9rocsparseL19gebsrmvn_4xn_kernelILj128ELj6ELj8E21rocsparse_complex_numIfEEEvi20rocsparse_direction_NS_24const_host_device_scalarIT2_EEPKiS8_PKS5_SA_S6_PS5_21rocsparse_index_base_b,comdat
	.globl	_ZN9rocsparseL19gebsrmvn_4xn_kernelILj128ELj6ELj8E21rocsparse_complex_numIfEEEvi20rocsparse_direction_NS_24const_host_device_scalarIT2_EEPKiS8_PKS5_SA_S6_PS5_21rocsparse_index_base_b ; -- Begin function _ZN9rocsparseL19gebsrmvn_4xn_kernelILj128ELj6ELj8E21rocsparse_complex_numIfEEEvi20rocsparse_direction_NS_24const_host_device_scalarIT2_EEPKiS8_PKS5_SA_S6_PS5_21rocsparse_index_base_b
	.p2align	8
	.type	_ZN9rocsparseL19gebsrmvn_4xn_kernelILj128ELj6ELj8E21rocsparse_complex_numIfEEEvi20rocsparse_direction_NS_24const_host_device_scalarIT2_EEPKiS8_PKS5_SA_S6_PS5_21rocsparse_index_base_b,@function
_ZN9rocsparseL19gebsrmvn_4xn_kernelILj128ELj6ELj8E21rocsparse_complex_numIfEEEvi20rocsparse_direction_NS_24const_host_device_scalarIT2_EEPKiS8_PKS5_SA_S6_PS5_21rocsparse_index_base_b: ; @_ZN9rocsparseL19gebsrmvn_4xn_kernelILj128ELj6ELj8E21rocsparse_complex_numIfEEEvi20rocsparse_direction_NS_24const_host_device_scalarIT2_EEPKiS8_PKS5_SA_S6_PS5_21rocsparse_index_base_b
; %bb.0:
	s_clause 0x2
	s_load_b64 s[12:13], s[0:1], 0x40
	s_load_b64 s[2:3], s[0:1], 0x8
	;; [unrolled: 1-line block ×3, first 2 shown]
	v_mov_b32_e32 v1, 0
	s_add_nc_u64 s[6:7], s[0:1], 8
	s_add_nc_u64 s[8:9], s[0:1], 48
	s_wait_kmcnt 0x0
	s_bitcmp1_b32 s13, 0
	s_cselect_b32 s3, s7, s3
	s_cselect_b32 s2, s6, s2
	;; [unrolled: 1-line block ×4, first 2 shown]
	s_clause 0x1
	flat_load_b64 v[2:3], v1, s[2:3]
	flat_load_b64 v[4:5], v1, s[4:5]
	s_wait_loadcnt_dscnt 0x101
	v_cmp_eq_f32_e32 vcc_lo, 0, v2
	v_cmp_eq_f32_e64 s2, 0, v3
	s_wait_loadcnt_dscnt 0x0
	v_cmp_eq_f32_e64 s3, 1.0, v4
	v_cmp_eq_f32_e64 s4, 0, v5
	s_and_b32 s2, vcc_lo, s2
	s_and_b32 s3, s3, s4
	s_delay_alu instid0(SALU_CYCLE_1) | instskip(NEXT) | instid1(SALU_CYCLE_1)
	s_and_b32 s2, s2, s3
	s_xor_b32 s2, s2, -1
	s_delay_alu instid0(SALU_CYCLE_1)
	s_and_saveexec_b32 s3, s2
	s_cbranch_execz .LBB95_19
; %bb.1:
	s_load_b64 s[2:3], s[0:1], 0x0
	s_bfe_u32 s4, ttmp6, 0x4000c
	s_and_b32 s5, ttmp6, 15
	s_add_co_i32 s4, s4, 1
	s_getreg_b32 s6, hwreg(HW_REG_IB_STS2, 6, 4)
	s_mul_i32 s4, ttmp9, s4
	v_lshrrev_b32_e32 v1, 3, v0
	s_add_co_i32 s5, s5, s4
	s_cmp_eq_u32 s6, 0
	s_cselect_b32 s4, ttmp9, s5
	s_delay_alu instid0(VALU_DEP_1) | instid1(SALU_CYCLE_1)
	v_lshl_or_b32 v6, s4, 4, v1
	s_wait_kmcnt 0x0
	s_delay_alu instid0(VALU_DEP_1)
	v_cmp_gt_i32_e32 vcc_lo, s2, v6
	s_and_b32 exec_lo, exec_lo, vcc_lo
	s_cbranch_execz .LBB95_19
; %bb.2:
	s_load_b256 s[4:11], s[0:1], 0x10
	v_ashrrev_i32_e32 v7, 31, v6
	s_cmp_lg_u32 s3, 0
	s_wait_kmcnt 0x0
	s_delay_alu instid0(VALU_DEP_1)
	v_lshl_add_u64 v[8:9], v[6:7], 2, s[4:5]
	v_and_b32_e32 v7, 7, v0
	global_load_b64 v[8:9], v[8:9], off
	s_wait_loadcnt 0x0
	v_subrev_nc_u32_e32 v0, s12, v8
	v_subrev_nc_u32_e32 v18, s12, v9
	s_delay_alu instid0(VALU_DEP_2) | instskip(NEXT) | instid1(VALU_DEP_1)
	v_add_nc_u32_e32 v19, v0, v7
	v_cmp_lt_i32_e64 s2, v19, v18
	s_cbranch_scc0 .LBB95_8
; %bb.3:
	v_mov_b32_e32 v9, 0
	s_delay_alu instid0(VALU_DEP_1)
	v_dual_mov_b32 v8, v9 :: v_dual_mov_b32 v1, v9
	v_dual_mov_b32 v0, v9 :: v_dual_mov_b32 v11, v9
	;; [unrolled: 1-line block ×3, first 2 shown]
	v_mov_b32_e32 v12, v9
	s_and_saveexec_b32 s3, s2
	s_cbranch_execz .LBB95_7
; %bb.4:
	v_mad_u32 v16, v19, 24, 20
	v_dual_mov_b32 v15, 0 :: v_dual_mov_b32 v20, v19
	s_mov_b32 s4, 0
	s_delay_alu instid0(VALU_DEP_1)
	v_dual_mov_b32 v0, v15 :: v_dual_mov_b32 v1, v15
	v_dual_mov_b32 v10, v15 :: v_dual_mov_b32 v11, v15
	;; [unrolled: 1-line block ×4, first 2 shown]
.LBB95_5:                               ; =>This Inner Loop Header: Depth=1
	global_load_b32 v21, v20, s[6:7] scale_offset
	v_subrev_nc_u32_e32 v14, 20, v16
	v_dual_mov_b32 v59, v15 :: v_dual_mov_b32 v17, v15
	s_wait_xcnt 0x0
	v_add_nc_u32_e32 v20, 8, v20
	s_delay_alu instid0(VALU_DEP_3) | instskip(SKIP_2) | instid1(VALU_DEP_4)
	v_lshl_add_u64 v[50:51], v[14:15], 3, s[8:9]
	v_add_nc_u32_e32 v14, -12, v16
	v_lshl_add_u64 v[82:83], v[16:17], 3, s[8:9]
	v_cmp_ge_i32_e32 vcc_lo, v20, v18
	s_delay_alu instid0(VALU_DEP_3)
	v_lshl_add_u64 v[52:53], v[14:15], 3, s[8:9]
	s_clause 0x6
	global_load_b128 v[22:25], v[50:51], off
	global_load_b128 v[26:29], v[50:51], off offset:16
	global_load_b128 v[30:33], v[50:51], off offset:48
	;; [unrolled: 1-line block ×3, first 2 shown]
	global_load_b128 v[38:41], v[82:83], off
	global_load_b128 v[42:45], v[52:53], off offset:16
	global_load_b128 v[46:49], v[52:53], off
	s_or_b32 s4, vcc_lo, s4
	s_wait_loadcnt 0x7
	v_subrev_nc_u32_e32 v14, s12, v21
	s_delay_alu instid0(VALU_DEP_1)
	v_mul_lo_u32 v58, v14, 6
	s_wait_loadcnt 0x4
	v_xor_b32_e32 v90, 0x80000000, v33
	v_mov_b32_e32 v91, v32
	s_wait_loadcnt 0x2
	v_xor_b32_e32 v88, 0x80000000, v41
	s_wait_loadcnt 0x1
	v_xor_b32_e32 v96, 0x80000000, v45
	s_wait_loadcnt 0x0
	v_mov_b32_e32 v95, v48
	v_xor_b32_e32 v94, 0x80000000, v49
	v_mov_b32_e32 v89, v40
	v_lshl_add_u64 v[50:51], v[58:59], 3, s[10:11]
	v_add_nc_u32_e32 v14, 2, v58
	global_load_b128 v[50:53], v[50:51], off
	v_lshl_add_u64 v[54:55], v[14:15], 3, s[10:11]
	v_add_nc_u32_e32 v14, -8, v16
	global_load_b128 v[54:57], v[54:55], off
	v_lshl_add_u64 v[66:67], v[14:15], 3, s[8:9]
	v_dual_mov_b32 v97, v44 :: v_dual_add_nc_u32 v14, -4, v16
	v_add_nc_u32_e32 v16, 0xc0, v16
	s_delay_alu instid0(VALU_DEP_2)
	v_lshl_add_u64 v[84:85], v[14:15], 3, s[8:9]
	v_add_nc_u32_e32 v14, 4, v58
	s_clause 0x1
	global_load_b128 v[58:61], v[66:67], off offset:16
	global_load_b128 v[62:65], v[66:67], off
	v_lshl_add_u64 v[86:87], v[14:15], 3, s[10:11]
	s_clause 0x1
	global_load_b128 v[66:69], v[84:85], off offset:16
	global_load_b128 v[70:73], v[84:85], off
	global_load_b128 v[74:77], v[86:87], off
	global_load_b128 v[78:81], v[82:83], off offset:16
	s_wait_xcnt 0x0
	v_xor_b32_e32 v82, 0x80000000, v25
	v_mov_b32_e32 v83, v24
	v_xor_b32_e32 v84, 0x80000000, v29
	v_mov_b32_e32 v85, v28
	;; [unrolled: 2-line block ×3, first 2 shown]
	s_wait_loadcnt 0x7
	v_pk_fma_f32 v[8:9], v[22:23], v[50:51], v[8:9] op_sel_hi:[1,0,1]
	v_pk_fma_f32 v[12:13], v[24:25], v[50:51], v[12:13] op_sel_hi:[1,0,1]
	;; [unrolled: 1-line block ×4, first 2 shown]
	v_mov_b32_e32 v14, v53
	v_pk_fma_f32 v[8:9], v[22:23], v[50:51], v[8:9] op_sel:[1,1,0] op_sel_hi:[0,1,1] neg_lo:[1,0,0]
	v_pk_fma_f32 v[12:13], v[82:83], v[50:51], v[12:13] op_sel:[0,1,0]
	v_pk_fma_f32 v[10:11], v[26:27], v[50:51], v[10:11] op_sel:[1,1,0] op_sel_hi:[0,1,1] neg_lo:[1,0,0]
	v_pk_fma_f32 v[0:1], v[84:85], v[50:51], v[0:1] op_sel:[0,1,0]
	s_wait_loadcnt 0x6
	v_mov_b32_e32 v22, v57
	v_pk_fma_f32 v[8:9], v[34:35], v[52:53], v[8:9] op_sel_hi:[1,0,1]
	v_pk_fma_f32 v[12:13], v[36:37], v[52:53], v[12:13] op_sel_hi:[1,0,1]
	;; [unrolled: 1-line block ×4, first 2 shown]
	s_wait_loadcnt 0x5
	v_xor_b32_e32 v26, 0x80000000, v61
	v_pk_fma_f32 v[8:9], v[34:35], v[14:15], v[8:9] op_sel:[1,0,0] op_sel_hi:[0,0,1] neg_lo:[1,0,0]
	v_pk_fma_f32 v[12:13], v[86:87], v[14:15], v[12:13] op_sel_hi:[1,0,1]
	v_pk_fma_f32 v[10:11], v[30:31], v[14:15], v[10:11] op_sel:[1,0,0] op_sel_hi:[0,0,1] neg_lo:[1,0,0]
	v_pk_fma_f32 v[0:1], v[90:91], v[14:15], v[0:1] op_sel_hi:[1,0,1]
	s_wait_loadcnt 0x4
	v_xor_b32_e32 v24, 0x80000000, v65
	v_pk_fma_f32 v[8:9], v[46:47], v[54:55], v[8:9] op_sel_hi:[1,0,1]
	v_pk_fma_f32 v[12:13], v[48:49], v[54:55], v[12:13] op_sel_hi:[1,0,1]
	;; [unrolled: 1-line block ×4, first 2 shown]
	v_mov_b32_e32 v25, v64
	v_pk_fma_f32 v[8:9], v[46:47], v[54:55], v[8:9] op_sel:[1,1,0] op_sel_hi:[0,1,1] neg_lo:[1,0,0]
	v_pk_fma_f32 v[12:13], v[94:95], v[54:55], v[12:13] op_sel:[0,1,0]
	v_pk_fma_f32 v[10:11], v[42:43], v[54:55], v[10:11] op_sel:[1,1,0] op_sel_hi:[0,1,1] neg_lo:[1,0,0]
	v_pk_fma_f32 v[0:1], v[96:97], v[54:55], v[0:1] op_sel:[0,1,0]
	s_wait_loadcnt 0x2
	v_dual_mov_b32 v27, v60 :: v_dual_mov_b32 v29, v72
	v_pk_fma_f32 v[8:9], v[62:63], v[56:57], v[8:9] op_sel_hi:[1,0,1]
	v_pk_fma_f32 v[12:13], v[64:65], v[56:57], v[12:13] op_sel_hi:[1,0,1]
	;; [unrolled: 1-line block ×4, first 2 shown]
	v_xor_b32_e32 v28, 0x80000000, v73
	v_pk_fma_f32 v[8:9], v[62:63], v[22:23], v[8:9] op_sel:[1,0,0] op_sel_hi:[0,0,1] neg_lo:[1,0,0]
	v_pk_fma_f32 v[12:13], v[24:25], v[22:23], v[12:13] op_sel_hi:[1,0,1]
	v_pk_fma_f32 v[10:11], v[58:59], v[22:23], v[10:11] op_sel:[1,0,0] op_sel_hi:[0,0,1] neg_lo:[1,0,0]
	v_pk_fma_f32 v[0:1], v[26:27], v[22:23], v[0:1] op_sel_hi:[1,0,1]
	v_xor_b32_e32 v30, 0x80000000, v69
	s_wait_loadcnt 0x0
	v_dual_mov_b32 v31, v68 :: v_dual_mov_b32 v93, v80
	v_pk_fma_f32 v[8:9], v[70:71], v[74:75], v[8:9] op_sel_hi:[1,0,1]
	v_pk_fma_f32 v[12:13], v[72:73], v[74:75], v[12:13] op_sel_hi:[1,0,1]
	;; [unrolled: 1-line block ×4, first 2 shown]
	v_xor_b32_e32 v92, 0x80000000, v81
	v_pk_fma_f32 v[8:9], v[70:71], v[74:75], v[8:9] op_sel:[1,1,0] op_sel_hi:[0,1,1] neg_lo:[1,0,0]
	v_pk_fma_f32 v[12:13], v[28:29], v[74:75], v[12:13] op_sel:[0,1,0]
	v_pk_fma_f32 v[10:11], v[66:67], v[74:75], v[10:11] op_sel:[1,1,0] op_sel_hi:[0,1,1] neg_lo:[1,0,0]
	v_pk_fma_f32 v[0:1], v[30:31], v[74:75], v[0:1] op_sel:[0,1,0]
	v_mov_b32_e32 v14, v77
	v_pk_fma_f32 v[8:9], v[38:39], v[76:77], v[8:9] op_sel_hi:[1,0,1]
	v_pk_fma_f32 v[12:13], v[40:41], v[76:77], v[12:13] op_sel_hi:[1,0,1]
	;; [unrolled: 1-line block ×4, first 2 shown]
	s_delay_alu instid0(VALU_DEP_4) | instskip(NEXT) | instid1(VALU_DEP_4)
	v_pk_fma_f32 v[8:9], v[38:39], v[14:15], v[8:9] op_sel:[1,0,0] op_sel_hi:[0,0,1] neg_lo:[1,0,0]
	v_pk_fma_f32 v[12:13], v[88:89], v[14:15], v[12:13] op_sel_hi:[1,0,1]
	s_delay_alu instid0(VALU_DEP_4) | instskip(NEXT) | instid1(VALU_DEP_4)
	v_pk_fma_f32 v[10:11], v[78:79], v[14:15], v[10:11] op_sel:[1,0,0] op_sel_hi:[0,0,1] neg_lo:[1,0,0]
	v_pk_fma_f32 v[0:1], v[92:93], v[14:15], v[0:1] op_sel_hi:[1,0,1]
	s_and_not1_b32 exec_lo, exec_lo, s4
	s_cbranch_execnz .LBB95_5
; %bb.6:
	s_or_b32 exec_lo, exec_lo, s4
.LBB95_7:
	s_delay_alu instid0(SALU_CYCLE_1)
	s_or_b32 exec_lo, exec_lo, s3
	s_cbranch_execz .LBB95_9
	s_branch .LBB95_14
.LBB95_8:
                                        ; implicit-def: $vgpr9
                                        ; implicit-def: $vgpr1
                                        ; implicit-def: $vgpr11
                                        ; implicit-def: $vgpr13
.LBB95_9:
	v_mov_b32_e32 v9, 0
	s_delay_alu instid0(VALU_DEP_1)
	v_dual_mov_b32 v8, v9 :: v_dual_mov_b32 v1, v9
	v_dual_mov_b32 v0, v9 :: v_dual_mov_b32 v11, v9
	v_dual_mov_b32 v10, v9 :: v_dual_mov_b32 v13, v9
	v_mov_b32_e32 v12, v9
	s_and_saveexec_b32 s3, s2
	s_cbranch_execz .LBB95_13
; %bb.10:
	v_mad_u32 v16, v19, 24, 23
	v_mov_b32_e32 v15, 0
	s_mov_b32 s2, 0
	s_delay_alu instid0(VALU_DEP_1)
	v_dual_mov_b32 v0, v15 :: v_dual_mov_b32 v1, v15
	v_dual_mov_b32 v10, v15 :: v_dual_mov_b32 v11, v15
	;; [unrolled: 1-line block ×4, first 2 shown]
.LBB95_11:                              ; =>This Inner Loop Header: Depth=1
	global_load_b32 v17, v19, s[6:7] scale_offset
	v_subrev_nc_u32_e32 v14, 23, v16
	v_dual_add_nc_u32 v28, -11, v16 :: v_dual_add_nc_u32 v29, -5, v16
	v_dual_mov_b32 v41, v15 :: v_dual_add_nc_u32 v32, -10, v16
	s_delay_alu instid0(VALU_DEP_3)
	v_lshl_add_u64 v[48:49], v[14:15], 3, s[8:9]
	v_dual_add_nc_u32 v33, -4, v16 :: v_dual_add_nc_u32 v34, -15, v16
	s_clause 0x3
	global_load_b64 v[50:51], v28, s[8:9] scale_offset
	global_load_b64 v[52:53], v29, s[8:9] scale_offset
	global_load_b128 v[20:23], v[48:49], off
	global_load_b128 v[24:27], v[48:49], off offset:48
	v_dual_add_nc_u32 v37, -14, v16 :: v_dual_add_nc_u32 v44, -8, v16
	v_dual_add_nc_u32 v35, -9, v16 :: v_dual_add_nc_u32 v36, -3, v16
	;; [unrolled: 1-line block ×3, first 2 shown]
	s_wait_xcnt 0x4
	v_dual_add_nc_u32 v47, -7, v16 :: v_dual_add_nc_u32 v19, 8, v19
	s_delay_alu instid0(VALU_DEP_1) | instskip(SKIP_4) | instid1(VALU_DEP_2)
	v_cmp_ge_i32_e32 vcc_lo, v19, v18
	s_or_b32 s2, vcc_lo, s2
	s_wait_loadcnt 0x4
	v_subrev_nc_u32_e32 v14, s12, v17
	v_add_nc_u32_e32 v17, -12, v16
	v_mul_lo_u32 v40, v14, 6
	s_wait_loadcnt 0x1
	v_mov_b32_e32 v81, v22
	v_xor_b32_e32 v80, 0x80000000, v23
	s_delay_alu instid0(VALU_DEP_3)
	v_lshl_add_u64 v[28:29], v[40:41], 3, s[10:11]
	v_add_nc_u32_e32 v14, 2, v40
	v_add_nc_u32_e32 v41, -1, v16
	global_load_b128 v[28:31], v[28:29], off
	s_clause 0x4
	global_load_b64 v[54:55], v34, s[8:9] scale_offset
	global_load_b64 v[56:57], v37, s[8:9] scale_offset
	;; [unrolled: 1-line block ×5, first 2 shown]
	v_lshl_add_u64 v[42:43], v[14:15], 3, s[10:11]
	s_clause 0x1
	global_load_b64 v[64:65], v36, s[8:9] scale_offset
	global_load_b128 v[32:35], v[48:49], off offset:16
	global_load_b128 v[36:39], v[42:43], off
	s_clause 0x4
	global_load_b64 v[66:67], v46, s[8:9] scale_offset
	global_load_b64 v[68:69], v17, s[8:9] scale_offset
	;; [unrolled: 1-line block ×5, first 2 shown]
	v_add_nc_u32_e32 v14, 4, v40
	s_wait_loadcnt 0xd
	v_pk_fma_f32 v[10:11], v[50:51], v[28:29], v[10:11] op_sel_hi:[1,0,1]
	v_pk_fma_f32 v[8:9], v[20:21], v[28:29], v[8:9] op_sel_hi:[1,0,1]
	;; [unrolled: 1-line block ×4, first 2 shown]
	s_delay_alu instid0(VALU_DEP_4)
	v_pk_fma_f32 v[10:11], v[50:51], v[28:29], v[10:11] op_sel:[1,1,0] op_sel_hi:[0,1,1] neg_lo:[1,0,0]
	v_mov_b32_e32 v51, v26
	v_lshl_add_u64 v[78:79], v[14:15], 3, s[10:11]
	v_add_nc_u32_e32 v14, -6, v16
	s_clause 0x1
	global_load_b64 v[76:77], v41, s[8:9] scale_offset
	global_load_b128 v[40:43], v[48:49], off offset:32
	global_load_b128 v[44:47], v[78:79], off
	s_clause 0x1
	global_load_b64 v[48:49], v14, s[8:9] scale_offset
	global_load_b64 v[78:79], v16, s[8:9] scale_offset
	v_pk_fma_f32 v[8:9], v[20:21], v[28:29], v[8:9] op_sel:[1,1,0] op_sel_hi:[0,1,1] neg_lo:[1,0,0]
	v_pk_fma_f32 v[12:13], v[24:25], v[28:29], v[12:13] op_sel:[1,1,0] op_sel_hi:[0,1,1] neg_lo:[1,0,0]
	;; [unrolled: 1-line block ×3, first 2 shown]
	v_xor_b32_e32 v50, 0x80000000, v27
	s_wait_xcnt 0x1
	v_mov_b32_e32 v14, v31
	v_pk_fma_f32 v[8:9], v[22:23], v[30:31], v[8:9] op_sel_hi:[1,0,1]
	v_pk_fma_f32 v[12:13], v[26:27], v[30:31], v[12:13] op_sel_hi:[1,0,1]
	s_wait_loadcnt 0xe
	v_pk_fma_f32 v[10:11], v[60:61], v[30:31], v[10:11] op_sel_hi:[1,0,1]
	s_wait_loadcnt 0xd
	;; [unrolled: 2-line block ×3, first 2 shown]
	v_xor_b32_e32 v20, 0x80000000, v35
	v_pk_fma_f32 v[8:9], v[80:81], v[14:15], v[8:9] op_sel_hi:[1,0,1]
	v_pk_fma_f32 v[12:13], v[50:51], v[14:15], v[12:13] op_sel_hi:[1,0,1]
	v_pk_fma_f32 v[10:11], v[60:61], v[14:15], v[10:11] op_sel:[1,0,0] op_sel_hi:[0,0,1] neg_lo:[1,0,0]
	v_pk_fma_f32 v[0:1], v[62:63], v[14:15], v[0:1] op_sel:[1,0,0] op_sel_hi:[0,0,1] neg_lo:[1,0,0]
	s_wait_loadcnt 0xa
	v_dual_mov_b32 v21, v34 :: v_dual_mov_b32 v14, v39
	v_pk_fma_f32 v[8:9], v[32:33], v[36:37], v[8:9] op_sel_hi:[1,0,1]
	v_pk_fma_f32 v[12:13], v[54:55], v[36:37], v[12:13] op_sel_hi:[1,0,1]
	;; [unrolled: 1-line block ×4, first 2 shown]
	s_wait_xcnt 0x0
	v_add_nc_u32_e32 v16, 0xc0, v16
	v_pk_fma_f32 v[8:9], v[32:33], v[36:37], v[8:9] op_sel:[1,1,0] op_sel_hi:[0,1,1] neg_lo:[1,0,0]
	v_pk_fma_f32 v[12:13], v[54:55], v[36:37], v[12:13] op_sel:[1,1,0] op_sel_hi:[0,1,1] neg_lo:[1,0,0]
	v_pk_fma_f32 v[10:11], v[58:59], v[36:37], v[10:11] op_sel:[1,1,0] op_sel_hi:[0,1,1] neg_lo:[1,0,0]
	v_pk_fma_f32 v[0:1], v[64:65], v[36:37], v[0:1] op_sel:[1,1,0] op_sel_hi:[0,1,1] neg_lo:[1,0,0]
	s_delay_alu instid0(VALU_DEP_4) | instskip(NEXT) | instid1(VALU_DEP_4)
	v_pk_fma_f32 v[8:9], v[34:35], v[38:39], v[8:9] op_sel_hi:[1,0,1]
	v_pk_fma_f32 v[12:13], v[56:57], v[38:39], v[12:13] op_sel_hi:[1,0,1]
	s_wait_loadcnt 0x6
	v_pk_fma_f32 v[10:11], v[72:73], v[38:39], v[10:11] op_sel_hi:[1,0,1]
	s_wait_loadcnt 0x5
	v_pk_fma_f32 v[0:1], v[74:75], v[38:39], v[0:1] op_sel_hi:[1,0,1]
	v_pk_fma_f32 v[8:9], v[20:21], v[14:15], v[8:9] op_sel_hi:[1,0,1]
	v_pk_fma_f32 v[12:13], v[56:57], v[14:15], v[12:13] op_sel:[1,0,0] op_sel_hi:[0,0,1] neg_lo:[1,0,0]
	v_pk_fma_f32 v[10:11], v[72:73], v[14:15], v[10:11] op_sel:[1,0,0] op_sel_hi:[0,0,1] neg_lo:[1,0,0]
	s_delay_alu instid0(VALU_DEP_4)
	v_pk_fma_f32 v[0:1], v[74:75], v[14:15], v[0:1] op_sel:[1,0,0] op_sel_hi:[0,0,1] neg_lo:[1,0,0]
	s_wait_loadcnt 0x3
	v_xor_b32_e32 v20, 0x80000000, v43
	s_wait_loadcnt 0x2
	v_pk_fma_f32 v[8:9], v[40:41], v[44:45], v[8:9] op_sel_hi:[1,0,1]
	v_pk_fma_f32 v[12:13], v[66:67], v[44:45], v[12:13] op_sel_hi:[1,0,1]
	;; [unrolled: 1-line block ×4, first 2 shown]
	v_mov_b32_e32 v21, v42
	v_pk_fma_f32 v[8:9], v[40:41], v[44:45], v[8:9] op_sel:[1,1,0] op_sel_hi:[0,1,1] neg_lo:[1,0,0]
	v_pk_fma_f32 v[12:13], v[66:67], v[44:45], v[12:13] op_sel:[1,1,0] op_sel_hi:[0,1,1] neg_lo:[1,0,0]
	;; [unrolled: 1-line block ×4, first 2 shown]
	v_mov_b32_e32 v14, v47
	v_pk_fma_f32 v[8:9], v[42:43], v[46:47], v[8:9] op_sel_hi:[1,0,1]
	v_pk_fma_f32 v[12:13], v[68:69], v[46:47], v[12:13] op_sel_hi:[1,0,1]
	s_wait_loadcnt 0x1
	v_pk_fma_f32 v[10:11], v[48:49], v[46:47], v[10:11] op_sel_hi:[1,0,1]
	s_wait_loadcnt 0x0
	v_pk_fma_f32 v[0:1], v[78:79], v[46:47], v[0:1] op_sel_hi:[1,0,1]
	v_pk_fma_f32 v[8:9], v[20:21], v[14:15], v[8:9] op_sel_hi:[1,0,1]
	v_pk_fma_f32 v[12:13], v[68:69], v[14:15], v[12:13] op_sel:[1,0,0] op_sel_hi:[0,0,1] neg_lo:[1,0,0]
	v_pk_fma_f32 v[10:11], v[48:49], v[14:15], v[10:11] op_sel:[1,0,0] op_sel_hi:[0,0,1] neg_lo:[1,0,0]
	s_delay_alu instid0(VALU_DEP_4)
	v_pk_fma_f32 v[0:1], v[78:79], v[14:15], v[0:1] op_sel:[1,0,0] op_sel_hi:[0,0,1] neg_lo:[1,0,0]
	s_and_not1_b32 exec_lo, exec_lo, s2
	s_cbranch_execnz .LBB95_11
; %bb.12:
	s_or_b32 exec_lo, exec_lo, s2
.LBB95_13:
	s_delay_alu instid0(SALU_CYCLE_1)
	s_or_b32 exec_lo, exec_lo, s3
.LBB95_14:
	v_mbcnt_lo_u32_b32 v14, -1, 0
	s_delay_alu instid0(VALU_DEP_1) | instskip(SKIP_1) | instid1(VALU_DEP_1)
	v_xor_b32_e32 v23, 2, v14
	v_xor_b32_e32 v15, 4, v14
	v_cmp_gt_i32_e32 vcc_lo, 32, v15
	v_cndmask_b32_e32 v15, v14, v15, vcc_lo
	s_delay_alu instid0(VALU_DEP_1)
	v_lshlrev_b32_e32 v15, 2, v15
	ds_bpermute_b32 v17, v15, v9
	s_wait_dscnt 0x0
	v_add_f32_e32 v9, v9, v17
	ds_bpermute_b32 v19, v15, v13
	ds_bpermute_b32 v16, v15, v8
	;; [unrolled: 1-line block ×7, first 2 shown]
	s_wait_dscnt 0x6
	v_add_f32_e32 v13, v13, v19
	v_cmp_gt_i32_e32 vcc_lo, 32, v23
	s_wait_dscnt 0x5
	v_add_f32_e32 v8, v8, v16
	s_wait_dscnt 0x4
	v_add_f32_e32 v12, v12, v18
	s_wait_dscnt 0x2
	v_dual_add_f32 v18, v0, v22 :: v_dual_add_f32 v16, v10, v20
	s_wait_dscnt 0x1
	v_dual_add_f32 v17, v11, v21 :: v_dual_cndmask_b32 v23, v14, v23, vcc_lo
	s_wait_dscnt 0x0
	v_add_f32_e32 v15, v1, v15
	s_delay_alu instid0(VALU_DEP_2)
	v_lshlrev_b32_e32 v23, 2, v23
	ds_bpermute_b32 v0, v23, v8
	ds_bpermute_b32 v1, v23, v9
	;; [unrolled: 1-line block ×8, first 2 shown]
	s_wait_dscnt 0x7
	v_dual_add_f32 v0, v8, v0 :: v_dual_bitop2_b32 v23, 1, v14 bitop3:0x14
	s_delay_alu instid0(VALU_DEP_1)
	v_cmp_gt_i32_e32 vcc_lo, 32, v23
	s_wait_dscnt 0x5
	v_dual_add_f32 v8, v9, v1 :: v_dual_add_f32 v10, v12, v10
	s_wait_dscnt 0x3
	v_add_f32_e32 v12, v16, v19
	v_add_f32_e32 v11, v13, v11
	s_wait_dscnt 0x2
	v_dual_cndmask_b32 v14, v14, v23 :: v_dual_add_f32 v13, v17, v20
	s_wait_dscnt 0x0
	v_dual_add_f32 v1, v18, v21 :: v_dual_add_f32 v9, v15, v22
	v_cmp_eq_u32_e32 vcc_lo, 7, v7
	s_delay_alu instid0(VALU_DEP_3)
	v_lshlrev_b32_e32 v23, 2, v14
	ds_bpermute_b32 v16, v23, v0
	ds_bpermute_b32 v17, v23, v8
	;; [unrolled: 1-line block ×8, first 2 shown]
	s_and_b32 exec_lo, exec_lo, vcc_lo
	s_cbranch_execz .LBB95_19
; %bb.15:
	s_load_b64 s[2:3], s[0:1], 0x38
	v_cmp_eq_f32_e32 vcc_lo, 0, v4
	s_wait_xcnt 0x0
	v_cmp_eq_f32_e64 s0, 0, v5
	s_wait_dscnt 0x7
	v_add_f32_e32 v0, v0, v16
	s_wait_dscnt 0x5
	v_dual_add_f32 v20, v8, v17 :: v_dual_add_f32 v8, v10, v18
	s_wait_dscnt 0x3
	v_dual_add_f32 v18, v11, v19 :: v_dual_add_f32 v10, v12, v21
	s_wait_dscnt 0x2
	v_add_f32_e32 v16, v13, v22
	s_wait_dscnt 0x1
	v_add_f32_e32 v12, v1, v14
	;; [unrolled: 2-line block ×3, first 2 shown]
	s_and_b32 s0, vcc_lo, s0
	s_delay_alu instid0(SALU_CYCLE_1) | instskip(NEXT) | instid1(SALU_CYCLE_1)
	s_and_saveexec_b32 s1, s0
	s_xor_b32 s0, exec_lo, s1
	s_cbranch_execz .LBB95_17
; %bb.16:
	v_xor_b32_e32 v4, 0x80000000, v3
	v_dual_mov_b32 v5, v2 :: v_dual_lshlrev_b32 v6, 2, v6
	s_delay_alu instid0(VALU_DEP_1) | instskip(NEXT) | instid1(VALU_DEP_2)
	v_ashrrev_i32_e32 v7, 31, v6
	v_pk_mul_f32 v[20:21], v[20:21], v[4:5] op_sel_hi:[0,1]
	v_pk_mul_f32 v[18:19], v[18:19], v[4:5] op_sel_hi:[0,1]
	;; [unrolled: 1-line block ×4, first 2 shown]
	s_wait_kmcnt 0x0
	v_lshl_add_u64 v[22:23], v[6:7], 3, s[2:3]
	v_pk_fma_f32 v[4:5], v[2:3], v[0:1], v[20:21] op_sel_hi:[1,0,1]
	v_pk_fma_f32 v[6:7], v[2:3], v[8:9], v[18:19] op_sel_hi:[1,0,1]
	;; [unrolled: 1-line block ×4, first 2 shown]
	s_clause 0x1
	global_store_b128 v[22:23], v[4:7], off
	global_store_b128 v[22:23], v[0:3], off offset:16
                                        ; implicit-def: $vgpr6
                                        ; implicit-def: $vgpr0
                                        ; implicit-def: $vgpr20
                                        ; implicit-def: $vgpr8
                                        ; implicit-def: $vgpr18
                                        ; implicit-def: $vgpr10
                                        ; implicit-def: $vgpr16
                                        ; implicit-def: $vgpr12
                                        ; implicit-def: $vgpr14
                                        ; implicit-def: $vgpr2_vgpr3
                                        ; implicit-def: $vgpr4_vgpr5
.LBB95_17:
	s_wait_xcnt 0x0
	s_and_not1_saveexec_b32 s0, s0
	s_cbranch_execz .LBB95_19
; %bb.18:
	v_lshlrev_b32_e32 v6, 2, v6
	v_xor_b32_e32 v32, 0x80000000, v5
	s_delay_alu instid0(VALU_DEP_2) | instskip(SKIP_1) | instid1(VALU_DEP_1)
	v_dual_mov_b32 v33, v4 :: v_dual_ashrrev_i32 v7, 31, v6
	s_wait_kmcnt 0x0
	v_lshl_add_u64 v[30:31], v[6:7], 3, s[2:3]
	v_xor_b32_e32 v6, 0x80000000, v3
	v_mov_b32_e32 v7, v2
	s_clause 0x1
	global_load_b128 v[22:25], v[30:31], off
	global_load_b128 v[26:29], v[30:31], off offset:16
	v_pk_mul_f32 v[20:21], v[20:21], v[6:7] op_sel_hi:[0,1]
	v_pk_mul_f32 v[18:19], v[18:19], v[6:7] op_sel_hi:[0,1]
	;; [unrolled: 1-line block ×4, first 2 shown]
	s_delay_alu instid0(VALU_DEP_4) | instskip(NEXT) | instid1(VALU_DEP_4)
	v_pk_fma_f32 v[0:1], v[2:3], v[0:1], v[20:21] op_sel_hi:[1,0,1]
	v_pk_fma_f32 v[8:9], v[2:3], v[8:9], v[18:19] op_sel_hi:[1,0,1]
	s_delay_alu instid0(VALU_DEP_4) | instskip(NEXT) | instid1(VALU_DEP_4)
	v_pk_fma_f32 v[10:11], v[2:3], v[10:11], v[16:17] op_sel_hi:[1,0,1]
	v_pk_fma_f32 v[2:3], v[2:3], v[12:13], v[6:7] op_sel_hi:[1,0,1]
	s_wait_loadcnt 0x1
	v_pk_fma_f32 v[0:1], v[4:5], v[22:23], v[0:1] op_sel_hi:[1,0,1]
	v_pk_fma_f32 v[6:7], v[4:5], v[24:25], v[8:9] op_sel_hi:[1,0,1]
	s_wait_loadcnt 0x0
	v_dual_mov_b32 v8, v25 :: v_dual_mov_b32 v14, v29
	v_pk_fma_f32 v[10:11], v[4:5], v[26:27], v[10:11] op_sel_hi:[1,0,1]
	v_pk_fma_f32 v[12:13], v[4:5], v[28:29], v[2:3] op_sel_hi:[1,0,1]
	v_pk_fma_f32 v[0:1], v[32:33], v[22:23], v[0:1] op_sel:[0,1,0]
	s_delay_alu instid0(VALU_DEP_4) | instskip(NEXT) | instid1(VALU_DEP_4)
	v_pk_fma_f32 v[2:3], v[32:33], v[8:9], v[6:7] op_sel_hi:[1,0,1]
	v_pk_fma_f32 v[4:5], v[32:33], v[26:27], v[10:11] op_sel:[0,1,0]
	s_delay_alu instid0(VALU_DEP_4)
	v_pk_fma_f32 v[6:7], v[32:33], v[14:15], v[12:13] op_sel_hi:[1,0,1]
	s_clause 0x1
	global_store_b128 v[30:31], v[0:3], off
	global_store_b128 v[30:31], v[4:7], off offset:16
.LBB95_19:
	s_sendmsg sendmsg(MSG_DEALLOC_VGPRS)
	s_endpgm
	.section	.rodata,"a",@progbits
	.p2align	6, 0x0
	.amdhsa_kernel _ZN9rocsparseL19gebsrmvn_4xn_kernelILj128ELj6ELj8E21rocsparse_complex_numIfEEEvi20rocsparse_direction_NS_24const_host_device_scalarIT2_EEPKiS8_PKS5_SA_S6_PS5_21rocsparse_index_base_b
		.amdhsa_group_segment_fixed_size 0
		.amdhsa_private_segment_fixed_size 0
		.amdhsa_kernarg_size 72
		.amdhsa_user_sgpr_count 2
		.amdhsa_user_sgpr_dispatch_ptr 0
		.amdhsa_user_sgpr_queue_ptr 0
		.amdhsa_user_sgpr_kernarg_segment_ptr 1
		.amdhsa_user_sgpr_dispatch_id 0
		.amdhsa_user_sgpr_kernarg_preload_length 0
		.amdhsa_user_sgpr_kernarg_preload_offset 0
		.amdhsa_user_sgpr_private_segment_size 0
		.amdhsa_wavefront_size32 1
		.amdhsa_uses_dynamic_stack 0
		.amdhsa_enable_private_segment 0
		.amdhsa_system_sgpr_workgroup_id_x 1
		.amdhsa_system_sgpr_workgroup_id_y 0
		.amdhsa_system_sgpr_workgroup_id_z 0
		.amdhsa_system_sgpr_workgroup_info 0
		.amdhsa_system_vgpr_workitem_id 0
		.amdhsa_next_free_vgpr 98
		.amdhsa_next_free_sgpr 14
		.amdhsa_named_barrier_count 0
		.amdhsa_reserve_vcc 1
		.amdhsa_float_round_mode_32 0
		.amdhsa_float_round_mode_16_64 0
		.amdhsa_float_denorm_mode_32 3
		.amdhsa_float_denorm_mode_16_64 3
		.amdhsa_fp16_overflow 0
		.amdhsa_memory_ordered 1
		.amdhsa_forward_progress 1
		.amdhsa_inst_pref_size 28
		.amdhsa_round_robin_scheduling 0
		.amdhsa_exception_fp_ieee_invalid_op 0
		.amdhsa_exception_fp_denorm_src 0
		.amdhsa_exception_fp_ieee_div_zero 0
		.amdhsa_exception_fp_ieee_overflow 0
		.amdhsa_exception_fp_ieee_underflow 0
		.amdhsa_exception_fp_ieee_inexact 0
		.amdhsa_exception_int_div_zero 0
	.end_amdhsa_kernel
	.section	.text._ZN9rocsparseL19gebsrmvn_4xn_kernelILj128ELj6ELj8E21rocsparse_complex_numIfEEEvi20rocsparse_direction_NS_24const_host_device_scalarIT2_EEPKiS8_PKS5_SA_S6_PS5_21rocsparse_index_base_b,"axG",@progbits,_ZN9rocsparseL19gebsrmvn_4xn_kernelILj128ELj6ELj8E21rocsparse_complex_numIfEEEvi20rocsparse_direction_NS_24const_host_device_scalarIT2_EEPKiS8_PKS5_SA_S6_PS5_21rocsparse_index_base_b,comdat
.Lfunc_end95:
	.size	_ZN9rocsparseL19gebsrmvn_4xn_kernelILj128ELj6ELj8E21rocsparse_complex_numIfEEEvi20rocsparse_direction_NS_24const_host_device_scalarIT2_EEPKiS8_PKS5_SA_S6_PS5_21rocsparse_index_base_b, .Lfunc_end95-_ZN9rocsparseL19gebsrmvn_4xn_kernelILj128ELj6ELj8E21rocsparse_complex_numIfEEEvi20rocsparse_direction_NS_24const_host_device_scalarIT2_EEPKiS8_PKS5_SA_S6_PS5_21rocsparse_index_base_b
                                        ; -- End function
	.set _ZN9rocsparseL19gebsrmvn_4xn_kernelILj128ELj6ELj8E21rocsparse_complex_numIfEEEvi20rocsparse_direction_NS_24const_host_device_scalarIT2_EEPKiS8_PKS5_SA_S6_PS5_21rocsparse_index_base_b.num_vgpr, 98
	.set _ZN9rocsparseL19gebsrmvn_4xn_kernelILj128ELj6ELj8E21rocsparse_complex_numIfEEEvi20rocsparse_direction_NS_24const_host_device_scalarIT2_EEPKiS8_PKS5_SA_S6_PS5_21rocsparse_index_base_b.num_agpr, 0
	.set _ZN9rocsparseL19gebsrmvn_4xn_kernelILj128ELj6ELj8E21rocsparse_complex_numIfEEEvi20rocsparse_direction_NS_24const_host_device_scalarIT2_EEPKiS8_PKS5_SA_S6_PS5_21rocsparse_index_base_b.numbered_sgpr, 14
	.set _ZN9rocsparseL19gebsrmvn_4xn_kernelILj128ELj6ELj8E21rocsparse_complex_numIfEEEvi20rocsparse_direction_NS_24const_host_device_scalarIT2_EEPKiS8_PKS5_SA_S6_PS5_21rocsparse_index_base_b.num_named_barrier, 0
	.set _ZN9rocsparseL19gebsrmvn_4xn_kernelILj128ELj6ELj8E21rocsparse_complex_numIfEEEvi20rocsparse_direction_NS_24const_host_device_scalarIT2_EEPKiS8_PKS5_SA_S6_PS5_21rocsparse_index_base_b.private_seg_size, 0
	.set _ZN9rocsparseL19gebsrmvn_4xn_kernelILj128ELj6ELj8E21rocsparse_complex_numIfEEEvi20rocsparse_direction_NS_24const_host_device_scalarIT2_EEPKiS8_PKS5_SA_S6_PS5_21rocsparse_index_base_b.uses_vcc, 1
	.set _ZN9rocsparseL19gebsrmvn_4xn_kernelILj128ELj6ELj8E21rocsparse_complex_numIfEEEvi20rocsparse_direction_NS_24const_host_device_scalarIT2_EEPKiS8_PKS5_SA_S6_PS5_21rocsparse_index_base_b.uses_flat_scratch, 1
	.set _ZN9rocsparseL19gebsrmvn_4xn_kernelILj128ELj6ELj8E21rocsparse_complex_numIfEEEvi20rocsparse_direction_NS_24const_host_device_scalarIT2_EEPKiS8_PKS5_SA_S6_PS5_21rocsparse_index_base_b.has_dyn_sized_stack, 0
	.set _ZN9rocsparseL19gebsrmvn_4xn_kernelILj128ELj6ELj8E21rocsparse_complex_numIfEEEvi20rocsparse_direction_NS_24const_host_device_scalarIT2_EEPKiS8_PKS5_SA_S6_PS5_21rocsparse_index_base_b.has_recursion, 0
	.set _ZN9rocsparseL19gebsrmvn_4xn_kernelILj128ELj6ELj8E21rocsparse_complex_numIfEEEvi20rocsparse_direction_NS_24const_host_device_scalarIT2_EEPKiS8_PKS5_SA_S6_PS5_21rocsparse_index_base_b.has_indirect_call, 0
	.section	.AMDGPU.csdata,"",@progbits
; Kernel info:
; codeLenInByte = 3476
; TotalNumSgprs: 16
; NumVgprs: 98
; ScratchSize: 0
; MemoryBound: 0
; FloatMode: 240
; IeeeMode: 1
; LDSByteSize: 0 bytes/workgroup (compile time only)
; SGPRBlocks: 0
; VGPRBlocks: 6
; NumSGPRsForWavesPerEU: 16
; NumVGPRsForWavesPerEU: 98
; NamedBarCnt: 0
; Occupancy: 9
; WaveLimiterHint : 1
; COMPUTE_PGM_RSRC2:SCRATCH_EN: 0
; COMPUTE_PGM_RSRC2:USER_SGPR: 2
; COMPUTE_PGM_RSRC2:TRAP_HANDLER: 0
; COMPUTE_PGM_RSRC2:TGID_X_EN: 1
; COMPUTE_PGM_RSRC2:TGID_Y_EN: 0
; COMPUTE_PGM_RSRC2:TGID_Z_EN: 0
; COMPUTE_PGM_RSRC2:TIDIG_COMP_CNT: 0
	.section	.text._ZN9rocsparseL19gebsrmvn_4xn_kernelILj128ELj6ELj16E21rocsparse_complex_numIfEEEvi20rocsparse_direction_NS_24const_host_device_scalarIT2_EEPKiS8_PKS5_SA_S6_PS5_21rocsparse_index_base_b,"axG",@progbits,_ZN9rocsparseL19gebsrmvn_4xn_kernelILj128ELj6ELj16E21rocsparse_complex_numIfEEEvi20rocsparse_direction_NS_24const_host_device_scalarIT2_EEPKiS8_PKS5_SA_S6_PS5_21rocsparse_index_base_b,comdat
	.globl	_ZN9rocsparseL19gebsrmvn_4xn_kernelILj128ELj6ELj16E21rocsparse_complex_numIfEEEvi20rocsparse_direction_NS_24const_host_device_scalarIT2_EEPKiS8_PKS5_SA_S6_PS5_21rocsparse_index_base_b ; -- Begin function _ZN9rocsparseL19gebsrmvn_4xn_kernelILj128ELj6ELj16E21rocsparse_complex_numIfEEEvi20rocsparse_direction_NS_24const_host_device_scalarIT2_EEPKiS8_PKS5_SA_S6_PS5_21rocsparse_index_base_b
	.p2align	8
	.type	_ZN9rocsparseL19gebsrmvn_4xn_kernelILj128ELj6ELj16E21rocsparse_complex_numIfEEEvi20rocsparse_direction_NS_24const_host_device_scalarIT2_EEPKiS8_PKS5_SA_S6_PS5_21rocsparse_index_base_b,@function
_ZN9rocsparseL19gebsrmvn_4xn_kernelILj128ELj6ELj16E21rocsparse_complex_numIfEEEvi20rocsparse_direction_NS_24const_host_device_scalarIT2_EEPKiS8_PKS5_SA_S6_PS5_21rocsparse_index_base_b: ; @_ZN9rocsparseL19gebsrmvn_4xn_kernelILj128ELj6ELj16E21rocsparse_complex_numIfEEEvi20rocsparse_direction_NS_24const_host_device_scalarIT2_EEPKiS8_PKS5_SA_S6_PS5_21rocsparse_index_base_b
; %bb.0:
	s_clause 0x2
	s_load_b64 s[12:13], s[0:1], 0x40
	s_load_b64 s[2:3], s[0:1], 0x8
	;; [unrolled: 1-line block ×3, first 2 shown]
	v_mov_b32_e32 v1, 0
	s_add_nc_u64 s[6:7], s[0:1], 8
	s_add_nc_u64 s[8:9], s[0:1], 48
	s_wait_kmcnt 0x0
	s_bitcmp1_b32 s13, 0
	s_cselect_b32 s3, s7, s3
	s_cselect_b32 s2, s6, s2
	;; [unrolled: 1-line block ×4, first 2 shown]
	s_clause 0x1
	flat_load_b64 v[2:3], v1, s[2:3]
	flat_load_b64 v[4:5], v1, s[4:5]
	s_wait_loadcnt_dscnt 0x101
	v_cmp_eq_f32_e32 vcc_lo, 0, v2
	v_cmp_eq_f32_e64 s2, 0, v3
	s_wait_loadcnt_dscnt 0x0
	v_cmp_eq_f32_e64 s3, 1.0, v4
	v_cmp_eq_f32_e64 s4, 0, v5
	s_and_b32 s2, vcc_lo, s2
	s_and_b32 s3, s3, s4
	s_delay_alu instid0(SALU_CYCLE_1) | instskip(NEXT) | instid1(SALU_CYCLE_1)
	s_and_b32 s2, s2, s3
	s_xor_b32 s2, s2, -1
	s_delay_alu instid0(SALU_CYCLE_1)
	s_and_saveexec_b32 s3, s2
	s_cbranch_execz .LBB96_19
; %bb.1:
	s_load_b64 s[2:3], s[0:1], 0x0
	s_bfe_u32 s4, ttmp6, 0x4000c
	s_and_b32 s5, ttmp6, 15
	s_add_co_i32 s4, s4, 1
	s_getreg_b32 s6, hwreg(HW_REG_IB_STS2, 6, 4)
	s_mul_i32 s4, ttmp9, s4
	v_lshrrev_b32_e32 v1, 4, v0
	s_add_co_i32 s5, s5, s4
	s_cmp_eq_u32 s6, 0
	s_cselect_b32 s4, ttmp9, s5
	s_delay_alu instid0(VALU_DEP_1) | instid1(SALU_CYCLE_1)
	v_lshl_or_b32 v6, s4, 3, v1
	s_wait_kmcnt 0x0
	s_delay_alu instid0(VALU_DEP_1)
	v_cmp_gt_i32_e32 vcc_lo, s2, v6
	s_and_b32 exec_lo, exec_lo, vcc_lo
	s_cbranch_execz .LBB96_19
; %bb.2:
	s_load_b256 s[4:11], s[0:1], 0x10
	v_ashrrev_i32_e32 v7, 31, v6
	s_cmp_lg_u32 s3, 0
	s_wait_kmcnt 0x0
	s_delay_alu instid0(VALU_DEP_1)
	v_lshl_add_u64 v[8:9], v[6:7], 2, s[4:5]
	v_and_b32_e32 v7, 15, v0
	global_load_b64 v[8:9], v[8:9], off
	s_wait_loadcnt 0x0
	v_subrev_nc_u32_e32 v0, s12, v8
	v_subrev_nc_u32_e32 v18, s12, v9
	s_delay_alu instid0(VALU_DEP_2) | instskip(NEXT) | instid1(VALU_DEP_1)
	v_add_nc_u32_e32 v19, v0, v7
	v_cmp_lt_i32_e64 s2, v19, v18
	s_cbranch_scc0 .LBB96_8
; %bb.3:
	v_mov_b32_e32 v9, 0
	s_delay_alu instid0(VALU_DEP_1)
	v_dual_mov_b32 v8, v9 :: v_dual_mov_b32 v1, v9
	v_dual_mov_b32 v0, v9 :: v_dual_mov_b32 v11, v9
	;; [unrolled: 1-line block ×3, first 2 shown]
	v_mov_b32_e32 v12, v9
	s_and_saveexec_b32 s3, s2
	s_cbranch_execz .LBB96_7
; %bb.4:
	v_mad_u32 v16, v19, 24, 20
	v_dual_mov_b32 v15, 0 :: v_dual_mov_b32 v20, v19
	s_mov_b32 s4, 0
	s_delay_alu instid0(VALU_DEP_1)
	v_dual_mov_b32 v0, v15 :: v_dual_mov_b32 v1, v15
	v_dual_mov_b32 v10, v15 :: v_dual_mov_b32 v11, v15
	;; [unrolled: 1-line block ×4, first 2 shown]
.LBB96_5:                               ; =>This Inner Loop Header: Depth=1
	global_load_b32 v21, v20, s[6:7] scale_offset
	v_subrev_nc_u32_e32 v14, 20, v16
	v_dual_mov_b32 v59, v15 :: v_dual_mov_b32 v17, v15
	s_wait_xcnt 0x0
	v_add_nc_u32_e32 v20, 16, v20
	s_delay_alu instid0(VALU_DEP_3) | instskip(SKIP_2) | instid1(VALU_DEP_4)
	v_lshl_add_u64 v[50:51], v[14:15], 3, s[8:9]
	v_add_nc_u32_e32 v14, -12, v16
	v_lshl_add_u64 v[82:83], v[16:17], 3, s[8:9]
	v_cmp_ge_i32_e32 vcc_lo, v20, v18
	s_delay_alu instid0(VALU_DEP_3)
	v_lshl_add_u64 v[52:53], v[14:15], 3, s[8:9]
	s_clause 0x6
	global_load_b128 v[22:25], v[50:51], off
	global_load_b128 v[26:29], v[50:51], off offset:16
	global_load_b128 v[30:33], v[50:51], off offset:48
	;; [unrolled: 1-line block ×3, first 2 shown]
	global_load_b128 v[38:41], v[82:83], off
	global_load_b128 v[42:45], v[52:53], off offset:16
	global_load_b128 v[46:49], v[52:53], off
	s_or_b32 s4, vcc_lo, s4
	s_wait_loadcnt 0x7
	v_subrev_nc_u32_e32 v14, s12, v21
	s_delay_alu instid0(VALU_DEP_1)
	v_mul_lo_u32 v58, v14, 6
	s_wait_loadcnt 0x4
	v_xor_b32_e32 v90, 0x80000000, v33
	v_mov_b32_e32 v91, v32
	s_wait_loadcnt 0x2
	v_xor_b32_e32 v88, 0x80000000, v41
	s_wait_loadcnt 0x1
	v_xor_b32_e32 v96, 0x80000000, v45
	s_wait_loadcnt 0x0
	v_mov_b32_e32 v95, v48
	v_xor_b32_e32 v94, 0x80000000, v49
	v_mov_b32_e32 v89, v40
	v_lshl_add_u64 v[50:51], v[58:59], 3, s[10:11]
	v_add_nc_u32_e32 v14, 2, v58
	global_load_b128 v[50:53], v[50:51], off
	v_lshl_add_u64 v[54:55], v[14:15], 3, s[10:11]
	v_add_nc_u32_e32 v14, -8, v16
	global_load_b128 v[54:57], v[54:55], off
	v_lshl_add_u64 v[66:67], v[14:15], 3, s[8:9]
	v_dual_mov_b32 v97, v44 :: v_dual_add_nc_u32 v14, -4, v16
	v_add_nc_u32_e32 v16, 0x180, v16
	s_delay_alu instid0(VALU_DEP_2)
	v_lshl_add_u64 v[84:85], v[14:15], 3, s[8:9]
	v_add_nc_u32_e32 v14, 4, v58
	s_clause 0x1
	global_load_b128 v[58:61], v[66:67], off offset:16
	global_load_b128 v[62:65], v[66:67], off
	v_lshl_add_u64 v[86:87], v[14:15], 3, s[10:11]
	s_clause 0x1
	global_load_b128 v[66:69], v[84:85], off offset:16
	global_load_b128 v[70:73], v[84:85], off
	global_load_b128 v[74:77], v[86:87], off
	global_load_b128 v[78:81], v[82:83], off offset:16
	s_wait_xcnt 0x0
	v_xor_b32_e32 v82, 0x80000000, v25
	v_mov_b32_e32 v83, v24
	v_xor_b32_e32 v84, 0x80000000, v29
	v_mov_b32_e32 v85, v28
	;; [unrolled: 2-line block ×3, first 2 shown]
	s_wait_loadcnt 0x7
	v_pk_fma_f32 v[8:9], v[22:23], v[50:51], v[8:9] op_sel_hi:[1,0,1]
	v_pk_fma_f32 v[12:13], v[24:25], v[50:51], v[12:13] op_sel_hi:[1,0,1]
	;; [unrolled: 1-line block ×4, first 2 shown]
	v_mov_b32_e32 v14, v53
	v_pk_fma_f32 v[8:9], v[22:23], v[50:51], v[8:9] op_sel:[1,1,0] op_sel_hi:[0,1,1] neg_lo:[1,0,0]
	v_pk_fma_f32 v[12:13], v[82:83], v[50:51], v[12:13] op_sel:[0,1,0]
	v_pk_fma_f32 v[10:11], v[26:27], v[50:51], v[10:11] op_sel:[1,1,0] op_sel_hi:[0,1,1] neg_lo:[1,0,0]
	v_pk_fma_f32 v[0:1], v[84:85], v[50:51], v[0:1] op_sel:[0,1,0]
	s_wait_loadcnt 0x6
	v_mov_b32_e32 v22, v57
	v_pk_fma_f32 v[8:9], v[34:35], v[52:53], v[8:9] op_sel_hi:[1,0,1]
	v_pk_fma_f32 v[12:13], v[36:37], v[52:53], v[12:13] op_sel_hi:[1,0,1]
	v_pk_fma_f32 v[10:11], v[30:31], v[52:53], v[10:11] op_sel_hi:[1,0,1]
	v_pk_fma_f32 v[0:1], v[32:33], v[52:53], v[0:1] op_sel_hi:[1,0,1]
	s_wait_loadcnt 0x5
	v_xor_b32_e32 v26, 0x80000000, v61
	v_pk_fma_f32 v[8:9], v[34:35], v[14:15], v[8:9] op_sel:[1,0,0] op_sel_hi:[0,0,1] neg_lo:[1,0,0]
	v_pk_fma_f32 v[12:13], v[86:87], v[14:15], v[12:13] op_sel_hi:[1,0,1]
	v_pk_fma_f32 v[10:11], v[30:31], v[14:15], v[10:11] op_sel:[1,0,0] op_sel_hi:[0,0,1] neg_lo:[1,0,0]
	v_pk_fma_f32 v[0:1], v[90:91], v[14:15], v[0:1] op_sel_hi:[1,0,1]
	s_wait_loadcnt 0x4
	v_xor_b32_e32 v24, 0x80000000, v65
	v_pk_fma_f32 v[8:9], v[46:47], v[54:55], v[8:9] op_sel_hi:[1,0,1]
	v_pk_fma_f32 v[12:13], v[48:49], v[54:55], v[12:13] op_sel_hi:[1,0,1]
	;; [unrolled: 1-line block ×4, first 2 shown]
	v_mov_b32_e32 v25, v64
	v_pk_fma_f32 v[8:9], v[46:47], v[54:55], v[8:9] op_sel:[1,1,0] op_sel_hi:[0,1,1] neg_lo:[1,0,0]
	v_pk_fma_f32 v[12:13], v[94:95], v[54:55], v[12:13] op_sel:[0,1,0]
	v_pk_fma_f32 v[10:11], v[42:43], v[54:55], v[10:11] op_sel:[1,1,0] op_sel_hi:[0,1,1] neg_lo:[1,0,0]
	v_pk_fma_f32 v[0:1], v[96:97], v[54:55], v[0:1] op_sel:[0,1,0]
	s_wait_loadcnt 0x2
	v_dual_mov_b32 v27, v60 :: v_dual_mov_b32 v29, v72
	v_pk_fma_f32 v[8:9], v[62:63], v[56:57], v[8:9] op_sel_hi:[1,0,1]
	v_pk_fma_f32 v[12:13], v[64:65], v[56:57], v[12:13] op_sel_hi:[1,0,1]
	;; [unrolled: 1-line block ×4, first 2 shown]
	v_xor_b32_e32 v28, 0x80000000, v73
	v_pk_fma_f32 v[8:9], v[62:63], v[22:23], v[8:9] op_sel:[1,0,0] op_sel_hi:[0,0,1] neg_lo:[1,0,0]
	v_pk_fma_f32 v[12:13], v[24:25], v[22:23], v[12:13] op_sel_hi:[1,0,1]
	v_pk_fma_f32 v[10:11], v[58:59], v[22:23], v[10:11] op_sel:[1,0,0] op_sel_hi:[0,0,1] neg_lo:[1,0,0]
	v_pk_fma_f32 v[0:1], v[26:27], v[22:23], v[0:1] op_sel_hi:[1,0,1]
	v_xor_b32_e32 v30, 0x80000000, v69
	s_wait_loadcnt 0x0
	v_dual_mov_b32 v31, v68 :: v_dual_mov_b32 v93, v80
	v_pk_fma_f32 v[8:9], v[70:71], v[74:75], v[8:9] op_sel_hi:[1,0,1]
	v_pk_fma_f32 v[12:13], v[72:73], v[74:75], v[12:13] op_sel_hi:[1,0,1]
	;; [unrolled: 1-line block ×4, first 2 shown]
	v_xor_b32_e32 v92, 0x80000000, v81
	v_pk_fma_f32 v[8:9], v[70:71], v[74:75], v[8:9] op_sel:[1,1,0] op_sel_hi:[0,1,1] neg_lo:[1,0,0]
	v_pk_fma_f32 v[12:13], v[28:29], v[74:75], v[12:13] op_sel:[0,1,0]
	v_pk_fma_f32 v[10:11], v[66:67], v[74:75], v[10:11] op_sel:[1,1,0] op_sel_hi:[0,1,1] neg_lo:[1,0,0]
	v_pk_fma_f32 v[0:1], v[30:31], v[74:75], v[0:1] op_sel:[0,1,0]
	v_mov_b32_e32 v14, v77
	v_pk_fma_f32 v[8:9], v[38:39], v[76:77], v[8:9] op_sel_hi:[1,0,1]
	v_pk_fma_f32 v[12:13], v[40:41], v[76:77], v[12:13] op_sel_hi:[1,0,1]
	;; [unrolled: 1-line block ×4, first 2 shown]
	s_delay_alu instid0(VALU_DEP_4) | instskip(NEXT) | instid1(VALU_DEP_4)
	v_pk_fma_f32 v[8:9], v[38:39], v[14:15], v[8:9] op_sel:[1,0,0] op_sel_hi:[0,0,1] neg_lo:[1,0,0]
	v_pk_fma_f32 v[12:13], v[88:89], v[14:15], v[12:13] op_sel_hi:[1,0,1]
	s_delay_alu instid0(VALU_DEP_4) | instskip(NEXT) | instid1(VALU_DEP_4)
	v_pk_fma_f32 v[10:11], v[78:79], v[14:15], v[10:11] op_sel:[1,0,0] op_sel_hi:[0,0,1] neg_lo:[1,0,0]
	v_pk_fma_f32 v[0:1], v[92:93], v[14:15], v[0:1] op_sel_hi:[1,0,1]
	s_and_not1_b32 exec_lo, exec_lo, s4
	s_cbranch_execnz .LBB96_5
; %bb.6:
	s_or_b32 exec_lo, exec_lo, s4
.LBB96_7:
	s_delay_alu instid0(SALU_CYCLE_1)
	s_or_b32 exec_lo, exec_lo, s3
	s_cbranch_execz .LBB96_9
	s_branch .LBB96_14
.LBB96_8:
                                        ; implicit-def: $vgpr9
                                        ; implicit-def: $vgpr1
                                        ; implicit-def: $vgpr11
                                        ; implicit-def: $vgpr13
.LBB96_9:
	v_mov_b32_e32 v9, 0
	s_delay_alu instid0(VALU_DEP_1)
	v_dual_mov_b32 v8, v9 :: v_dual_mov_b32 v1, v9
	v_dual_mov_b32 v0, v9 :: v_dual_mov_b32 v11, v9
	;; [unrolled: 1-line block ×3, first 2 shown]
	v_mov_b32_e32 v12, v9
	s_and_saveexec_b32 s3, s2
	s_cbranch_execz .LBB96_13
; %bb.10:
	v_mad_u32 v16, v19, 24, 23
	v_mov_b32_e32 v15, 0
	s_mov_b32 s2, 0
	s_delay_alu instid0(VALU_DEP_1)
	v_dual_mov_b32 v0, v15 :: v_dual_mov_b32 v1, v15
	v_dual_mov_b32 v10, v15 :: v_dual_mov_b32 v11, v15
	;; [unrolled: 1-line block ×4, first 2 shown]
.LBB96_11:                              ; =>This Inner Loop Header: Depth=1
	global_load_b32 v17, v19, s[6:7] scale_offset
	v_subrev_nc_u32_e32 v14, 23, v16
	v_dual_add_nc_u32 v28, -11, v16 :: v_dual_add_nc_u32 v29, -5, v16
	v_dual_mov_b32 v41, v15 :: v_dual_add_nc_u32 v32, -10, v16
	s_delay_alu instid0(VALU_DEP_3)
	v_lshl_add_u64 v[48:49], v[14:15], 3, s[8:9]
	v_dual_add_nc_u32 v33, -4, v16 :: v_dual_add_nc_u32 v34, -15, v16
	s_clause 0x3
	global_load_b64 v[50:51], v28, s[8:9] scale_offset
	global_load_b64 v[52:53], v29, s[8:9] scale_offset
	global_load_b128 v[20:23], v[48:49], off
	global_load_b128 v[24:27], v[48:49], off offset:48
	v_dual_add_nc_u32 v37, -14, v16 :: v_dual_add_nc_u32 v44, -8, v16
	v_dual_add_nc_u32 v35, -9, v16 :: v_dual_add_nc_u32 v36, -3, v16
	;; [unrolled: 1-line block ×3, first 2 shown]
	s_wait_xcnt 0x4
	v_dual_add_nc_u32 v47, -7, v16 :: v_dual_add_nc_u32 v19, 16, v19
	s_delay_alu instid0(VALU_DEP_1) | instskip(SKIP_4) | instid1(VALU_DEP_2)
	v_cmp_ge_i32_e32 vcc_lo, v19, v18
	s_or_b32 s2, vcc_lo, s2
	s_wait_loadcnt 0x4
	v_subrev_nc_u32_e32 v14, s12, v17
	v_add_nc_u32_e32 v17, -12, v16
	v_mul_lo_u32 v40, v14, 6
	s_wait_loadcnt 0x1
	v_mov_b32_e32 v81, v22
	v_xor_b32_e32 v80, 0x80000000, v23
	s_delay_alu instid0(VALU_DEP_3)
	v_lshl_add_u64 v[28:29], v[40:41], 3, s[10:11]
	v_add_nc_u32_e32 v14, 2, v40
	v_add_nc_u32_e32 v41, -1, v16
	global_load_b128 v[28:31], v[28:29], off
	s_clause 0x4
	global_load_b64 v[54:55], v34, s[8:9] scale_offset
	global_load_b64 v[56:57], v37, s[8:9] scale_offset
	;; [unrolled: 1-line block ×5, first 2 shown]
	v_lshl_add_u64 v[42:43], v[14:15], 3, s[10:11]
	s_clause 0x1
	global_load_b64 v[64:65], v36, s[8:9] scale_offset
	global_load_b128 v[32:35], v[48:49], off offset:16
	global_load_b128 v[36:39], v[42:43], off
	s_clause 0x4
	global_load_b64 v[66:67], v46, s[8:9] scale_offset
	global_load_b64 v[68:69], v17, s[8:9] scale_offset
	;; [unrolled: 1-line block ×5, first 2 shown]
	v_add_nc_u32_e32 v14, 4, v40
	s_wait_loadcnt 0xd
	v_pk_fma_f32 v[10:11], v[50:51], v[28:29], v[10:11] op_sel_hi:[1,0,1]
	v_pk_fma_f32 v[8:9], v[20:21], v[28:29], v[8:9] op_sel_hi:[1,0,1]
	;; [unrolled: 1-line block ×4, first 2 shown]
	s_delay_alu instid0(VALU_DEP_4)
	v_pk_fma_f32 v[10:11], v[50:51], v[28:29], v[10:11] op_sel:[1,1,0] op_sel_hi:[0,1,1] neg_lo:[1,0,0]
	v_mov_b32_e32 v51, v26
	v_lshl_add_u64 v[78:79], v[14:15], 3, s[10:11]
	v_add_nc_u32_e32 v14, -6, v16
	s_clause 0x1
	global_load_b64 v[76:77], v41, s[8:9] scale_offset
	global_load_b128 v[40:43], v[48:49], off offset:32
	global_load_b128 v[44:47], v[78:79], off
	s_clause 0x1
	global_load_b64 v[48:49], v14, s[8:9] scale_offset
	global_load_b64 v[78:79], v16, s[8:9] scale_offset
	v_pk_fma_f32 v[8:9], v[20:21], v[28:29], v[8:9] op_sel:[1,1,0] op_sel_hi:[0,1,1] neg_lo:[1,0,0]
	v_pk_fma_f32 v[12:13], v[24:25], v[28:29], v[12:13] op_sel:[1,1,0] op_sel_hi:[0,1,1] neg_lo:[1,0,0]
	;; [unrolled: 1-line block ×3, first 2 shown]
	v_xor_b32_e32 v50, 0x80000000, v27
	s_wait_xcnt 0x1
	v_mov_b32_e32 v14, v31
	v_pk_fma_f32 v[8:9], v[22:23], v[30:31], v[8:9] op_sel_hi:[1,0,1]
	v_pk_fma_f32 v[12:13], v[26:27], v[30:31], v[12:13] op_sel_hi:[1,0,1]
	s_wait_loadcnt 0xe
	v_pk_fma_f32 v[10:11], v[60:61], v[30:31], v[10:11] op_sel_hi:[1,0,1]
	s_wait_loadcnt 0xd
	;; [unrolled: 2-line block ×3, first 2 shown]
	v_xor_b32_e32 v20, 0x80000000, v35
	v_pk_fma_f32 v[8:9], v[80:81], v[14:15], v[8:9] op_sel_hi:[1,0,1]
	v_pk_fma_f32 v[12:13], v[50:51], v[14:15], v[12:13] op_sel_hi:[1,0,1]
	v_pk_fma_f32 v[10:11], v[60:61], v[14:15], v[10:11] op_sel:[1,0,0] op_sel_hi:[0,0,1] neg_lo:[1,0,0]
	v_pk_fma_f32 v[0:1], v[62:63], v[14:15], v[0:1] op_sel:[1,0,0] op_sel_hi:[0,0,1] neg_lo:[1,0,0]
	s_wait_loadcnt 0xa
	v_dual_mov_b32 v21, v34 :: v_dual_mov_b32 v14, v39
	v_pk_fma_f32 v[8:9], v[32:33], v[36:37], v[8:9] op_sel_hi:[1,0,1]
	v_pk_fma_f32 v[12:13], v[54:55], v[36:37], v[12:13] op_sel_hi:[1,0,1]
	;; [unrolled: 1-line block ×4, first 2 shown]
	s_wait_xcnt 0x0
	v_add_nc_u32_e32 v16, 0x180, v16
	v_pk_fma_f32 v[8:9], v[32:33], v[36:37], v[8:9] op_sel:[1,1,0] op_sel_hi:[0,1,1] neg_lo:[1,0,0]
	v_pk_fma_f32 v[12:13], v[54:55], v[36:37], v[12:13] op_sel:[1,1,0] op_sel_hi:[0,1,1] neg_lo:[1,0,0]
	;; [unrolled: 1-line block ×4, first 2 shown]
	s_delay_alu instid0(VALU_DEP_4) | instskip(NEXT) | instid1(VALU_DEP_4)
	v_pk_fma_f32 v[8:9], v[34:35], v[38:39], v[8:9] op_sel_hi:[1,0,1]
	v_pk_fma_f32 v[12:13], v[56:57], v[38:39], v[12:13] op_sel_hi:[1,0,1]
	s_wait_loadcnt 0x6
	v_pk_fma_f32 v[10:11], v[72:73], v[38:39], v[10:11] op_sel_hi:[1,0,1]
	s_wait_loadcnt 0x5
	v_pk_fma_f32 v[0:1], v[74:75], v[38:39], v[0:1] op_sel_hi:[1,0,1]
	v_pk_fma_f32 v[8:9], v[20:21], v[14:15], v[8:9] op_sel_hi:[1,0,1]
	v_pk_fma_f32 v[12:13], v[56:57], v[14:15], v[12:13] op_sel:[1,0,0] op_sel_hi:[0,0,1] neg_lo:[1,0,0]
	v_pk_fma_f32 v[10:11], v[72:73], v[14:15], v[10:11] op_sel:[1,0,0] op_sel_hi:[0,0,1] neg_lo:[1,0,0]
	s_delay_alu instid0(VALU_DEP_4)
	v_pk_fma_f32 v[0:1], v[74:75], v[14:15], v[0:1] op_sel:[1,0,0] op_sel_hi:[0,0,1] neg_lo:[1,0,0]
	s_wait_loadcnt 0x3
	v_xor_b32_e32 v20, 0x80000000, v43
	s_wait_loadcnt 0x2
	v_pk_fma_f32 v[8:9], v[40:41], v[44:45], v[8:9] op_sel_hi:[1,0,1]
	v_pk_fma_f32 v[12:13], v[66:67], v[44:45], v[12:13] op_sel_hi:[1,0,1]
	;; [unrolled: 1-line block ×4, first 2 shown]
	v_mov_b32_e32 v21, v42
	v_pk_fma_f32 v[8:9], v[40:41], v[44:45], v[8:9] op_sel:[1,1,0] op_sel_hi:[0,1,1] neg_lo:[1,0,0]
	v_pk_fma_f32 v[12:13], v[66:67], v[44:45], v[12:13] op_sel:[1,1,0] op_sel_hi:[0,1,1] neg_lo:[1,0,0]
	;; [unrolled: 1-line block ×4, first 2 shown]
	v_mov_b32_e32 v14, v47
	v_pk_fma_f32 v[8:9], v[42:43], v[46:47], v[8:9] op_sel_hi:[1,0,1]
	v_pk_fma_f32 v[12:13], v[68:69], v[46:47], v[12:13] op_sel_hi:[1,0,1]
	s_wait_loadcnt 0x1
	v_pk_fma_f32 v[10:11], v[48:49], v[46:47], v[10:11] op_sel_hi:[1,0,1]
	s_wait_loadcnt 0x0
	v_pk_fma_f32 v[0:1], v[78:79], v[46:47], v[0:1] op_sel_hi:[1,0,1]
	v_pk_fma_f32 v[8:9], v[20:21], v[14:15], v[8:9] op_sel_hi:[1,0,1]
	v_pk_fma_f32 v[12:13], v[68:69], v[14:15], v[12:13] op_sel:[1,0,0] op_sel_hi:[0,0,1] neg_lo:[1,0,0]
	v_pk_fma_f32 v[10:11], v[48:49], v[14:15], v[10:11] op_sel:[1,0,0] op_sel_hi:[0,0,1] neg_lo:[1,0,0]
	s_delay_alu instid0(VALU_DEP_4)
	v_pk_fma_f32 v[0:1], v[78:79], v[14:15], v[0:1] op_sel:[1,0,0] op_sel_hi:[0,0,1] neg_lo:[1,0,0]
	s_and_not1_b32 exec_lo, exec_lo, s2
	s_cbranch_execnz .LBB96_11
; %bb.12:
	s_or_b32 exec_lo, exec_lo, s2
.LBB96_13:
	s_delay_alu instid0(SALU_CYCLE_1)
	s_or_b32 exec_lo, exec_lo, s3
.LBB96_14:
	v_mbcnt_lo_u32_b32 v14, -1, 0
	s_delay_alu instid0(VALU_DEP_1) | instskip(SKIP_1) | instid1(VALU_DEP_1)
	v_xor_b32_e32 v23, 4, v14
	v_xor_b32_e32 v15, 8, v14
	v_cmp_gt_i32_e32 vcc_lo, 32, v15
	v_cndmask_b32_e32 v15, v14, v15, vcc_lo
	s_delay_alu instid0(VALU_DEP_1)
	v_lshlrev_b32_e32 v15, 2, v15
	ds_bpermute_b32 v17, v15, v9
	s_wait_dscnt 0x0
	v_add_f32_e32 v9, v9, v17
	ds_bpermute_b32 v19, v15, v13
	ds_bpermute_b32 v16, v15, v8
	;; [unrolled: 1-line block ×7, first 2 shown]
	s_wait_dscnt 0x6
	v_add_f32_e32 v13, v13, v19
	v_cmp_gt_i32_e32 vcc_lo, 32, v23
	s_wait_dscnt 0x5
	v_add_f32_e32 v8, v8, v16
	s_wait_dscnt 0x2
	v_dual_add_f32 v10, v10, v20 :: v_dual_add_f32 v11, v11, v21
	s_wait_dscnt 0x0
	v_dual_add_f32 v0, v0, v22 :: v_dual_add_f32 v1, v1, v15
	v_dual_cndmask_b32 v23, v14, v23 :: v_dual_add_f32 v12, v12, v18
	s_delay_alu instid0(VALU_DEP_1)
	v_lshlrev_b32_e32 v23, 2, v23
	ds_bpermute_b32 v15, v23, v8
	ds_bpermute_b32 v16, v23, v9
	;; [unrolled: 1-line block ×8, first 2 shown]
	s_wait_dscnt 0x7
	v_dual_add_f32 v8, v8, v15 :: v_dual_bitop2_b32 v23, 2, v14 bitop3:0x14
	s_delay_alu instid0(VALU_DEP_1)
	v_cmp_gt_i32_e32 vcc_lo, 32, v23
	s_wait_dscnt 0x6
	v_add_f32_e32 v9, v9, v16
	s_wait_dscnt 0x3
	v_dual_add_f32 v13, v13, v18 :: v_dual_add_f32 v15, v10, v19
	s_wait_dscnt 0x2
	v_dual_add_f32 v16, v11, v20 :: v_dual_cndmask_b32 v23, v14, v23
	v_add_f32_e32 v12, v12, v17
	s_wait_dscnt 0x0
	v_dual_add_f32 v17, v0, v21 :: v_dual_add_f32 v18, v1, v22
	s_delay_alu instid0(VALU_DEP_3)
	v_lshlrev_b32_e32 v23, 2, v23
	ds_bpermute_b32 v0, v23, v8
	ds_bpermute_b32 v1, v23, v9
	;; [unrolled: 1-line block ×8, first 2 shown]
	s_wait_dscnt 0x7
	v_dual_add_f32 v0, v8, v0 :: v_dual_bitop2_b32 v23, 1, v14 bitop3:0x14
	s_delay_alu instid0(VALU_DEP_1)
	v_cmp_gt_i32_e32 vcc_lo, 32, v23
	s_wait_dscnt 0x4
	v_dual_add_f32 v10, v12, v10 :: v_dual_add_f32 v11, v13, v11
	s_wait_dscnt 0x2
	v_dual_add_f32 v12, v15, v19 :: v_dual_add_f32 v13, v16, v20
	v_dual_cndmask_b32 v14, v14, v23, vcc_lo :: v_dual_add_f32 v8, v9, v1
	s_wait_dscnt 0x0
	v_dual_add_f32 v1, v17, v21 :: v_dual_add_f32 v9, v18, v22
	v_cmp_eq_u32_e32 vcc_lo, 15, v7
	s_delay_alu instid0(VALU_DEP_3)
	v_lshlrev_b32_e32 v23, 2, v14
	ds_bpermute_b32 v16, v23, v0
	ds_bpermute_b32 v17, v23, v8
	;; [unrolled: 1-line block ×8, first 2 shown]
	s_and_b32 exec_lo, exec_lo, vcc_lo
	s_cbranch_execz .LBB96_19
; %bb.15:
	s_load_b64 s[2:3], s[0:1], 0x38
	v_cmp_eq_f32_e32 vcc_lo, 0, v4
	s_wait_xcnt 0x0
	v_cmp_eq_f32_e64 s0, 0, v5
	s_wait_dscnt 0x7
	v_add_f32_e32 v0, v0, v16
	s_wait_dscnt 0x5
	v_dual_add_f32 v20, v8, v17 :: v_dual_add_f32 v8, v10, v18
	s_wait_dscnt 0x3
	v_dual_add_f32 v18, v11, v19 :: v_dual_add_f32 v10, v12, v21
	s_wait_dscnt 0x2
	v_add_f32_e32 v16, v13, v22
	s_wait_dscnt 0x1
	v_add_f32_e32 v12, v1, v14
	;; [unrolled: 2-line block ×3, first 2 shown]
	s_and_b32 s0, vcc_lo, s0
	s_delay_alu instid0(SALU_CYCLE_1) | instskip(NEXT) | instid1(SALU_CYCLE_1)
	s_and_saveexec_b32 s1, s0
	s_xor_b32 s0, exec_lo, s1
	s_cbranch_execz .LBB96_17
; %bb.16:
	v_xor_b32_e32 v4, 0x80000000, v3
	v_dual_mov_b32 v5, v2 :: v_dual_lshlrev_b32 v6, 2, v6
	s_delay_alu instid0(VALU_DEP_1) | instskip(NEXT) | instid1(VALU_DEP_2)
	v_ashrrev_i32_e32 v7, 31, v6
	v_pk_mul_f32 v[20:21], v[20:21], v[4:5] op_sel_hi:[0,1]
	v_pk_mul_f32 v[18:19], v[18:19], v[4:5] op_sel_hi:[0,1]
	;; [unrolled: 1-line block ×4, first 2 shown]
	s_wait_kmcnt 0x0
	v_lshl_add_u64 v[22:23], v[6:7], 3, s[2:3]
	v_pk_fma_f32 v[4:5], v[2:3], v[0:1], v[20:21] op_sel_hi:[1,0,1]
	v_pk_fma_f32 v[6:7], v[2:3], v[8:9], v[18:19] op_sel_hi:[1,0,1]
	;; [unrolled: 1-line block ×4, first 2 shown]
	s_clause 0x1
	global_store_b128 v[22:23], v[4:7], off
	global_store_b128 v[22:23], v[0:3], off offset:16
                                        ; implicit-def: $vgpr6
                                        ; implicit-def: $vgpr0
                                        ; implicit-def: $vgpr20
                                        ; implicit-def: $vgpr8
                                        ; implicit-def: $vgpr18
                                        ; implicit-def: $vgpr10
                                        ; implicit-def: $vgpr16
                                        ; implicit-def: $vgpr12
                                        ; implicit-def: $vgpr14
                                        ; implicit-def: $vgpr2_vgpr3
                                        ; implicit-def: $vgpr4_vgpr5
.LBB96_17:
	s_wait_xcnt 0x0
	s_and_not1_saveexec_b32 s0, s0
	s_cbranch_execz .LBB96_19
; %bb.18:
	v_lshlrev_b32_e32 v6, 2, v6
	v_xor_b32_e32 v32, 0x80000000, v5
	s_delay_alu instid0(VALU_DEP_2) | instskip(SKIP_1) | instid1(VALU_DEP_1)
	v_dual_mov_b32 v33, v4 :: v_dual_ashrrev_i32 v7, 31, v6
	s_wait_kmcnt 0x0
	v_lshl_add_u64 v[30:31], v[6:7], 3, s[2:3]
	v_xor_b32_e32 v6, 0x80000000, v3
	v_mov_b32_e32 v7, v2
	s_clause 0x1
	global_load_b128 v[22:25], v[30:31], off
	global_load_b128 v[26:29], v[30:31], off offset:16
	v_pk_mul_f32 v[20:21], v[20:21], v[6:7] op_sel_hi:[0,1]
	v_pk_mul_f32 v[18:19], v[18:19], v[6:7] op_sel_hi:[0,1]
	;; [unrolled: 1-line block ×4, first 2 shown]
	s_delay_alu instid0(VALU_DEP_4) | instskip(NEXT) | instid1(VALU_DEP_4)
	v_pk_fma_f32 v[0:1], v[2:3], v[0:1], v[20:21] op_sel_hi:[1,0,1]
	v_pk_fma_f32 v[8:9], v[2:3], v[8:9], v[18:19] op_sel_hi:[1,0,1]
	s_delay_alu instid0(VALU_DEP_4) | instskip(NEXT) | instid1(VALU_DEP_4)
	v_pk_fma_f32 v[10:11], v[2:3], v[10:11], v[16:17] op_sel_hi:[1,0,1]
	v_pk_fma_f32 v[2:3], v[2:3], v[12:13], v[6:7] op_sel_hi:[1,0,1]
	s_wait_loadcnt 0x1
	v_pk_fma_f32 v[0:1], v[4:5], v[22:23], v[0:1] op_sel_hi:[1,0,1]
	v_pk_fma_f32 v[6:7], v[4:5], v[24:25], v[8:9] op_sel_hi:[1,0,1]
	s_wait_loadcnt 0x0
	v_dual_mov_b32 v8, v25 :: v_dual_mov_b32 v14, v29
	v_pk_fma_f32 v[10:11], v[4:5], v[26:27], v[10:11] op_sel_hi:[1,0,1]
	v_pk_fma_f32 v[12:13], v[4:5], v[28:29], v[2:3] op_sel_hi:[1,0,1]
	v_pk_fma_f32 v[0:1], v[32:33], v[22:23], v[0:1] op_sel:[0,1,0]
	s_delay_alu instid0(VALU_DEP_4) | instskip(NEXT) | instid1(VALU_DEP_4)
	v_pk_fma_f32 v[2:3], v[32:33], v[8:9], v[6:7] op_sel_hi:[1,0,1]
	v_pk_fma_f32 v[4:5], v[32:33], v[26:27], v[10:11] op_sel:[0,1,0]
	s_delay_alu instid0(VALU_DEP_4)
	v_pk_fma_f32 v[6:7], v[32:33], v[14:15], v[12:13] op_sel_hi:[1,0,1]
	s_clause 0x1
	global_store_b128 v[30:31], v[0:3], off
	global_store_b128 v[30:31], v[4:7], off offset:16
.LBB96_19:
	s_sendmsg sendmsg(MSG_DEALLOC_VGPRS)
	s_endpgm
	.section	.rodata,"a",@progbits
	.p2align	6, 0x0
	.amdhsa_kernel _ZN9rocsparseL19gebsrmvn_4xn_kernelILj128ELj6ELj16E21rocsparse_complex_numIfEEEvi20rocsparse_direction_NS_24const_host_device_scalarIT2_EEPKiS8_PKS5_SA_S6_PS5_21rocsparse_index_base_b
		.amdhsa_group_segment_fixed_size 0
		.amdhsa_private_segment_fixed_size 0
		.amdhsa_kernarg_size 72
		.amdhsa_user_sgpr_count 2
		.amdhsa_user_sgpr_dispatch_ptr 0
		.amdhsa_user_sgpr_queue_ptr 0
		.amdhsa_user_sgpr_kernarg_segment_ptr 1
		.amdhsa_user_sgpr_dispatch_id 0
		.amdhsa_user_sgpr_kernarg_preload_length 0
		.amdhsa_user_sgpr_kernarg_preload_offset 0
		.amdhsa_user_sgpr_private_segment_size 0
		.amdhsa_wavefront_size32 1
		.amdhsa_uses_dynamic_stack 0
		.amdhsa_enable_private_segment 0
		.amdhsa_system_sgpr_workgroup_id_x 1
		.amdhsa_system_sgpr_workgroup_id_y 0
		.amdhsa_system_sgpr_workgroup_id_z 0
		.amdhsa_system_sgpr_workgroup_info 0
		.amdhsa_system_vgpr_workitem_id 0
		.amdhsa_next_free_vgpr 98
		.amdhsa_next_free_sgpr 14
		.amdhsa_named_barrier_count 0
		.amdhsa_reserve_vcc 1
		.amdhsa_float_round_mode_32 0
		.amdhsa_float_round_mode_16_64 0
		.amdhsa_float_denorm_mode_32 3
		.amdhsa_float_denorm_mode_16_64 3
		.amdhsa_fp16_overflow 0
		.amdhsa_memory_ordered 1
		.amdhsa_forward_progress 1
		.amdhsa_inst_pref_size 29
		.amdhsa_round_robin_scheduling 0
		.amdhsa_exception_fp_ieee_invalid_op 0
		.amdhsa_exception_fp_denorm_src 0
		.amdhsa_exception_fp_ieee_div_zero 0
		.amdhsa_exception_fp_ieee_overflow 0
		.amdhsa_exception_fp_ieee_underflow 0
		.amdhsa_exception_fp_ieee_inexact 0
		.amdhsa_exception_int_div_zero 0
	.end_amdhsa_kernel
	.section	.text._ZN9rocsparseL19gebsrmvn_4xn_kernelILj128ELj6ELj16E21rocsparse_complex_numIfEEEvi20rocsparse_direction_NS_24const_host_device_scalarIT2_EEPKiS8_PKS5_SA_S6_PS5_21rocsparse_index_base_b,"axG",@progbits,_ZN9rocsparseL19gebsrmvn_4xn_kernelILj128ELj6ELj16E21rocsparse_complex_numIfEEEvi20rocsparse_direction_NS_24const_host_device_scalarIT2_EEPKiS8_PKS5_SA_S6_PS5_21rocsparse_index_base_b,comdat
.Lfunc_end96:
	.size	_ZN9rocsparseL19gebsrmvn_4xn_kernelILj128ELj6ELj16E21rocsparse_complex_numIfEEEvi20rocsparse_direction_NS_24const_host_device_scalarIT2_EEPKiS8_PKS5_SA_S6_PS5_21rocsparse_index_base_b, .Lfunc_end96-_ZN9rocsparseL19gebsrmvn_4xn_kernelILj128ELj6ELj16E21rocsparse_complex_numIfEEEvi20rocsparse_direction_NS_24const_host_device_scalarIT2_EEPKiS8_PKS5_SA_S6_PS5_21rocsparse_index_base_b
                                        ; -- End function
	.set _ZN9rocsparseL19gebsrmvn_4xn_kernelILj128ELj6ELj16E21rocsparse_complex_numIfEEEvi20rocsparse_direction_NS_24const_host_device_scalarIT2_EEPKiS8_PKS5_SA_S6_PS5_21rocsparse_index_base_b.num_vgpr, 98
	.set _ZN9rocsparseL19gebsrmvn_4xn_kernelILj128ELj6ELj16E21rocsparse_complex_numIfEEEvi20rocsparse_direction_NS_24const_host_device_scalarIT2_EEPKiS8_PKS5_SA_S6_PS5_21rocsparse_index_base_b.num_agpr, 0
	.set _ZN9rocsparseL19gebsrmvn_4xn_kernelILj128ELj6ELj16E21rocsparse_complex_numIfEEEvi20rocsparse_direction_NS_24const_host_device_scalarIT2_EEPKiS8_PKS5_SA_S6_PS5_21rocsparse_index_base_b.numbered_sgpr, 14
	.set _ZN9rocsparseL19gebsrmvn_4xn_kernelILj128ELj6ELj16E21rocsparse_complex_numIfEEEvi20rocsparse_direction_NS_24const_host_device_scalarIT2_EEPKiS8_PKS5_SA_S6_PS5_21rocsparse_index_base_b.num_named_barrier, 0
	.set _ZN9rocsparseL19gebsrmvn_4xn_kernelILj128ELj6ELj16E21rocsparse_complex_numIfEEEvi20rocsparse_direction_NS_24const_host_device_scalarIT2_EEPKiS8_PKS5_SA_S6_PS5_21rocsparse_index_base_b.private_seg_size, 0
	.set _ZN9rocsparseL19gebsrmvn_4xn_kernelILj128ELj6ELj16E21rocsparse_complex_numIfEEEvi20rocsparse_direction_NS_24const_host_device_scalarIT2_EEPKiS8_PKS5_SA_S6_PS5_21rocsparse_index_base_b.uses_vcc, 1
	.set _ZN9rocsparseL19gebsrmvn_4xn_kernelILj128ELj6ELj16E21rocsparse_complex_numIfEEEvi20rocsparse_direction_NS_24const_host_device_scalarIT2_EEPKiS8_PKS5_SA_S6_PS5_21rocsparse_index_base_b.uses_flat_scratch, 1
	.set _ZN9rocsparseL19gebsrmvn_4xn_kernelILj128ELj6ELj16E21rocsparse_complex_numIfEEEvi20rocsparse_direction_NS_24const_host_device_scalarIT2_EEPKiS8_PKS5_SA_S6_PS5_21rocsparse_index_base_b.has_dyn_sized_stack, 0
	.set _ZN9rocsparseL19gebsrmvn_4xn_kernelILj128ELj6ELj16E21rocsparse_complex_numIfEEEvi20rocsparse_direction_NS_24const_host_device_scalarIT2_EEPKiS8_PKS5_SA_S6_PS5_21rocsparse_index_base_b.has_recursion, 0
	.set _ZN9rocsparseL19gebsrmvn_4xn_kernelILj128ELj6ELj16E21rocsparse_complex_numIfEEEvi20rocsparse_direction_NS_24const_host_device_scalarIT2_EEPKiS8_PKS5_SA_S6_PS5_21rocsparse_index_base_b.has_indirect_call, 0
	.section	.AMDGPU.csdata,"",@progbits
; Kernel info:
; codeLenInByte = 3604
; TotalNumSgprs: 16
; NumVgprs: 98
; ScratchSize: 0
; MemoryBound: 0
; FloatMode: 240
; IeeeMode: 1
; LDSByteSize: 0 bytes/workgroup (compile time only)
; SGPRBlocks: 0
; VGPRBlocks: 6
; NumSGPRsForWavesPerEU: 16
; NumVGPRsForWavesPerEU: 98
; NamedBarCnt: 0
; Occupancy: 9
; WaveLimiterHint : 1
; COMPUTE_PGM_RSRC2:SCRATCH_EN: 0
; COMPUTE_PGM_RSRC2:USER_SGPR: 2
; COMPUTE_PGM_RSRC2:TRAP_HANDLER: 0
; COMPUTE_PGM_RSRC2:TGID_X_EN: 1
; COMPUTE_PGM_RSRC2:TGID_Y_EN: 0
; COMPUTE_PGM_RSRC2:TGID_Z_EN: 0
; COMPUTE_PGM_RSRC2:TIDIG_COMP_CNT: 0
	.section	.text._ZN9rocsparseL19gebsrmvn_4xn_kernelILj128ELj6ELj32E21rocsparse_complex_numIfEEEvi20rocsparse_direction_NS_24const_host_device_scalarIT2_EEPKiS8_PKS5_SA_S6_PS5_21rocsparse_index_base_b,"axG",@progbits,_ZN9rocsparseL19gebsrmvn_4xn_kernelILj128ELj6ELj32E21rocsparse_complex_numIfEEEvi20rocsparse_direction_NS_24const_host_device_scalarIT2_EEPKiS8_PKS5_SA_S6_PS5_21rocsparse_index_base_b,comdat
	.globl	_ZN9rocsparseL19gebsrmvn_4xn_kernelILj128ELj6ELj32E21rocsparse_complex_numIfEEEvi20rocsparse_direction_NS_24const_host_device_scalarIT2_EEPKiS8_PKS5_SA_S6_PS5_21rocsparse_index_base_b ; -- Begin function _ZN9rocsparseL19gebsrmvn_4xn_kernelILj128ELj6ELj32E21rocsparse_complex_numIfEEEvi20rocsparse_direction_NS_24const_host_device_scalarIT2_EEPKiS8_PKS5_SA_S6_PS5_21rocsparse_index_base_b
	.p2align	8
	.type	_ZN9rocsparseL19gebsrmvn_4xn_kernelILj128ELj6ELj32E21rocsparse_complex_numIfEEEvi20rocsparse_direction_NS_24const_host_device_scalarIT2_EEPKiS8_PKS5_SA_S6_PS5_21rocsparse_index_base_b,@function
_ZN9rocsparseL19gebsrmvn_4xn_kernelILj128ELj6ELj32E21rocsparse_complex_numIfEEEvi20rocsparse_direction_NS_24const_host_device_scalarIT2_EEPKiS8_PKS5_SA_S6_PS5_21rocsparse_index_base_b: ; @_ZN9rocsparseL19gebsrmvn_4xn_kernelILj128ELj6ELj32E21rocsparse_complex_numIfEEEvi20rocsparse_direction_NS_24const_host_device_scalarIT2_EEPKiS8_PKS5_SA_S6_PS5_21rocsparse_index_base_b
; %bb.0:
	s_clause 0x2
	s_load_b64 s[12:13], s[0:1], 0x40
	s_load_b64 s[2:3], s[0:1], 0x8
	;; [unrolled: 1-line block ×3, first 2 shown]
	v_mov_b32_e32 v1, 0
	s_add_nc_u64 s[6:7], s[0:1], 8
	s_add_nc_u64 s[8:9], s[0:1], 48
	s_wait_kmcnt 0x0
	s_bitcmp1_b32 s13, 0
	s_cselect_b32 s3, s7, s3
	s_cselect_b32 s2, s6, s2
	;; [unrolled: 1-line block ×4, first 2 shown]
	s_clause 0x1
	flat_load_b64 v[2:3], v1, s[2:3]
	flat_load_b64 v[4:5], v1, s[4:5]
	s_wait_loadcnt_dscnt 0x101
	v_cmp_eq_f32_e32 vcc_lo, 0, v2
	v_cmp_eq_f32_e64 s2, 0, v3
	s_wait_loadcnt_dscnt 0x0
	v_cmp_eq_f32_e64 s3, 1.0, v4
	v_cmp_eq_f32_e64 s4, 0, v5
	s_and_b32 s2, vcc_lo, s2
	s_and_b32 s3, s3, s4
	s_delay_alu instid0(SALU_CYCLE_1) | instskip(NEXT) | instid1(SALU_CYCLE_1)
	s_and_b32 s2, s2, s3
	s_xor_b32 s2, s2, -1
	s_delay_alu instid0(SALU_CYCLE_1)
	s_and_saveexec_b32 s3, s2
	s_cbranch_execz .LBB97_19
; %bb.1:
	s_load_b64 s[2:3], s[0:1], 0x0
	s_bfe_u32 s4, ttmp6, 0x4000c
	s_and_b32 s5, ttmp6, 15
	s_add_co_i32 s4, s4, 1
	s_getreg_b32 s6, hwreg(HW_REG_IB_STS2, 6, 4)
	s_mul_i32 s4, ttmp9, s4
	v_lshrrev_b32_e32 v1, 5, v0
	s_add_co_i32 s5, s5, s4
	s_cmp_eq_u32 s6, 0
	s_cselect_b32 s4, ttmp9, s5
	s_delay_alu instid0(VALU_DEP_1) | instid1(SALU_CYCLE_1)
	v_lshl_or_b32 v6, s4, 2, v1
	s_wait_kmcnt 0x0
	s_delay_alu instid0(VALU_DEP_1)
	v_cmp_gt_i32_e32 vcc_lo, s2, v6
	s_and_b32 exec_lo, exec_lo, vcc_lo
	s_cbranch_execz .LBB97_19
; %bb.2:
	s_load_b256 s[4:11], s[0:1], 0x10
	v_ashrrev_i32_e32 v7, 31, v6
	s_cmp_lg_u32 s3, 0
	s_wait_kmcnt 0x0
	s_delay_alu instid0(VALU_DEP_1)
	v_lshl_add_u64 v[8:9], v[6:7], 2, s[4:5]
	v_and_b32_e32 v7, 31, v0
	global_load_b64 v[8:9], v[8:9], off
	s_wait_loadcnt 0x0
	v_subrev_nc_u32_e32 v0, s12, v8
	v_subrev_nc_u32_e32 v18, s12, v9
	s_delay_alu instid0(VALU_DEP_2) | instskip(NEXT) | instid1(VALU_DEP_1)
	v_add_nc_u32_e32 v19, v0, v7
	v_cmp_lt_i32_e64 s2, v19, v18
	s_cbranch_scc0 .LBB97_8
; %bb.3:
	v_mov_b32_e32 v9, 0
	s_delay_alu instid0(VALU_DEP_1)
	v_dual_mov_b32 v8, v9 :: v_dual_mov_b32 v1, v9
	v_dual_mov_b32 v0, v9 :: v_dual_mov_b32 v11, v9
	;; [unrolled: 1-line block ×3, first 2 shown]
	v_mov_b32_e32 v12, v9
	s_and_saveexec_b32 s3, s2
	s_cbranch_execz .LBB97_7
; %bb.4:
	v_mad_u32 v16, v19, 24, 20
	v_dual_mov_b32 v15, 0 :: v_dual_mov_b32 v20, v19
	s_mov_b32 s4, 0
	s_delay_alu instid0(VALU_DEP_1)
	v_dual_mov_b32 v0, v15 :: v_dual_mov_b32 v1, v15
	v_dual_mov_b32 v10, v15 :: v_dual_mov_b32 v11, v15
	;; [unrolled: 1-line block ×4, first 2 shown]
.LBB97_5:                               ; =>This Inner Loop Header: Depth=1
	global_load_b32 v21, v20, s[6:7] scale_offset
	v_subrev_nc_u32_e32 v14, 20, v16
	v_dual_mov_b32 v59, v15 :: v_dual_mov_b32 v17, v15
	s_wait_xcnt 0x0
	v_add_nc_u32_e32 v20, 32, v20
	s_delay_alu instid0(VALU_DEP_3) | instskip(SKIP_2) | instid1(VALU_DEP_4)
	v_lshl_add_u64 v[50:51], v[14:15], 3, s[8:9]
	v_add_nc_u32_e32 v14, -12, v16
	v_lshl_add_u64 v[82:83], v[16:17], 3, s[8:9]
	v_cmp_ge_i32_e32 vcc_lo, v20, v18
	s_delay_alu instid0(VALU_DEP_3)
	v_lshl_add_u64 v[52:53], v[14:15], 3, s[8:9]
	s_clause 0x6
	global_load_b128 v[22:25], v[50:51], off
	global_load_b128 v[26:29], v[50:51], off offset:16
	global_load_b128 v[30:33], v[50:51], off offset:48
	;; [unrolled: 1-line block ×3, first 2 shown]
	global_load_b128 v[38:41], v[82:83], off
	global_load_b128 v[42:45], v[52:53], off offset:16
	global_load_b128 v[46:49], v[52:53], off
	s_or_b32 s4, vcc_lo, s4
	s_wait_loadcnt 0x7
	v_subrev_nc_u32_e32 v14, s12, v21
	s_delay_alu instid0(VALU_DEP_1)
	v_mul_lo_u32 v58, v14, 6
	s_wait_loadcnt 0x4
	v_xor_b32_e32 v90, 0x80000000, v33
	v_mov_b32_e32 v91, v32
	s_wait_loadcnt 0x2
	v_xor_b32_e32 v88, 0x80000000, v41
	s_wait_loadcnt 0x1
	v_xor_b32_e32 v96, 0x80000000, v45
	s_wait_loadcnt 0x0
	v_mov_b32_e32 v95, v48
	v_xor_b32_e32 v94, 0x80000000, v49
	v_mov_b32_e32 v89, v40
	v_lshl_add_u64 v[50:51], v[58:59], 3, s[10:11]
	v_add_nc_u32_e32 v14, 2, v58
	global_load_b128 v[50:53], v[50:51], off
	v_lshl_add_u64 v[54:55], v[14:15], 3, s[10:11]
	v_add_nc_u32_e32 v14, -8, v16
	global_load_b128 v[54:57], v[54:55], off
	v_lshl_add_u64 v[66:67], v[14:15], 3, s[8:9]
	v_dual_mov_b32 v97, v44 :: v_dual_add_nc_u32 v14, -4, v16
	v_add_nc_u32_e32 v16, 0x300, v16
	s_delay_alu instid0(VALU_DEP_2)
	v_lshl_add_u64 v[84:85], v[14:15], 3, s[8:9]
	v_add_nc_u32_e32 v14, 4, v58
	s_clause 0x1
	global_load_b128 v[58:61], v[66:67], off offset:16
	global_load_b128 v[62:65], v[66:67], off
	v_lshl_add_u64 v[86:87], v[14:15], 3, s[10:11]
	s_clause 0x1
	global_load_b128 v[66:69], v[84:85], off offset:16
	global_load_b128 v[70:73], v[84:85], off
	global_load_b128 v[74:77], v[86:87], off
	global_load_b128 v[78:81], v[82:83], off offset:16
	s_wait_xcnt 0x0
	v_xor_b32_e32 v82, 0x80000000, v25
	v_mov_b32_e32 v83, v24
	v_xor_b32_e32 v84, 0x80000000, v29
	v_mov_b32_e32 v85, v28
	;; [unrolled: 2-line block ×3, first 2 shown]
	s_wait_loadcnt 0x7
	v_pk_fma_f32 v[8:9], v[22:23], v[50:51], v[8:9] op_sel_hi:[1,0,1]
	v_pk_fma_f32 v[12:13], v[24:25], v[50:51], v[12:13] op_sel_hi:[1,0,1]
	;; [unrolled: 1-line block ×4, first 2 shown]
	v_mov_b32_e32 v14, v53
	v_pk_fma_f32 v[8:9], v[22:23], v[50:51], v[8:9] op_sel:[1,1,0] op_sel_hi:[0,1,1] neg_lo:[1,0,0]
	v_pk_fma_f32 v[12:13], v[82:83], v[50:51], v[12:13] op_sel:[0,1,0]
	v_pk_fma_f32 v[10:11], v[26:27], v[50:51], v[10:11] op_sel:[1,1,0] op_sel_hi:[0,1,1] neg_lo:[1,0,0]
	v_pk_fma_f32 v[0:1], v[84:85], v[50:51], v[0:1] op_sel:[0,1,0]
	s_wait_loadcnt 0x6
	v_mov_b32_e32 v22, v57
	v_pk_fma_f32 v[8:9], v[34:35], v[52:53], v[8:9] op_sel_hi:[1,0,1]
	v_pk_fma_f32 v[12:13], v[36:37], v[52:53], v[12:13] op_sel_hi:[1,0,1]
	;; [unrolled: 1-line block ×4, first 2 shown]
	s_wait_loadcnt 0x5
	v_xor_b32_e32 v26, 0x80000000, v61
	v_pk_fma_f32 v[8:9], v[34:35], v[14:15], v[8:9] op_sel:[1,0,0] op_sel_hi:[0,0,1] neg_lo:[1,0,0]
	v_pk_fma_f32 v[12:13], v[86:87], v[14:15], v[12:13] op_sel_hi:[1,0,1]
	v_pk_fma_f32 v[10:11], v[30:31], v[14:15], v[10:11] op_sel:[1,0,0] op_sel_hi:[0,0,1] neg_lo:[1,0,0]
	v_pk_fma_f32 v[0:1], v[90:91], v[14:15], v[0:1] op_sel_hi:[1,0,1]
	s_wait_loadcnt 0x4
	v_xor_b32_e32 v24, 0x80000000, v65
	v_pk_fma_f32 v[8:9], v[46:47], v[54:55], v[8:9] op_sel_hi:[1,0,1]
	v_pk_fma_f32 v[12:13], v[48:49], v[54:55], v[12:13] op_sel_hi:[1,0,1]
	;; [unrolled: 1-line block ×4, first 2 shown]
	v_mov_b32_e32 v25, v64
	v_pk_fma_f32 v[8:9], v[46:47], v[54:55], v[8:9] op_sel:[1,1,0] op_sel_hi:[0,1,1] neg_lo:[1,0,0]
	v_pk_fma_f32 v[12:13], v[94:95], v[54:55], v[12:13] op_sel:[0,1,0]
	v_pk_fma_f32 v[10:11], v[42:43], v[54:55], v[10:11] op_sel:[1,1,0] op_sel_hi:[0,1,1] neg_lo:[1,0,0]
	v_pk_fma_f32 v[0:1], v[96:97], v[54:55], v[0:1] op_sel:[0,1,0]
	s_wait_loadcnt 0x2
	v_dual_mov_b32 v27, v60 :: v_dual_mov_b32 v29, v72
	v_pk_fma_f32 v[8:9], v[62:63], v[56:57], v[8:9] op_sel_hi:[1,0,1]
	v_pk_fma_f32 v[12:13], v[64:65], v[56:57], v[12:13] op_sel_hi:[1,0,1]
	;; [unrolled: 1-line block ×4, first 2 shown]
	v_xor_b32_e32 v28, 0x80000000, v73
	v_pk_fma_f32 v[8:9], v[62:63], v[22:23], v[8:9] op_sel:[1,0,0] op_sel_hi:[0,0,1] neg_lo:[1,0,0]
	v_pk_fma_f32 v[12:13], v[24:25], v[22:23], v[12:13] op_sel_hi:[1,0,1]
	v_pk_fma_f32 v[10:11], v[58:59], v[22:23], v[10:11] op_sel:[1,0,0] op_sel_hi:[0,0,1] neg_lo:[1,0,0]
	v_pk_fma_f32 v[0:1], v[26:27], v[22:23], v[0:1] op_sel_hi:[1,0,1]
	v_xor_b32_e32 v30, 0x80000000, v69
	s_wait_loadcnt 0x0
	v_dual_mov_b32 v31, v68 :: v_dual_mov_b32 v93, v80
	v_pk_fma_f32 v[8:9], v[70:71], v[74:75], v[8:9] op_sel_hi:[1,0,1]
	v_pk_fma_f32 v[12:13], v[72:73], v[74:75], v[12:13] op_sel_hi:[1,0,1]
	;; [unrolled: 1-line block ×4, first 2 shown]
	v_xor_b32_e32 v92, 0x80000000, v81
	v_pk_fma_f32 v[8:9], v[70:71], v[74:75], v[8:9] op_sel:[1,1,0] op_sel_hi:[0,1,1] neg_lo:[1,0,0]
	v_pk_fma_f32 v[12:13], v[28:29], v[74:75], v[12:13] op_sel:[0,1,0]
	v_pk_fma_f32 v[10:11], v[66:67], v[74:75], v[10:11] op_sel:[1,1,0] op_sel_hi:[0,1,1] neg_lo:[1,0,0]
	v_pk_fma_f32 v[0:1], v[30:31], v[74:75], v[0:1] op_sel:[0,1,0]
	v_mov_b32_e32 v14, v77
	v_pk_fma_f32 v[8:9], v[38:39], v[76:77], v[8:9] op_sel_hi:[1,0,1]
	v_pk_fma_f32 v[12:13], v[40:41], v[76:77], v[12:13] op_sel_hi:[1,0,1]
	;; [unrolled: 1-line block ×4, first 2 shown]
	s_delay_alu instid0(VALU_DEP_4) | instskip(NEXT) | instid1(VALU_DEP_4)
	v_pk_fma_f32 v[8:9], v[38:39], v[14:15], v[8:9] op_sel:[1,0,0] op_sel_hi:[0,0,1] neg_lo:[1,0,0]
	v_pk_fma_f32 v[12:13], v[88:89], v[14:15], v[12:13] op_sel_hi:[1,0,1]
	s_delay_alu instid0(VALU_DEP_4) | instskip(NEXT) | instid1(VALU_DEP_4)
	v_pk_fma_f32 v[10:11], v[78:79], v[14:15], v[10:11] op_sel:[1,0,0] op_sel_hi:[0,0,1] neg_lo:[1,0,0]
	v_pk_fma_f32 v[0:1], v[92:93], v[14:15], v[0:1] op_sel_hi:[1,0,1]
	s_and_not1_b32 exec_lo, exec_lo, s4
	s_cbranch_execnz .LBB97_5
; %bb.6:
	s_or_b32 exec_lo, exec_lo, s4
.LBB97_7:
	s_delay_alu instid0(SALU_CYCLE_1)
	s_or_b32 exec_lo, exec_lo, s3
	s_cbranch_execz .LBB97_9
	s_branch .LBB97_14
.LBB97_8:
                                        ; implicit-def: $vgpr9
                                        ; implicit-def: $vgpr1
                                        ; implicit-def: $vgpr11
                                        ; implicit-def: $vgpr13
.LBB97_9:
	v_mov_b32_e32 v9, 0
	s_delay_alu instid0(VALU_DEP_1)
	v_dual_mov_b32 v8, v9 :: v_dual_mov_b32 v1, v9
	v_dual_mov_b32 v0, v9 :: v_dual_mov_b32 v11, v9
	;; [unrolled: 1-line block ×3, first 2 shown]
	v_mov_b32_e32 v12, v9
	s_and_saveexec_b32 s3, s2
	s_cbranch_execz .LBB97_13
; %bb.10:
	v_mad_u32 v16, v19, 24, 23
	v_mov_b32_e32 v15, 0
	s_mov_b32 s2, 0
	s_delay_alu instid0(VALU_DEP_1)
	v_dual_mov_b32 v0, v15 :: v_dual_mov_b32 v1, v15
	v_dual_mov_b32 v10, v15 :: v_dual_mov_b32 v11, v15
	;; [unrolled: 1-line block ×4, first 2 shown]
.LBB97_11:                              ; =>This Inner Loop Header: Depth=1
	global_load_b32 v17, v19, s[6:7] scale_offset
	v_subrev_nc_u32_e32 v14, 23, v16
	v_dual_add_nc_u32 v28, -11, v16 :: v_dual_add_nc_u32 v29, -5, v16
	v_dual_mov_b32 v41, v15 :: v_dual_add_nc_u32 v32, -10, v16
	s_delay_alu instid0(VALU_DEP_3)
	v_lshl_add_u64 v[48:49], v[14:15], 3, s[8:9]
	v_dual_add_nc_u32 v33, -4, v16 :: v_dual_add_nc_u32 v34, -15, v16
	s_clause 0x3
	global_load_b64 v[50:51], v28, s[8:9] scale_offset
	global_load_b64 v[52:53], v29, s[8:9] scale_offset
	global_load_b128 v[20:23], v[48:49], off
	global_load_b128 v[24:27], v[48:49], off offset:48
	v_dual_add_nc_u32 v37, -14, v16 :: v_dual_add_nc_u32 v44, -8, v16
	v_dual_add_nc_u32 v35, -9, v16 :: v_dual_add_nc_u32 v36, -3, v16
	;; [unrolled: 1-line block ×3, first 2 shown]
	s_wait_xcnt 0x4
	v_dual_add_nc_u32 v47, -7, v16 :: v_dual_add_nc_u32 v19, 32, v19
	s_delay_alu instid0(VALU_DEP_1) | instskip(SKIP_4) | instid1(VALU_DEP_2)
	v_cmp_ge_i32_e32 vcc_lo, v19, v18
	s_or_b32 s2, vcc_lo, s2
	s_wait_loadcnt 0x4
	v_subrev_nc_u32_e32 v14, s12, v17
	v_add_nc_u32_e32 v17, -12, v16
	v_mul_lo_u32 v40, v14, 6
	s_wait_loadcnt 0x1
	v_mov_b32_e32 v81, v22
	v_xor_b32_e32 v80, 0x80000000, v23
	s_delay_alu instid0(VALU_DEP_3)
	v_lshl_add_u64 v[28:29], v[40:41], 3, s[10:11]
	v_add_nc_u32_e32 v14, 2, v40
	v_add_nc_u32_e32 v41, -1, v16
	global_load_b128 v[28:31], v[28:29], off
	s_clause 0x4
	global_load_b64 v[54:55], v34, s[8:9] scale_offset
	global_load_b64 v[56:57], v37, s[8:9] scale_offset
	;; [unrolled: 1-line block ×5, first 2 shown]
	v_lshl_add_u64 v[42:43], v[14:15], 3, s[10:11]
	s_clause 0x1
	global_load_b64 v[64:65], v36, s[8:9] scale_offset
	global_load_b128 v[32:35], v[48:49], off offset:16
	global_load_b128 v[36:39], v[42:43], off
	s_clause 0x4
	global_load_b64 v[66:67], v46, s[8:9] scale_offset
	global_load_b64 v[68:69], v17, s[8:9] scale_offset
	;; [unrolled: 1-line block ×5, first 2 shown]
	v_add_nc_u32_e32 v14, 4, v40
	s_wait_loadcnt 0xd
	v_pk_fma_f32 v[10:11], v[50:51], v[28:29], v[10:11] op_sel_hi:[1,0,1]
	v_pk_fma_f32 v[8:9], v[20:21], v[28:29], v[8:9] op_sel_hi:[1,0,1]
	;; [unrolled: 1-line block ×4, first 2 shown]
	s_delay_alu instid0(VALU_DEP_4)
	v_pk_fma_f32 v[10:11], v[50:51], v[28:29], v[10:11] op_sel:[1,1,0] op_sel_hi:[0,1,1] neg_lo:[1,0,0]
	v_mov_b32_e32 v51, v26
	v_lshl_add_u64 v[78:79], v[14:15], 3, s[10:11]
	v_add_nc_u32_e32 v14, -6, v16
	s_clause 0x1
	global_load_b64 v[76:77], v41, s[8:9] scale_offset
	global_load_b128 v[40:43], v[48:49], off offset:32
	global_load_b128 v[44:47], v[78:79], off
	s_clause 0x1
	global_load_b64 v[48:49], v14, s[8:9] scale_offset
	global_load_b64 v[78:79], v16, s[8:9] scale_offset
	v_pk_fma_f32 v[8:9], v[20:21], v[28:29], v[8:9] op_sel:[1,1,0] op_sel_hi:[0,1,1] neg_lo:[1,0,0]
	v_pk_fma_f32 v[12:13], v[24:25], v[28:29], v[12:13] op_sel:[1,1,0] op_sel_hi:[0,1,1] neg_lo:[1,0,0]
	;; [unrolled: 1-line block ×3, first 2 shown]
	v_xor_b32_e32 v50, 0x80000000, v27
	s_wait_xcnt 0x1
	v_mov_b32_e32 v14, v31
	v_pk_fma_f32 v[8:9], v[22:23], v[30:31], v[8:9] op_sel_hi:[1,0,1]
	v_pk_fma_f32 v[12:13], v[26:27], v[30:31], v[12:13] op_sel_hi:[1,0,1]
	s_wait_loadcnt 0xe
	v_pk_fma_f32 v[10:11], v[60:61], v[30:31], v[10:11] op_sel_hi:[1,0,1]
	s_wait_loadcnt 0xd
	;; [unrolled: 2-line block ×3, first 2 shown]
	v_xor_b32_e32 v20, 0x80000000, v35
	v_pk_fma_f32 v[8:9], v[80:81], v[14:15], v[8:9] op_sel_hi:[1,0,1]
	v_pk_fma_f32 v[12:13], v[50:51], v[14:15], v[12:13] op_sel_hi:[1,0,1]
	v_pk_fma_f32 v[10:11], v[60:61], v[14:15], v[10:11] op_sel:[1,0,0] op_sel_hi:[0,0,1] neg_lo:[1,0,0]
	v_pk_fma_f32 v[0:1], v[62:63], v[14:15], v[0:1] op_sel:[1,0,0] op_sel_hi:[0,0,1] neg_lo:[1,0,0]
	s_wait_loadcnt 0xa
	v_dual_mov_b32 v21, v34 :: v_dual_mov_b32 v14, v39
	v_pk_fma_f32 v[8:9], v[32:33], v[36:37], v[8:9] op_sel_hi:[1,0,1]
	v_pk_fma_f32 v[12:13], v[54:55], v[36:37], v[12:13] op_sel_hi:[1,0,1]
	;; [unrolled: 1-line block ×4, first 2 shown]
	s_wait_xcnt 0x0
	v_add_nc_u32_e32 v16, 0x300, v16
	v_pk_fma_f32 v[8:9], v[32:33], v[36:37], v[8:9] op_sel:[1,1,0] op_sel_hi:[0,1,1] neg_lo:[1,0,0]
	v_pk_fma_f32 v[12:13], v[54:55], v[36:37], v[12:13] op_sel:[1,1,0] op_sel_hi:[0,1,1] neg_lo:[1,0,0]
	;; [unrolled: 1-line block ×4, first 2 shown]
	s_delay_alu instid0(VALU_DEP_4) | instskip(NEXT) | instid1(VALU_DEP_4)
	v_pk_fma_f32 v[8:9], v[34:35], v[38:39], v[8:9] op_sel_hi:[1,0,1]
	v_pk_fma_f32 v[12:13], v[56:57], v[38:39], v[12:13] op_sel_hi:[1,0,1]
	s_wait_loadcnt 0x6
	v_pk_fma_f32 v[10:11], v[72:73], v[38:39], v[10:11] op_sel_hi:[1,0,1]
	s_wait_loadcnt 0x5
	v_pk_fma_f32 v[0:1], v[74:75], v[38:39], v[0:1] op_sel_hi:[1,0,1]
	v_pk_fma_f32 v[8:9], v[20:21], v[14:15], v[8:9] op_sel_hi:[1,0,1]
	v_pk_fma_f32 v[12:13], v[56:57], v[14:15], v[12:13] op_sel:[1,0,0] op_sel_hi:[0,0,1] neg_lo:[1,0,0]
	v_pk_fma_f32 v[10:11], v[72:73], v[14:15], v[10:11] op_sel:[1,0,0] op_sel_hi:[0,0,1] neg_lo:[1,0,0]
	s_delay_alu instid0(VALU_DEP_4)
	v_pk_fma_f32 v[0:1], v[74:75], v[14:15], v[0:1] op_sel:[1,0,0] op_sel_hi:[0,0,1] neg_lo:[1,0,0]
	s_wait_loadcnt 0x3
	v_xor_b32_e32 v20, 0x80000000, v43
	s_wait_loadcnt 0x2
	v_pk_fma_f32 v[8:9], v[40:41], v[44:45], v[8:9] op_sel_hi:[1,0,1]
	v_pk_fma_f32 v[12:13], v[66:67], v[44:45], v[12:13] op_sel_hi:[1,0,1]
	;; [unrolled: 1-line block ×4, first 2 shown]
	v_mov_b32_e32 v21, v42
	v_pk_fma_f32 v[8:9], v[40:41], v[44:45], v[8:9] op_sel:[1,1,0] op_sel_hi:[0,1,1] neg_lo:[1,0,0]
	v_pk_fma_f32 v[12:13], v[66:67], v[44:45], v[12:13] op_sel:[1,1,0] op_sel_hi:[0,1,1] neg_lo:[1,0,0]
	;; [unrolled: 1-line block ×4, first 2 shown]
	v_mov_b32_e32 v14, v47
	v_pk_fma_f32 v[8:9], v[42:43], v[46:47], v[8:9] op_sel_hi:[1,0,1]
	v_pk_fma_f32 v[12:13], v[68:69], v[46:47], v[12:13] op_sel_hi:[1,0,1]
	s_wait_loadcnt 0x1
	v_pk_fma_f32 v[10:11], v[48:49], v[46:47], v[10:11] op_sel_hi:[1,0,1]
	s_wait_loadcnt 0x0
	v_pk_fma_f32 v[0:1], v[78:79], v[46:47], v[0:1] op_sel_hi:[1,0,1]
	v_pk_fma_f32 v[8:9], v[20:21], v[14:15], v[8:9] op_sel_hi:[1,0,1]
	v_pk_fma_f32 v[12:13], v[68:69], v[14:15], v[12:13] op_sel:[1,0,0] op_sel_hi:[0,0,1] neg_lo:[1,0,0]
	v_pk_fma_f32 v[10:11], v[48:49], v[14:15], v[10:11] op_sel:[1,0,0] op_sel_hi:[0,0,1] neg_lo:[1,0,0]
	s_delay_alu instid0(VALU_DEP_4)
	v_pk_fma_f32 v[0:1], v[78:79], v[14:15], v[0:1] op_sel:[1,0,0] op_sel_hi:[0,0,1] neg_lo:[1,0,0]
	s_and_not1_b32 exec_lo, exec_lo, s2
	s_cbranch_execnz .LBB97_11
; %bb.12:
	s_or_b32 exec_lo, exec_lo, s2
.LBB97_13:
	s_delay_alu instid0(SALU_CYCLE_1)
	s_or_b32 exec_lo, exec_lo, s3
.LBB97_14:
	v_mbcnt_lo_u32_b32 v14, -1, 0
	s_delay_alu instid0(VALU_DEP_1) | instskip(SKIP_1) | instid1(VALU_DEP_1)
	v_xor_b32_e32 v23, 8, v14
	v_xor_b32_e32 v15, 16, v14
	v_cmp_gt_i32_e32 vcc_lo, 32, v15
	v_cndmask_b32_e32 v15, v14, v15, vcc_lo
	s_delay_alu instid0(VALU_DEP_1)
	v_lshlrev_b32_e32 v15, 2, v15
	ds_bpermute_b32 v17, v15, v9
	s_wait_dscnt 0x0
	v_add_f32_e32 v9, v9, v17
	ds_bpermute_b32 v19, v15, v13
	ds_bpermute_b32 v16, v15, v8
	;; [unrolled: 1-line block ×7, first 2 shown]
	s_wait_dscnt 0x6
	v_add_f32_e32 v13, v13, v19
	v_cmp_gt_i32_e32 vcc_lo, 32, v23
	s_wait_dscnt 0x5
	v_add_f32_e32 v8, v8, v16
	s_wait_dscnt 0x2
	v_dual_add_f32 v10, v10, v20 :: v_dual_add_f32 v11, v11, v21
	s_wait_dscnt 0x0
	v_dual_add_f32 v0, v0, v22 :: v_dual_add_f32 v1, v1, v15
	v_dual_cndmask_b32 v23, v14, v23 :: v_dual_add_f32 v12, v12, v18
	s_delay_alu instid0(VALU_DEP_1)
	v_lshlrev_b32_e32 v23, 2, v23
	ds_bpermute_b32 v15, v23, v8
	ds_bpermute_b32 v16, v23, v9
	;; [unrolled: 1-line block ×8, first 2 shown]
	s_wait_dscnt 0x7
	v_dual_add_f32 v8, v8, v15 :: v_dual_bitop2_b32 v23, 4, v14 bitop3:0x14
	s_delay_alu instid0(VALU_DEP_1)
	v_cmp_gt_i32_e32 vcc_lo, 32, v23
	s_wait_dscnt 0x6
	v_add_f32_e32 v9, v9, v16
	s_wait_dscnt 0x3
	v_dual_add_f32 v13, v13, v18 :: v_dual_add_f32 v10, v10, v19
	s_wait_dscnt 0x1
	v_dual_add_f32 v11, v11, v20 :: v_dual_add_f32 v0, v0, v21
	v_dual_cndmask_b32 v23, v14, v23 :: v_dual_add_f32 v12, v12, v17
	s_wait_dscnt 0x0
	s_delay_alu instid0(VALU_DEP_1)
	v_dual_add_f32 v1, v1, v22 :: v_dual_lshlrev_b32 v23, 2, v23
	ds_bpermute_b32 v15, v23, v8
	ds_bpermute_b32 v16, v23, v9
	;; [unrolled: 1-line block ×8, first 2 shown]
	s_wait_dscnt 0x7
	v_dual_add_f32 v8, v8, v15 :: v_dual_bitop2_b32 v23, 2, v14 bitop3:0x14
	s_delay_alu instid0(VALU_DEP_1)
	v_cmp_gt_i32_e32 vcc_lo, 32, v23
	s_wait_dscnt 0x4
	v_dual_add_f32 v12, v12, v17 :: v_dual_add_f32 v13, v13, v18
	s_wait_dscnt 0x3
	v_dual_add_f32 v9, v9, v16 :: v_dual_add_f32 v15, v10, v19
	s_wait_dscnt 0x2
	v_dual_add_f32 v16, v11, v20 :: v_dual_cndmask_b32 v23, v14, v23
	s_wait_dscnt 0x0
	v_dual_add_f32 v17, v0, v21 :: v_dual_add_f32 v18, v1, v22
	s_delay_alu instid0(VALU_DEP_2)
	v_lshlrev_b32_e32 v23, 2, v23
	ds_bpermute_b32 v0, v23, v8
	ds_bpermute_b32 v1, v23, v9
	;; [unrolled: 1-line block ×8, first 2 shown]
	s_wait_dscnt 0x7
	v_dual_add_f32 v0, v8, v0 :: v_dual_bitop2_b32 v23, 1, v14 bitop3:0x14
	s_delay_alu instid0(VALU_DEP_1)
	v_cmp_gt_i32_e32 vcc_lo, 32, v23
	s_wait_dscnt 0x5
	v_dual_add_f32 v8, v9, v1 :: v_dual_add_f32 v10, v12, v10
	s_wait_dscnt 0x3
	v_add_f32_e32 v12, v15, v19
	v_add_f32_e32 v11, v13, v11
	s_wait_dscnt 0x2
	v_dual_cndmask_b32 v14, v14, v23 :: v_dual_add_f32 v13, v16, v20
	s_wait_dscnt 0x0
	v_dual_add_f32 v1, v17, v21 :: v_dual_add_f32 v9, v18, v22
	v_cmp_eq_u32_e32 vcc_lo, 31, v7
	s_delay_alu instid0(VALU_DEP_3)
	v_lshlrev_b32_e32 v23, 2, v14
	ds_bpermute_b32 v16, v23, v0
	ds_bpermute_b32 v17, v23, v8
	;; [unrolled: 1-line block ×8, first 2 shown]
	s_and_b32 exec_lo, exec_lo, vcc_lo
	s_cbranch_execz .LBB97_19
; %bb.15:
	s_load_b64 s[2:3], s[0:1], 0x38
	v_cmp_eq_f32_e32 vcc_lo, 0, v4
	s_wait_xcnt 0x0
	v_cmp_eq_f32_e64 s0, 0, v5
	s_wait_dscnt 0x7
	v_add_f32_e32 v0, v0, v16
	s_wait_dscnt 0x5
	v_dual_add_f32 v20, v8, v17 :: v_dual_add_f32 v8, v10, v18
	s_wait_dscnt 0x3
	v_dual_add_f32 v18, v11, v19 :: v_dual_add_f32 v10, v12, v21
	s_wait_dscnt 0x2
	v_add_f32_e32 v16, v13, v22
	s_wait_dscnt 0x1
	v_add_f32_e32 v12, v1, v14
	;; [unrolled: 2-line block ×3, first 2 shown]
	s_and_b32 s0, vcc_lo, s0
	s_delay_alu instid0(SALU_CYCLE_1) | instskip(NEXT) | instid1(SALU_CYCLE_1)
	s_and_saveexec_b32 s1, s0
	s_xor_b32 s0, exec_lo, s1
	s_cbranch_execz .LBB97_17
; %bb.16:
	v_xor_b32_e32 v4, 0x80000000, v3
	v_dual_mov_b32 v5, v2 :: v_dual_lshlrev_b32 v6, 2, v6
	s_delay_alu instid0(VALU_DEP_1) | instskip(NEXT) | instid1(VALU_DEP_2)
	v_ashrrev_i32_e32 v7, 31, v6
	v_pk_mul_f32 v[20:21], v[20:21], v[4:5] op_sel_hi:[0,1]
	v_pk_mul_f32 v[18:19], v[18:19], v[4:5] op_sel_hi:[0,1]
	;; [unrolled: 1-line block ×4, first 2 shown]
	s_wait_kmcnt 0x0
	v_lshl_add_u64 v[22:23], v[6:7], 3, s[2:3]
	v_pk_fma_f32 v[4:5], v[2:3], v[0:1], v[20:21] op_sel_hi:[1,0,1]
	v_pk_fma_f32 v[6:7], v[2:3], v[8:9], v[18:19] op_sel_hi:[1,0,1]
	v_pk_fma_f32 v[0:1], v[2:3], v[10:11], v[16:17] op_sel_hi:[1,0,1]
	v_pk_fma_f32 v[2:3], v[2:3], v[12:13], v[14:15] op_sel_hi:[1,0,1]
	s_clause 0x1
	global_store_b128 v[22:23], v[4:7], off
	global_store_b128 v[22:23], v[0:3], off offset:16
                                        ; implicit-def: $vgpr6
                                        ; implicit-def: $vgpr0
                                        ; implicit-def: $vgpr20
                                        ; implicit-def: $vgpr8
                                        ; implicit-def: $vgpr18
                                        ; implicit-def: $vgpr10
                                        ; implicit-def: $vgpr16
                                        ; implicit-def: $vgpr12
                                        ; implicit-def: $vgpr14
                                        ; implicit-def: $vgpr2_vgpr3
                                        ; implicit-def: $vgpr4_vgpr5
.LBB97_17:
	s_wait_xcnt 0x0
	s_and_not1_saveexec_b32 s0, s0
	s_cbranch_execz .LBB97_19
; %bb.18:
	v_lshlrev_b32_e32 v6, 2, v6
	v_xor_b32_e32 v32, 0x80000000, v5
	s_delay_alu instid0(VALU_DEP_2) | instskip(SKIP_1) | instid1(VALU_DEP_1)
	v_dual_mov_b32 v33, v4 :: v_dual_ashrrev_i32 v7, 31, v6
	s_wait_kmcnt 0x0
	v_lshl_add_u64 v[30:31], v[6:7], 3, s[2:3]
	v_xor_b32_e32 v6, 0x80000000, v3
	v_mov_b32_e32 v7, v2
	s_clause 0x1
	global_load_b128 v[22:25], v[30:31], off
	global_load_b128 v[26:29], v[30:31], off offset:16
	v_pk_mul_f32 v[20:21], v[20:21], v[6:7] op_sel_hi:[0,1]
	v_pk_mul_f32 v[18:19], v[18:19], v[6:7] op_sel_hi:[0,1]
	v_pk_mul_f32 v[16:17], v[16:17], v[6:7] op_sel_hi:[0,1]
	v_pk_mul_f32 v[6:7], v[14:15], v[6:7] op_sel_hi:[0,1]
	s_delay_alu instid0(VALU_DEP_4) | instskip(NEXT) | instid1(VALU_DEP_4)
	v_pk_fma_f32 v[0:1], v[2:3], v[0:1], v[20:21] op_sel_hi:[1,0,1]
	v_pk_fma_f32 v[8:9], v[2:3], v[8:9], v[18:19] op_sel_hi:[1,0,1]
	s_delay_alu instid0(VALU_DEP_4) | instskip(NEXT) | instid1(VALU_DEP_4)
	v_pk_fma_f32 v[10:11], v[2:3], v[10:11], v[16:17] op_sel_hi:[1,0,1]
	v_pk_fma_f32 v[2:3], v[2:3], v[12:13], v[6:7] op_sel_hi:[1,0,1]
	s_wait_loadcnt 0x1
	v_pk_fma_f32 v[0:1], v[4:5], v[22:23], v[0:1] op_sel_hi:[1,0,1]
	v_pk_fma_f32 v[6:7], v[4:5], v[24:25], v[8:9] op_sel_hi:[1,0,1]
	s_wait_loadcnt 0x0
	v_dual_mov_b32 v8, v25 :: v_dual_mov_b32 v14, v29
	v_pk_fma_f32 v[10:11], v[4:5], v[26:27], v[10:11] op_sel_hi:[1,0,1]
	v_pk_fma_f32 v[12:13], v[4:5], v[28:29], v[2:3] op_sel_hi:[1,0,1]
	v_pk_fma_f32 v[0:1], v[32:33], v[22:23], v[0:1] op_sel:[0,1,0]
	s_delay_alu instid0(VALU_DEP_4) | instskip(NEXT) | instid1(VALU_DEP_4)
	v_pk_fma_f32 v[2:3], v[32:33], v[8:9], v[6:7] op_sel_hi:[1,0,1]
	v_pk_fma_f32 v[4:5], v[32:33], v[26:27], v[10:11] op_sel:[0,1,0]
	s_delay_alu instid0(VALU_DEP_4)
	v_pk_fma_f32 v[6:7], v[32:33], v[14:15], v[12:13] op_sel_hi:[1,0,1]
	s_clause 0x1
	global_store_b128 v[30:31], v[0:3], off
	global_store_b128 v[30:31], v[4:7], off offset:16
.LBB97_19:
	s_sendmsg sendmsg(MSG_DEALLOC_VGPRS)
	s_endpgm
	.section	.rodata,"a",@progbits
	.p2align	6, 0x0
	.amdhsa_kernel _ZN9rocsparseL19gebsrmvn_4xn_kernelILj128ELj6ELj32E21rocsparse_complex_numIfEEEvi20rocsparse_direction_NS_24const_host_device_scalarIT2_EEPKiS8_PKS5_SA_S6_PS5_21rocsparse_index_base_b
		.amdhsa_group_segment_fixed_size 0
		.amdhsa_private_segment_fixed_size 0
		.amdhsa_kernarg_size 72
		.amdhsa_user_sgpr_count 2
		.amdhsa_user_sgpr_dispatch_ptr 0
		.amdhsa_user_sgpr_queue_ptr 0
		.amdhsa_user_sgpr_kernarg_segment_ptr 1
		.amdhsa_user_sgpr_dispatch_id 0
		.amdhsa_user_sgpr_kernarg_preload_length 0
		.amdhsa_user_sgpr_kernarg_preload_offset 0
		.amdhsa_user_sgpr_private_segment_size 0
		.amdhsa_wavefront_size32 1
		.amdhsa_uses_dynamic_stack 0
		.amdhsa_enable_private_segment 0
		.amdhsa_system_sgpr_workgroup_id_x 1
		.amdhsa_system_sgpr_workgroup_id_y 0
		.amdhsa_system_sgpr_workgroup_id_z 0
		.amdhsa_system_sgpr_workgroup_info 0
		.amdhsa_system_vgpr_workitem_id 0
		.amdhsa_next_free_vgpr 98
		.amdhsa_next_free_sgpr 14
		.amdhsa_named_barrier_count 0
		.amdhsa_reserve_vcc 1
		.amdhsa_float_round_mode_32 0
		.amdhsa_float_round_mode_16_64 0
		.amdhsa_float_denorm_mode_32 3
		.amdhsa_float_denorm_mode_16_64 3
		.amdhsa_fp16_overflow 0
		.amdhsa_memory_ordered 1
		.amdhsa_forward_progress 1
		.amdhsa_inst_pref_size 30
		.amdhsa_round_robin_scheduling 0
		.amdhsa_exception_fp_ieee_invalid_op 0
		.amdhsa_exception_fp_denorm_src 0
		.amdhsa_exception_fp_ieee_div_zero 0
		.amdhsa_exception_fp_ieee_overflow 0
		.amdhsa_exception_fp_ieee_underflow 0
		.amdhsa_exception_fp_ieee_inexact 0
		.amdhsa_exception_int_div_zero 0
	.end_amdhsa_kernel
	.section	.text._ZN9rocsparseL19gebsrmvn_4xn_kernelILj128ELj6ELj32E21rocsparse_complex_numIfEEEvi20rocsparse_direction_NS_24const_host_device_scalarIT2_EEPKiS8_PKS5_SA_S6_PS5_21rocsparse_index_base_b,"axG",@progbits,_ZN9rocsparseL19gebsrmvn_4xn_kernelILj128ELj6ELj32E21rocsparse_complex_numIfEEEvi20rocsparse_direction_NS_24const_host_device_scalarIT2_EEPKiS8_PKS5_SA_S6_PS5_21rocsparse_index_base_b,comdat
.Lfunc_end97:
	.size	_ZN9rocsparseL19gebsrmvn_4xn_kernelILj128ELj6ELj32E21rocsparse_complex_numIfEEEvi20rocsparse_direction_NS_24const_host_device_scalarIT2_EEPKiS8_PKS5_SA_S6_PS5_21rocsparse_index_base_b, .Lfunc_end97-_ZN9rocsparseL19gebsrmvn_4xn_kernelILj128ELj6ELj32E21rocsparse_complex_numIfEEEvi20rocsparse_direction_NS_24const_host_device_scalarIT2_EEPKiS8_PKS5_SA_S6_PS5_21rocsparse_index_base_b
                                        ; -- End function
	.set _ZN9rocsparseL19gebsrmvn_4xn_kernelILj128ELj6ELj32E21rocsparse_complex_numIfEEEvi20rocsparse_direction_NS_24const_host_device_scalarIT2_EEPKiS8_PKS5_SA_S6_PS5_21rocsparse_index_base_b.num_vgpr, 98
	.set _ZN9rocsparseL19gebsrmvn_4xn_kernelILj128ELj6ELj32E21rocsparse_complex_numIfEEEvi20rocsparse_direction_NS_24const_host_device_scalarIT2_EEPKiS8_PKS5_SA_S6_PS5_21rocsparse_index_base_b.num_agpr, 0
	.set _ZN9rocsparseL19gebsrmvn_4xn_kernelILj128ELj6ELj32E21rocsparse_complex_numIfEEEvi20rocsparse_direction_NS_24const_host_device_scalarIT2_EEPKiS8_PKS5_SA_S6_PS5_21rocsparse_index_base_b.numbered_sgpr, 14
	.set _ZN9rocsparseL19gebsrmvn_4xn_kernelILj128ELj6ELj32E21rocsparse_complex_numIfEEEvi20rocsparse_direction_NS_24const_host_device_scalarIT2_EEPKiS8_PKS5_SA_S6_PS5_21rocsparse_index_base_b.num_named_barrier, 0
	.set _ZN9rocsparseL19gebsrmvn_4xn_kernelILj128ELj6ELj32E21rocsparse_complex_numIfEEEvi20rocsparse_direction_NS_24const_host_device_scalarIT2_EEPKiS8_PKS5_SA_S6_PS5_21rocsparse_index_base_b.private_seg_size, 0
	.set _ZN9rocsparseL19gebsrmvn_4xn_kernelILj128ELj6ELj32E21rocsparse_complex_numIfEEEvi20rocsparse_direction_NS_24const_host_device_scalarIT2_EEPKiS8_PKS5_SA_S6_PS5_21rocsparse_index_base_b.uses_vcc, 1
	.set _ZN9rocsparseL19gebsrmvn_4xn_kernelILj128ELj6ELj32E21rocsparse_complex_numIfEEEvi20rocsparse_direction_NS_24const_host_device_scalarIT2_EEPKiS8_PKS5_SA_S6_PS5_21rocsparse_index_base_b.uses_flat_scratch, 1
	.set _ZN9rocsparseL19gebsrmvn_4xn_kernelILj128ELj6ELj32E21rocsparse_complex_numIfEEEvi20rocsparse_direction_NS_24const_host_device_scalarIT2_EEPKiS8_PKS5_SA_S6_PS5_21rocsparse_index_base_b.has_dyn_sized_stack, 0
	.set _ZN9rocsparseL19gebsrmvn_4xn_kernelILj128ELj6ELj32E21rocsparse_complex_numIfEEEvi20rocsparse_direction_NS_24const_host_device_scalarIT2_EEPKiS8_PKS5_SA_S6_PS5_21rocsparse_index_base_b.has_recursion, 0
	.set _ZN9rocsparseL19gebsrmvn_4xn_kernelILj128ELj6ELj32E21rocsparse_complex_numIfEEEvi20rocsparse_direction_NS_24const_host_device_scalarIT2_EEPKiS8_PKS5_SA_S6_PS5_21rocsparse_index_base_b.has_indirect_call, 0
	.section	.AMDGPU.csdata,"",@progbits
; Kernel info:
; codeLenInByte = 3756
; TotalNumSgprs: 16
; NumVgprs: 98
; ScratchSize: 0
; MemoryBound: 0
; FloatMode: 240
; IeeeMode: 1
; LDSByteSize: 0 bytes/workgroup (compile time only)
; SGPRBlocks: 0
; VGPRBlocks: 6
; NumSGPRsForWavesPerEU: 16
; NumVGPRsForWavesPerEU: 98
; NamedBarCnt: 0
; Occupancy: 9
; WaveLimiterHint : 1
; COMPUTE_PGM_RSRC2:SCRATCH_EN: 0
; COMPUTE_PGM_RSRC2:USER_SGPR: 2
; COMPUTE_PGM_RSRC2:TRAP_HANDLER: 0
; COMPUTE_PGM_RSRC2:TGID_X_EN: 1
; COMPUTE_PGM_RSRC2:TGID_Y_EN: 0
; COMPUTE_PGM_RSRC2:TGID_Z_EN: 0
; COMPUTE_PGM_RSRC2:TIDIG_COMP_CNT: 0
	.section	.text._ZN9rocsparseL19gebsrmvn_4xn_kernelILj128ELj6ELj64E21rocsparse_complex_numIfEEEvi20rocsparse_direction_NS_24const_host_device_scalarIT2_EEPKiS8_PKS5_SA_S6_PS5_21rocsparse_index_base_b,"axG",@progbits,_ZN9rocsparseL19gebsrmvn_4xn_kernelILj128ELj6ELj64E21rocsparse_complex_numIfEEEvi20rocsparse_direction_NS_24const_host_device_scalarIT2_EEPKiS8_PKS5_SA_S6_PS5_21rocsparse_index_base_b,comdat
	.globl	_ZN9rocsparseL19gebsrmvn_4xn_kernelILj128ELj6ELj64E21rocsparse_complex_numIfEEEvi20rocsparse_direction_NS_24const_host_device_scalarIT2_EEPKiS8_PKS5_SA_S6_PS5_21rocsparse_index_base_b ; -- Begin function _ZN9rocsparseL19gebsrmvn_4xn_kernelILj128ELj6ELj64E21rocsparse_complex_numIfEEEvi20rocsparse_direction_NS_24const_host_device_scalarIT2_EEPKiS8_PKS5_SA_S6_PS5_21rocsparse_index_base_b
	.p2align	8
	.type	_ZN9rocsparseL19gebsrmvn_4xn_kernelILj128ELj6ELj64E21rocsparse_complex_numIfEEEvi20rocsparse_direction_NS_24const_host_device_scalarIT2_EEPKiS8_PKS5_SA_S6_PS5_21rocsparse_index_base_b,@function
_ZN9rocsparseL19gebsrmvn_4xn_kernelILj128ELj6ELj64E21rocsparse_complex_numIfEEEvi20rocsparse_direction_NS_24const_host_device_scalarIT2_EEPKiS8_PKS5_SA_S6_PS5_21rocsparse_index_base_b: ; @_ZN9rocsparseL19gebsrmvn_4xn_kernelILj128ELj6ELj64E21rocsparse_complex_numIfEEEvi20rocsparse_direction_NS_24const_host_device_scalarIT2_EEPKiS8_PKS5_SA_S6_PS5_21rocsparse_index_base_b
; %bb.0:
	s_clause 0x2
	s_load_b64 s[12:13], s[0:1], 0x40
	s_load_b64 s[2:3], s[0:1], 0x8
	;; [unrolled: 1-line block ×3, first 2 shown]
	v_mov_b32_e32 v1, 0
	s_add_nc_u64 s[6:7], s[0:1], 8
	s_add_nc_u64 s[8:9], s[0:1], 48
	s_wait_kmcnt 0x0
	s_bitcmp1_b32 s13, 0
	s_cselect_b32 s3, s7, s3
	s_cselect_b32 s2, s6, s2
	;; [unrolled: 1-line block ×4, first 2 shown]
	s_clause 0x1
	flat_load_b64 v[2:3], v1, s[2:3]
	flat_load_b64 v[4:5], v1, s[4:5]
	s_wait_loadcnt_dscnt 0x101
	v_cmp_eq_f32_e32 vcc_lo, 0, v2
	v_cmp_eq_f32_e64 s2, 0, v3
	s_wait_loadcnt_dscnt 0x0
	v_cmp_eq_f32_e64 s3, 1.0, v4
	v_cmp_eq_f32_e64 s4, 0, v5
	s_and_b32 s2, vcc_lo, s2
	s_and_b32 s3, s3, s4
	s_delay_alu instid0(SALU_CYCLE_1) | instskip(NEXT) | instid1(SALU_CYCLE_1)
	s_and_b32 s2, s2, s3
	s_xor_b32 s2, s2, -1
	s_delay_alu instid0(SALU_CYCLE_1)
	s_and_saveexec_b32 s3, s2
	s_cbranch_execz .LBB98_19
; %bb.1:
	s_load_b64 s[2:3], s[0:1], 0x0
	s_bfe_u32 s4, ttmp6, 0x4000c
	s_and_b32 s5, ttmp6, 15
	s_add_co_i32 s4, s4, 1
	s_getreg_b32 s6, hwreg(HW_REG_IB_STS2, 6, 4)
	s_mul_i32 s4, ttmp9, s4
	v_lshrrev_b32_e32 v1, 6, v0
	s_add_co_i32 s5, s5, s4
	s_cmp_eq_u32 s6, 0
	s_cselect_b32 s4, ttmp9, s5
	s_delay_alu instid0(VALU_DEP_1) | instid1(SALU_CYCLE_1)
	v_lshl_or_b32 v6, s4, 1, v1
	s_wait_kmcnt 0x0
	s_delay_alu instid0(VALU_DEP_1)
	v_cmp_gt_i32_e32 vcc_lo, s2, v6
	s_and_b32 exec_lo, exec_lo, vcc_lo
	s_cbranch_execz .LBB98_19
; %bb.2:
	s_load_b256 s[4:11], s[0:1], 0x10
	v_ashrrev_i32_e32 v7, 31, v6
	s_cmp_lg_u32 s3, 0
	s_wait_kmcnt 0x0
	s_delay_alu instid0(VALU_DEP_1)
	v_lshl_add_u64 v[8:9], v[6:7], 2, s[4:5]
	v_and_b32_e32 v7, 63, v0
	global_load_b64 v[8:9], v[8:9], off
	s_wait_loadcnt 0x0
	v_subrev_nc_u32_e32 v0, s12, v8
	v_subrev_nc_u32_e32 v18, s12, v9
	s_delay_alu instid0(VALU_DEP_2) | instskip(NEXT) | instid1(VALU_DEP_1)
	v_add_nc_u32_e32 v19, v0, v7
	v_cmp_lt_i32_e64 s2, v19, v18
	s_cbranch_scc0 .LBB98_8
; %bb.3:
	v_mov_b32_e32 v9, 0
	s_delay_alu instid0(VALU_DEP_1)
	v_dual_mov_b32 v8, v9 :: v_dual_mov_b32 v1, v9
	v_dual_mov_b32 v0, v9 :: v_dual_mov_b32 v11, v9
	;; [unrolled: 1-line block ×3, first 2 shown]
	v_mov_b32_e32 v12, v9
	s_and_saveexec_b32 s3, s2
	s_cbranch_execz .LBB98_7
; %bb.4:
	v_mad_u32 v16, v19, 24, 20
	v_dual_mov_b32 v15, 0 :: v_dual_mov_b32 v20, v19
	s_mov_b32 s4, 0
	s_delay_alu instid0(VALU_DEP_1)
	v_dual_mov_b32 v0, v15 :: v_dual_mov_b32 v1, v15
	v_dual_mov_b32 v10, v15 :: v_dual_mov_b32 v11, v15
	;; [unrolled: 1-line block ×4, first 2 shown]
.LBB98_5:                               ; =>This Inner Loop Header: Depth=1
	global_load_b32 v21, v20, s[6:7] scale_offset
	v_subrev_nc_u32_e32 v14, 20, v16
	v_dual_mov_b32 v59, v15 :: v_dual_mov_b32 v17, v15
	s_wait_xcnt 0x0
	v_add_nc_u32_e32 v20, 64, v20
	s_delay_alu instid0(VALU_DEP_3) | instskip(SKIP_2) | instid1(VALU_DEP_4)
	v_lshl_add_u64 v[50:51], v[14:15], 3, s[8:9]
	v_add_nc_u32_e32 v14, -12, v16
	v_lshl_add_u64 v[82:83], v[16:17], 3, s[8:9]
	v_cmp_ge_i32_e32 vcc_lo, v20, v18
	s_delay_alu instid0(VALU_DEP_3)
	v_lshl_add_u64 v[52:53], v[14:15], 3, s[8:9]
	s_clause 0x6
	global_load_b128 v[22:25], v[50:51], off
	global_load_b128 v[26:29], v[50:51], off offset:16
	global_load_b128 v[30:33], v[50:51], off offset:48
	;; [unrolled: 1-line block ×3, first 2 shown]
	global_load_b128 v[38:41], v[82:83], off
	global_load_b128 v[42:45], v[52:53], off offset:16
	global_load_b128 v[46:49], v[52:53], off
	s_or_b32 s4, vcc_lo, s4
	s_wait_loadcnt 0x7
	v_subrev_nc_u32_e32 v14, s12, v21
	s_delay_alu instid0(VALU_DEP_1)
	v_mul_lo_u32 v58, v14, 6
	s_wait_loadcnt 0x4
	v_xor_b32_e32 v90, 0x80000000, v33
	v_mov_b32_e32 v91, v32
	s_wait_loadcnt 0x2
	v_xor_b32_e32 v88, 0x80000000, v41
	s_wait_loadcnt 0x1
	v_xor_b32_e32 v96, 0x80000000, v45
	s_wait_loadcnt 0x0
	v_mov_b32_e32 v95, v48
	v_xor_b32_e32 v94, 0x80000000, v49
	v_mov_b32_e32 v89, v40
	v_lshl_add_u64 v[50:51], v[58:59], 3, s[10:11]
	v_add_nc_u32_e32 v14, 2, v58
	global_load_b128 v[50:53], v[50:51], off
	v_lshl_add_u64 v[54:55], v[14:15], 3, s[10:11]
	v_add_nc_u32_e32 v14, -8, v16
	global_load_b128 v[54:57], v[54:55], off
	v_lshl_add_u64 v[66:67], v[14:15], 3, s[8:9]
	v_dual_mov_b32 v97, v44 :: v_dual_add_nc_u32 v14, -4, v16
	v_add_nc_u32_e32 v16, 0x600, v16
	s_delay_alu instid0(VALU_DEP_2)
	v_lshl_add_u64 v[84:85], v[14:15], 3, s[8:9]
	v_add_nc_u32_e32 v14, 4, v58
	s_clause 0x1
	global_load_b128 v[58:61], v[66:67], off offset:16
	global_load_b128 v[62:65], v[66:67], off
	v_lshl_add_u64 v[86:87], v[14:15], 3, s[10:11]
	s_clause 0x1
	global_load_b128 v[66:69], v[84:85], off offset:16
	global_load_b128 v[70:73], v[84:85], off
	global_load_b128 v[74:77], v[86:87], off
	global_load_b128 v[78:81], v[82:83], off offset:16
	s_wait_xcnt 0x0
	v_xor_b32_e32 v82, 0x80000000, v25
	v_mov_b32_e32 v83, v24
	v_xor_b32_e32 v84, 0x80000000, v29
	v_mov_b32_e32 v85, v28
	;; [unrolled: 2-line block ×3, first 2 shown]
	s_wait_loadcnt 0x7
	v_pk_fma_f32 v[8:9], v[22:23], v[50:51], v[8:9] op_sel_hi:[1,0,1]
	v_pk_fma_f32 v[12:13], v[24:25], v[50:51], v[12:13] op_sel_hi:[1,0,1]
	;; [unrolled: 1-line block ×4, first 2 shown]
	v_mov_b32_e32 v14, v53
	v_pk_fma_f32 v[8:9], v[22:23], v[50:51], v[8:9] op_sel:[1,1,0] op_sel_hi:[0,1,1] neg_lo:[1,0,0]
	v_pk_fma_f32 v[12:13], v[82:83], v[50:51], v[12:13] op_sel:[0,1,0]
	v_pk_fma_f32 v[10:11], v[26:27], v[50:51], v[10:11] op_sel:[1,1,0] op_sel_hi:[0,1,1] neg_lo:[1,0,0]
	v_pk_fma_f32 v[0:1], v[84:85], v[50:51], v[0:1] op_sel:[0,1,0]
	s_wait_loadcnt 0x6
	v_mov_b32_e32 v22, v57
	v_pk_fma_f32 v[8:9], v[34:35], v[52:53], v[8:9] op_sel_hi:[1,0,1]
	v_pk_fma_f32 v[12:13], v[36:37], v[52:53], v[12:13] op_sel_hi:[1,0,1]
	;; [unrolled: 1-line block ×4, first 2 shown]
	s_wait_loadcnt 0x5
	v_xor_b32_e32 v26, 0x80000000, v61
	v_pk_fma_f32 v[8:9], v[34:35], v[14:15], v[8:9] op_sel:[1,0,0] op_sel_hi:[0,0,1] neg_lo:[1,0,0]
	v_pk_fma_f32 v[12:13], v[86:87], v[14:15], v[12:13] op_sel_hi:[1,0,1]
	v_pk_fma_f32 v[10:11], v[30:31], v[14:15], v[10:11] op_sel:[1,0,0] op_sel_hi:[0,0,1] neg_lo:[1,0,0]
	v_pk_fma_f32 v[0:1], v[90:91], v[14:15], v[0:1] op_sel_hi:[1,0,1]
	s_wait_loadcnt 0x4
	v_xor_b32_e32 v24, 0x80000000, v65
	v_pk_fma_f32 v[8:9], v[46:47], v[54:55], v[8:9] op_sel_hi:[1,0,1]
	v_pk_fma_f32 v[12:13], v[48:49], v[54:55], v[12:13] op_sel_hi:[1,0,1]
	;; [unrolled: 1-line block ×4, first 2 shown]
	v_mov_b32_e32 v25, v64
	v_pk_fma_f32 v[8:9], v[46:47], v[54:55], v[8:9] op_sel:[1,1,0] op_sel_hi:[0,1,1] neg_lo:[1,0,0]
	v_pk_fma_f32 v[12:13], v[94:95], v[54:55], v[12:13] op_sel:[0,1,0]
	v_pk_fma_f32 v[10:11], v[42:43], v[54:55], v[10:11] op_sel:[1,1,0] op_sel_hi:[0,1,1] neg_lo:[1,0,0]
	v_pk_fma_f32 v[0:1], v[96:97], v[54:55], v[0:1] op_sel:[0,1,0]
	s_wait_loadcnt 0x2
	v_dual_mov_b32 v27, v60 :: v_dual_mov_b32 v29, v72
	v_pk_fma_f32 v[8:9], v[62:63], v[56:57], v[8:9] op_sel_hi:[1,0,1]
	v_pk_fma_f32 v[12:13], v[64:65], v[56:57], v[12:13] op_sel_hi:[1,0,1]
	;; [unrolled: 1-line block ×4, first 2 shown]
	v_xor_b32_e32 v28, 0x80000000, v73
	v_pk_fma_f32 v[8:9], v[62:63], v[22:23], v[8:9] op_sel:[1,0,0] op_sel_hi:[0,0,1] neg_lo:[1,0,0]
	v_pk_fma_f32 v[12:13], v[24:25], v[22:23], v[12:13] op_sel_hi:[1,0,1]
	v_pk_fma_f32 v[10:11], v[58:59], v[22:23], v[10:11] op_sel:[1,0,0] op_sel_hi:[0,0,1] neg_lo:[1,0,0]
	v_pk_fma_f32 v[0:1], v[26:27], v[22:23], v[0:1] op_sel_hi:[1,0,1]
	v_xor_b32_e32 v30, 0x80000000, v69
	s_wait_loadcnt 0x0
	v_dual_mov_b32 v31, v68 :: v_dual_mov_b32 v93, v80
	v_pk_fma_f32 v[8:9], v[70:71], v[74:75], v[8:9] op_sel_hi:[1,0,1]
	v_pk_fma_f32 v[12:13], v[72:73], v[74:75], v[12:13] op_sel_hi:[1,0,1]
	;; [unrolled: 1-line block ×4, first 2 shown]
	v_xor_b32_e32 v92, 0x80000000, v81
	v_pk_fma_f32 v[8:9], v[70:71], v[74:75], v[8:9] op_sel:[1,1,0] op_sel_hi:[0,1,1] neg_lo:[1,0,0]
	v_pk_fma_f32 v[12:13], v[28:29], v[74:75], v[12:13] op_sel:[0,1,0]
	v_pk_fma_f32 v[10:11], v[66:67], v[74:75], v[10:11] op_sel:[1,1,0] op_sel_hi:[0,1,1] neg_lo:[1,0,0]
	v_pk_fma_f32 v[0:1], v[30:31], v[74:75], v[0:1] op_sel:[0,1,0]
	v_mov_b32_e32 v14, v77
	v_pk_fma_f32 v[8:9], v[38:39], v[76:77], v[8:9] op_sel_hi:[1,0,1]
	v_pk_fma_f32 v[12:13], v[40:41], v[76:77], v[12:13] op_sel_hi:[1,0,1]
	;; [unrolled: 1-line block ×4, first 2 shown]
	s_delay_alu instid0(VALU_DEP_4) | instskip(NEXT) | instid1(VALU_DEP_4)
	v_pk_fma_f32 v[8:9], v[38:39], v[14:15], v[8:9] op_sel:[1,0,0] op_sel_hi:[0,0,1] neg_lo:[1,0,0]
	v_pk_fma_f32 v[12:13], v[88:89], v[14:15], v[12:13] op_sel_hi:[1,0,1]
	s_delay_alu instid0(VALU_DEP_4) | instskip(NEXT) | instid1(VALU_DEP_4)
	v_pk_fma_f32 v[10:11], v[78:79], v[14:15], v[10:11] op_sel:[1,0,0] op_sel_hi:[0,0,1] neg_lo:[1,0,0]
	v_pk_fma_f32 v[0:1], v[92:93], v[14:15], v[0:1] op_sel_hi:[1,0,1]
	s_and_not1_b32 exec_lo, exec_lo, s4
	s_cbranch_execnz .LBB98_5
; %bb.6:
	s_or_b32 exec_lo, exec_lo, s4
.LBB98_7:
	s_delay_alu instid0(SALU_CYCLE_1)
	s_or_b32 exec_lo, exec_lo, s3
	s_cbranch_execz .LBB98_9
	s_branch .LBB98_14
.LBB98_8:
                                        ; implicit-def: $vgpr9
                                        ; implicit-def: $vgpr1
                                        ; implicit-def: $vgpr11
                                        ; implicit-def: $vgpr13
.LBB98_9:
	v_mov_b32_e32 v9, 0
	s_delay_alu instid0(VALU_DEP_1)
	v_dual_mov_b32 v8, v9 :: v_dual_mov_b32 v1, v9
	v_dual_mov_b32 v0, v9 :: v_dual_mov_b32 v11, v9
	;; [unrolled: 1-line block ×3, first 2 shown]
	v_mov_b32_e32 v12, v9
	s_and_saveexec_b32 s3, s2
	s_cbranch_execz .LBB98_13
; %bb.10:
	v_mad_u32 v16, v19, 24, 23
	v_mov_b32_e32 v15, 0
	s_mov_b32 s2, 0
	s_delay_alu instid0(VALU_DEP_1)
	v_dual_mov_b32 v0, v15 :: v_dual_mov_b32 v1, v15
	v_dual_mov_b32 v10, v15 :: v_dual_mov_b32 v11, v15
	v_dual_mov_b32 v12, v15 :: v_dual_mov_b32 v13, v15
	v_dual_mov_b32 v8, v15 :: v_dual_mov_b32 v9, v15
.LBB98_11:                              ; =>This Inner Loop Header: Depth=1
	global_load_b32 v17, v19, s[6:7] scale_offset
	v_subrev_nc_u32_e32 v14, 23, v16
	v_dual_add_nc_u32 v28, -11, v16 :: v_dual_add_nc_u32 v29, -5, v16
	v_dual_mov_b32 v41, v15 :: v_dual_add_nc_u32 v32, -10, v16
	s_delay_alu instid0(VALU_DEP_3)
	v_lshl_add_u64 v[48:49], v[14:15], 3, s[8:9]
	v_dual_add_nc_u32 v33, -4, v16 :: v_dual_add_nc_u32 v34, -15, v16
	s_clause 0x3
	global_load_b64 v[50:51], v28, s[8:9] scale_offset
	global_load_b64 v[52:53], v29, s[8:9] scale_offset
	global_load_b128 v[20:23], v[48:49], off
	global_load_b128 v[24:27], v[48:49], off offset:48
	v_dual_add_nc_u32 v37, -14, v16 :: v_dual_add_nc_u32 v44, -8, v16
	v_dual_add_nc_u32 v35, -9, v16 :: v_dual_add_nc_u32 v36, -3, v16
	;; [unrolled: 1-line block ×3, first 2 shown]
	s_wait_xcnt 0x4
	v_dual_add_nc_u32 v47, -7, v16 :: v_dual_add_nc_u32 v19, 64, v19
	s_delay_alu instid0(VALU_DEP_1) | instskip(SKIP_4) | instid1(VALU_DEP_2)
	v_cmp_ge_i32_e32 vcc_lo, v19, v18
	s_or_b32 s2, vcc_lo, s2
	s_wait_loadcnt 0x4
	v_subrev_nc_u32_e32 v14, s12, v17
	v_add_nc_u32_e32 v17, -12, v16
	v_mul_lo_u32 v40, v14, 6
	s_wait_loadcnt 0x1
	v_mov_b32_e32 v81, v22
	v_xor_b32_e32 v80, 0x80000000, v23
	s_delay_alu instid0(VALU_DEP_3)
	v_lshl_add_u64 v[28:29], v[40:41], 3, s[10:11]
	v_add_nc_u32_e32 v14, 2, v40
	v_add_nc_u32_e32 v41, -1, v16
	global_load_b128 v[28:31], v[28:29], off
	s_clause 0x4
	global_load_b64 v[54:55], v34, s[8:9] scale_offset
	global_load_b64 v[56:57], v37, s[8:9] scale_offset
	;; [unrolled: 1-line block ×5, first 2 shown]
	v_lshl_add_u64 v[42:43], v[14:15], 3, s[10:11]
	s_clause 0x1
	global_load_b64 v[64:65], v36, s[8:9] scale_offset
	global_load_b128 v[32:35], v[48:49], off offset:16
	global_load_b128 v[36:39], v[42:43], off
	s_clause 0x4
	global_load_b64 v[66:67], v46, s[8:9] scale_offset
	global_load_b64 v[68:69], v17, s[8:9] scale_offset
	;; [unrolled: 1-line block ×5, first 2 shown]
	v_add_nc_u32_e32 v14, 4, v40
	s_wait_loadcnt 0xd
	v_pk_fma_f32 v[10:11], v[50:51], v[28:29], v[10:11] op_sel_hi:[1,0,1]
	v_pk_fma_f32 v[8:9], v[20:21], v[28:29], v[8:9] op_sel_hi:[1,0,1]
	;; [unrolled: 1-line block ×4, first 2 shown]
	s_delay_alu instid0(VALU_DEP_4)
	v_pk_fma_f32 v[10:11], v[50:51], v[28:29], v[10:11] op_sel:[1,1,0] op_sel_hi:[0,1,1] neg_lo:[1,0,0]
	v_mov_b32_e32 v51, v26
	v_lshl_add_u64 v[78:79], v[14:15], 3, s[10:11]
	v_add_nc_u32_e32 v14, -6, v16
	s_clause 0x1
	global_load_b64 v[76:77], v41, s[8:9] scale_offset
	global_load_b128 v[40:43], v[48:49], off offset:32
	global_load_b128 v[44:47], v[78:79], off
	s_clause 0x1
	global_load_b64 v[48:49], v14, s[8:9] scale_offset
	global_load_b64 v[78:79], v16, s[8:9] scale_offset
	v_pk_fma_f32 v[8:9], v[20:21], v[28:29], v[8:9] op_sel:[1,1,0] op_sel_hi:[0,1,1] neg_lo:[1,0,0]
	v_pk_fma_f32 v[12:13], v[24:25], v[28:29], v[12:13] op_sel:[1,1,0] op_sel_hi:[0,1,1] neg_lo:[1,0,0]
	;; [unrolled: 1-line block ×3, first 2 shown]
	v_xor_b32_e32 v50, 0x80000000, v27
	s_wait_xcnt 0x1
	v_mov_b32_e32 v14, v31
	v_pk_fma_f32 v[8:9], v[22:23], v[30:31], v[8:9] op_sel_hi:[1,0,1]
	v_pk_fma_f32 v[12:13], v[26:27], v[30:31], v[12:13] op_sel_hi:[1,0,1]
	s_wait_loadcnt 0xe
	v_pk_fma_f32 v[10:11], v[60:61], v[30:31], v[10:11] op_sel_hi:[1,0,1]
	s_wait_loadcnt 0xd
	;; [unrolled: 2-line block ×3, first 2 shown]
	v_xor_b32_e32 v20, 0x80000000, v35
	v_pk_fma_f32 v[8:9], v[80:81], v[14:15], v[8:9] op_sel_hi:[1,0,1]
	v_pk_fma_f32 v[12:13], v[50:51], v[14:15], v[12:13] op_sel_hi:[1,0,1]
	v_pk_fma_f32 v[10:11], v[60:61], v[14:15], v[10:11] op_sel:[1,0,0] op_sel_hi:[0,0,1] neg_lo:[1,0,0]
	v_pk_fma_f32 v[0:1], v[62:63], v[14:15], v[0:1] op_sel:[1,0,0] op_sel_hi:[0,0,1] neg_lo:[1,0,0]
	s_wait_loadcnt 0xa
	v_dual_mov_b32 v21, v34 :: v_dual_mov_b32 v14, v39
	v_pk_fma_f32 v[8:9], v[32:33], v[36:37], v[8:9] op_sel_hi:[1,0,1]
	v_pk_fma_f32 v[12:13], v[54:55], v[36:37], v[12:13] op_sel_hi:[1,0,1]
	;; [unrolled: 1-line block ×4, first 2 shown]
	s_wait_xcnt 0x0
	v_add_nc_u32_e32 v16, 0x600, v16
	v_pk_fma_f32 v[8:9], v[32:33], v[36:37], v[8:9] op_sel:[1,1,0] op_sel_hi:[0,1,1] neg_lo:[1,0,0]
	v_pk_fma_f32 v[12:13], v[54:55], v[36:37], v[12:13] op_sel:[1,1,0] op_sel_hi:[0,1,1] neg_lo:[1,0,0]
	;; [unrolled: 1-line block ×4, first 2 shown]
	s_delay_alu instid0(VALU_DEP_4) | instskip(NEXT) | instid1(VALU_DEP_4)
	v_pk_fma_f32 v[8:9], v[34:35], v[38:39], v[8:9] op_sel_hi:[1,0,1]
	v_pk_fma_f32 v[12:13], v[56:57], v[38:39], v[12:13] op_sel_hi:[1,0,1]
	s_wait_loadcnt 0x6
	v_pk_fma_f32 v[10:11], v[72:73], v[38:39], v[10:11] op_sel_hi:[1,0,1]
	s_wait_loadcnt 0x5
	v_pk_fma_f32 v[0:1], v[74:75], v[38:39], v[0:1] op_sel_hi:[1,0,1]
	v_pk_fma_f32 v[8:9], v[20:21], v[14:15], v[8:9] op_sel_hi:[1,0,1]
	v_pk_fma_f32 v[12:13], v[56:57], v[14:15], v[12:13] op_sel:[1,0,0] op_sel_hi:[0,0,1] neg_lo:[1,0,0]
	v_pk_fma_f32 v[10:11], v[72:73], v[14:15], v[10:11] op_sel:[1,0,0] op_sel_hi:[0,0,1] neg_lo:[1,0,0]
	s_delay_alu instid0(VALU_DEP_4)
	v_pk_fma_f32 v[0:1], v[74:75], v[14:15], v[0:1] op_sel:[1,0,0] op_sel_hi:[0,0,1] neg_lo:[1,0,0]
	s_wait_loadcnt 0x3
	v_xor_b32_e32 v20, 0x80000000, v43
	s_wait_loadcnt 0x2
	v_pk_fma_f32 v[8:9], v[40:41], v[44:45], v[8:9] op_sel_hi:[1,0,1]
	v_pk_fma_f32 v[12:13], v[66:67], v[44:45], v[12:13] op_sel_hi:[1,0,1]
	;; [unrolled: 1-line block ×4, first 2 shown]
	v_mov_b32_e32 v21, v42
	v_pk_fma_f32 v[8:9], v[40:41], v[44:45], v[8:9] op_sel:[1,1,0] op_sel_hi:[0,1,1] neg_lo:[1,0,0]
	v_pk_fma_f32 v[12:13], v[66:67], v[44:45], v[12:13] op_sel:[1,1,0] op_sel_hi:[0,1,1] neg_lo:[1,0,0]
	;; [unrolled: 1-line block ×4, first 2 shown]
	v_mov_b32_e32 v14, v47
	v_pk_fma_f32 v[8:9], v[42:43], v[46:47], v[8:9] op_sel_hi:[1,0,1]
	v_pk_fma_f32 v[12:13], v[68:69], v[46:47], v[12:13] op_sel_hi:[1,0,1]
	s_wait_loadcnt 0x1
	v_pk_fma_f32 v[10:11], v[48:49], v[46:47], v[10:11] op_sel_hi:[1,0,1]
	s_wait_loadcnt 0x0
	v_pk_fma_f32 v[0:1], v[78:79], v[46:47], v[0:1] op_sel_hi:[1,0,1]
	v_pk_fma_f32 v[8:9], v[20:21], v[14:15], v[8:9] op_sel_hi:[1,0,1]
	v_pk_fma_f32 v[12:13], v[68:69], v[14:15], v[12:13] op_sel:[1,0,0] op_sel_hi:[0,0,1] neg_lo:[1,0,0]
	v_pk_fma_f32 v[10:11], v[48:49], v[14:15], v[10:11] op_sel:[1,0,0] op_sel_hi:[0,0,1] neg_lo:[1,0,0]
	s_delay_alu instid0(VALU_DEP_4)
	v_pk_fma_f32 v[0:1], v[78:79], v[14:15], v[0:1] op_sel:[1,0,0] op_sel_hi:[0,0,1] neg_lo:[1,0,0]
	s_and_not1_b32 exec_lo, exec_lo, s2
	s_cbranch_execnz .LBB98_11
; %bb.12:
	s_or_b32 exec_lo, exec_lo, s2
.LBB98_13:
	s_delay_alu instid0(SALU_CYCLE_1)
	s_or_b32 exec_lo, exec_lo, s3
.LBB98_14:
	v_mbcnt_lo_u32_b32 v14, -1, 0
	s_delay_alu instid0(VALU_DEP_1) | instskip(SKIP_1) | instid1(VALU_DEP_1)
	v_xor_b32_e32 v23, 16, v14
	v_or_b32_e32 v15, 32, v14
	v_cmp_gt_i32_e32 vcc_lo, 32, v15
	v_cndmask_b32_e32 v15, v14, v15, vcc_lo
	s_delay_alu instid0(VALU_DEP_1)
	v_lshlrev_b32_e32 v15, 2, v15
	ds_bpermute_b32 v17, v15, v9
	s_wait_dscnt 0x0
	v_add_f32_e32 v9, v9, v17
	ds_bpermute_b32 v19, v15, v13
	ds_bpermute_b32 v16, v15, v8
	;; [unrolled: 1-line block ×7, first 2 shown]
	s_wait_dscnt 0x6
	v_add_f32_e32 v13, v13, v19
	v_cmp_gt_i32_e32 vcc_lo, 32, v23
	s_wait_dscnt 0x5
	v_add_f32_e32 v8, v8, v16
	s_wait_dscnt 0x2
	v_dual_add_f32 v10, v10, v20 :: v_dual_add_f32 v11, v11, v21
	s_wait_dscnt 0x0
	v_dual_add_f32 v0, v0, v22 :: v_dual_add_f32 v1, v1, v15
	v_dual_cndmask_b32 v23, v14, v23 :: v_dual_add_f32 v12, v12, v18
	s_delay_alu instid0(VALU_DEP_1)
	v_lshlrev_b32_e32 v23, 2, v23
	ds_bpermute_b32 v15, v23, v8
	ds_bpermute_b32 v16, v23, v9
	;; [unrolled: 1-line block ×8, first 2 shown]
	s_wait_dscnt 0x7
	v_dual_add_f32 v8, v8, v15 :: v_dual_bitop2_b32 v23, 8, v14 bitop3:0x14
	s_delay_alu instid0(VALU_DEP_1)
	v_cmp_gt_i32_e32 vcc_lo, 32, v23
	s_wait_dscnt 0x6
	v_add_f32_e32 v9, v9, v16
	s_wait_dscnt 0x3
	v_dual_add_f32 v13, v13, v18 :: v_dual_add_f32 v10, v10, v19
	s_wait_dscnt 0x1
	v_dual_add_f32 v11, v11, v20 :: v_dual_add_f32 v0, v0, v21
	v_dual_cndmask_b32 v23, v14, v23 :: v_dual_add_f32 v12, v12, v17
	s_wait_dscnt 0x0
	s_delay_alu instid0(VALU_DEP_1)
	v_dual_add_f32 v1, v1, v22 :: v_dual_lshlrev_b32 v23, 2, v23
	ds_bpermute_b32 v15, v23, v8
	ds_bpermute_b32 v16, v23, v9
	;; [unrolled: 1-line block ×8, first 2 shown]
	s_wait_dscnt 0x7
	v_dual_add_f32 v8, v8, v15 :: v_dual_bitop2_b32 v23, 4, v14 bitop3:0x14
	s_delay_alu instid0(VALU_DEP_1)
	v_cmp_gt_i32_e32 vcc_lo, 32, v23
	s_wait_dscnt 0x4
	v_dual_add_f32 v12, v12, v17 :: v_dual_add_f32 v13, v13, v18
	s_wait_dscnt 0x3
	v_dual_add_f32 v9, v9, v16 :: v_dual_add_f32 v10, v10, v19
	s_wait_dscnt 0x2
	v_dual_add_f32 v11, v11, v20 :: v_dual_cndmask_b32 v23, v14, v23, vcc_lo
	s_wait_dscnt 0x0
	v_dual_add_f32 v0, v0, v21 :: v_dual_add_f32 v1, v1, v22
	s_delay_alu instid0(VALU_DEP_2)
	v_lshlrev_b32_e32 v23, 2, v23
	ds_bpermute_b32 v15, v23, v8
	ds_bpermute_b32 v16, v23, v9
	ds_bpermute_b32 v17, v23, v12
	ds_bpermute_b32 v18, v23, v13
	ds_bpermute_b32 v19, v23, v10
	ds_bpermute_b32 v20, v23, v11
	ds_bpermute_b32 v21, v23, v0
	ds_bpermute_b32 v22, v23, v1
	s_wait_dscnt 0x7
	v_dual_add_f32 v8, v8, v15 :: v_dual_bitop2_b32 v23, 2, v14 bitop3:0x14
	s_delay_alu instid0(VALU_DEP_1)
	v_cmp_gt_i32_e32 vcc_lo, 32, v23
	s_wait_dscnt 0x5
	v_dual_add_f32 v9, v9, v16 :: v_dual_add_f32 v12, v12, v17
	s_wait_dscnt 0x3
	v_dual_add_f32 v13, v13, v18 :: v_dual_add_f32 v15, v10, v19
	s_wait_dscnt 0x2
	v_dual_cndmask_b32 v23, v14, v23 :: v_dual_add_f32 v16, v11, v20
	s_wait_dscnt 0x0
	v_dual_add_f32 v17, v0, v21 :: v_dual_add_f32 v18, v1, v22
	s_delay_alu instid0(VALU_DEP_2)
	v_lshlrev_b32_e32 v23, 2, v23
	ds_bpermute_b32 v0, v23, v8
	ds_bpermute_b32 v1, v23, v9
	;; [unrolled: 1-line block ×8, first 2 shown]
	s_wait_dscnt 0x7
	v_dual_add_f32 v0, v8, v0 :: v_dual_bitop2_b32 v23, 1, v14 bitop3:0x14
	s_delay_alu instid0(VALU_DEP_1)
	v_cmp_gt_i32_e32 vcc_lo, 32, v23
	s_wait_dscnt 0x5
	v_dual_add_f32 v8, v9, v1 :: v_dual_add_f32 v10, v12, v10
	s_wait_dscnt 0x4
	v_add_f32_e32 v11, v13, v11
	s_wait_dscnt 0x2
	v_dual_add_f32 v12, v15, v19 :: v_dual_add_f32 v13, v16, v20
	s_wait_dscnt 0x1
	v_dual_cndmask_b32 v14, v14, v23 :: v_dual_add_f32 v1, v17, v21
	s_wait_dscnt 0x0
	v_add_f32_e32 v9, v18, v22
	v_cmp_eq_u32_e32 vcc_lo, 63, v7
	s_delay_alu instid0(VALU_DEP_3)
	v_lshlrev_b32_e32 v23, 2, v14
	ds_bpermute_b32 v16, v23, v0
	ds_bpermute_b32 v17, v23, v8
	;; [unrolled: 1-line block ×8, first 2 shown]
	s_and_b32 exec_lo, exec_lo, vcc_lo
	s_cbranch_execz .LBB98_19
; %bb.15:
	s_load_b64 s[2:3], s[0:1], 0x38
	v_cmp_eq_f32_e32 vcc_lo, 0, v4
	s_wait_xcnt 0x0
	v_cmp_eq_f32_e64 s0, 0, v5
	s_wait_dscnt 0x7
	v_add_f32_e32 v0, v0, v16
	s_wait_dscnt 0x5
	v_dual_add_f32 v20, v8, v17 :: v_dual_add_f32 v8, v10, v18
	s_wait_dscnt 0x3
	v_dual_add_f32 v18, v11, v19 :: v_dual_add_f32 v10, v12, v21
	s_wait_dscnt 0x2
	v_add_f32_e32 v16, v13, v22
	s_wait_dscnt 0x1
	v_add_f32_e32 v12, v1, v14
	;; [unrolled: 2-line block ×3, first 2 shown]
	s_and_b32 s0, vcc_lo, s0
	s_delay_alu instid0(SALU_CYCLE_1) | instskip(NEXT) | instid1(SALU_CYCLE_1)
	s_and_saveexec_b32 s1, s0
	s_xor_b32 s0, exec_lo, s1
	s_cbranch_execz .LBB98_17
; %bb.16:
	v_xor_b32_e32 v4, 0x80000000, v3
	v_dual_mov_b32 v5, v2 :: v_dual_lshlrev_b32 v6, 2, v6
	s_delay_alu instid0(VALU_DEP_1) | instskip(NEXT) | instid1(VALU_DEP_2)
	v_ashrrev_i32_e32 v7, 31, v6
	v_pk_mul_f32 v[20:21], v[20:21], v[4:5] op_sel_hi:[0,1]
	v_pk_mul_f32 v[18:19], v[18:19], v[4:5] op_sel_hi:[0,1]
	v_pk_mul_f32 v[16:17], v[16:17], v[4:5] op_sel_hi:[0,1]
	v_pk_mul_f32 v[14:15], v[14:15], v[4:5] op_sel_hi:[0,1]
	s_wait_kmcnt 0x0
	v_lshl_add_u64 v[22:23], v[6:7], 3, s[2:3]
	v_pk_fma_f32 v[4:5], v[2:3], v[0:1], v[20:21] op_sel_hi:[1,0,1]
	v_pk_fma_f32 v[6:7], v[2:3], v[8:9], v[18:19] op_sel_hi:[1,0,1]
	;; [unrolled: 1-line block ×4, first 2 shown]
	s_clause 0x1
	global_store_b128 v[22:23], v[4:7], off
	global_store_b128 v[22:23], v[0:3], off offset:16
                                        ; implicit-def: $vgpr6
                                        ; implicit-def: $vgpr0
                                        ; implicit-def: $vgpr20
                                        ; implicit-def: $vgpr8
                                        ; implicit-def: $vgpr18
                                        ; implicit-def: $vgpr10
                                        ; implicit-def: $vgpr16
                                        ; implicit-def: $vgpr12
                                        ; implicit-def: $vgpr14
                                        ; implicit-def: $vgpr2_vgpr3
                                        ; implicit-def: $vgpr4_vgpr5
.LBB98_17:
	s_wait_xcnt 0x0
	s_and_not1_saveexec_b32 s0, s0
	s_cbranch_execz .LBB98_19
; %bb.18:
	v_lshlrev_b32_e32 v6, 2, v6
	v_xor_b32_e32 v32, 0x80000000, v5
	s_delay_alu instid0(VALU_DEP_2) | instskip(SKIP_1) | instid1(VALU_DEP_1)
	v_dual_mov_b32 v33, v4 :: v_dual_ashrrev_i32 v7, 31, v6
	s_wait_kmcnt 0x0
	v_lshl_add_u64 v[30:31], v[6:7], 3, s[2:3]
	v_xor_b32_e32 v6, 0x80000000, v3
	v_mov_b32_e32 v7, v2
	s_clause 0x1
	global_load_b128 v[22:25], v[30:31], off
	global_load_b128 v[26:29], v[30:31], off offset:16
	v_pk_mul_f32 v[20:21], v[20:21], v[6:7] op_sel_hi:[0,1]
	v_pk_mul_f32 v[18:19], v[18:19], v[6:7] op_sel_hi:[0,1]
	;; [unrolled: 1-line block ×4, first 2 shown]
	s_delay_alu instid0(VALU_DEP_4) | instskip(NEXT) | instid1(VALU_DEP_4)
	v_pk_fma_f32 v[0:1], v[2:3], v[0:1], v[20:21] op_sel_hi:[1,0,1]
	v_pk_fma_f32 v[8:9], v[2:3], v[8:9], v[18:19] op_sel_hi:[1,0,1]
	s_delay_alu instid0(VALU_DEP_4) | instskip(NEXT) | instid1(VALU_DEP_4)
	v_pk_fma_f32 v[10:11], v[2:3], v[10:11], v[16:17] op_sel_hi:[1,0,1]
	v_pk_fma_f32 v[2:3], v[2:3], v[12:13], v[6:7] op_sel_hi:[1,0,1]
	s_wait_loadcnt 0x1
	v_pk_fma_f32 v[0:1], v[4:5], v[22:23], v[0:1] op_sel_hi:[1,0,1]
	v_pk_fma_f32 v[6:7], v[4:5], v[24:25], v[8:9] op_sel_hi:[1,0,1]
	s_wait_loadcnt 0x0
	v_dual_mov_b32 v8, v25 :: v_dual_mov_b32 v14, v29
	v_pk_fma_f32 v[10:11], v[4:5], v[26:27], v[10:11] op_sel_hi:[1,0,1]
	v_pk_fma_f32 v[12:13], v[4:5], v[28:29], v[2:3] op_sel_hi:[1,0,1]
	v_pk_fma_f32 v[0:1], v[32:33], v[22:23], v[0:1] op_sel:[0,1,0]
	s_delay_alu instid0(VALU_DEP_4) | instskip(NEXT) | instid1(VALU_DEP_4)
	v_pk_fma_f32 v[2:3], v[32:33], v[8:9], v[6:7] op_sel_hi:[1,0,1]
	v_pk_fma_f32 v[4:5], v[32:33], v[26:27], v[10:11] op_sel:[0,1,0]
	s_delay_alu instid0(VALU_DEP_4)
	v_pk_fma_f32 v[6:7], v[32:33], v[14:15], v[12:13] op_sel_hi:[1,0,1]
	s_clause 0x1
	global_store_b128 v[30:31], v[0:3], off
	global_store_b128 v[30:31], v[4:7], off offset:16
.LBB98_19:
	s_sendmsg sendmsg(MSG_DEALLOC_VGPRS)
	s_endpgm
	.section	.rodata,"a",@progbits
	.p2align	6, 0x0
	.amdhsa_kernel _ZN9rocsparseL19gebsrmvn_4xn_kernelILj128ELj6ELj64E21rocsparse_complex_numIfEEEvi20rocsparse_direction_NS_24const_host_device_scalarIT2_EEPKiS8_PKS5_SA_S6_PS5_21rocsparse_index_base_b
		.amdhsa_group_segment_fixed_size 0
		.amdhsa_private_segment_fixed_size 0
		.amdhsa_kernarg_size 72
		.amdhsa_user_sgpr_count 2
		.amdhsa_user_sgpr_dispatch_ptr 0
		.amdhsa_user_sgpr_queue_ptr 0
		.amdhsa_user_sgpr_kernarg_segment_ptr 1
		.amdhsa_user_sgpr_dispatch_id 0
		.amdhsa_user_sgpr_kernarg_preload_length 0
		.amdhsa_user_sgpr_kernarg_preload_offset 0
		.amdhsa_user_sgpr_private_segment_size 0
		.amdhsa_wavefront_size32 1
		.amdhsa_uses_dynamic_stack 0
		.amdhsa_enable_private_segment 0
		.amdhsa_system_sgpr_workgroup_id_x 1
		.amdhsa_system_sgpr_workgroup_id_y 0
		.amdhsa_system_sgpr_workgroup_id_z 0
		.amdhsa_system_sgpr_workgroup_info 0
		.amdhsa_system_vgpr_workitem_id 0
		.amdhsa_next_free_vgpr 98
		.amdhsa_next_free_sgpr 14
		.amdhsa_named_barrier_count 0
		.amdhsa_reserve_vcc 1
		.amdhsa_float_round_mode_32 0
		.amdhsa_float_round_mode_16_64 0
		.amdhsa_float_denorm_mode_32 3
		.amdhsa_float_denorm_mode_16_64 3
		.amdhsa_fp16_overflow 0
		.amdhsa_memory_ordered 1
		.amdhsa_forward_progress 1
		.amdhsa_inst_pref_size 31
		.amdhsa_round_robin_scheduling 0
		.amdhsa_exception_fp_ieee_invalid_op 0
		.amdhsa_exception_fp_denorm_src 0
		.amdhsa_exception_fp_ieee_div_zero 0
		.amdhsa_exception_fp_ieee_overflow 0
		.amdhsa_exception_fp_ieee_underflow 0
		.amdhsa_exception_fp_ieee_inexact 0
		.amdhsa_exception_int_div_zero 0
	.end_amdhsa_kernel
	.section	.text._ZN9rocsparseL19gebsrmvn_4xn_kernelILj128ELj6ELj64E21rocsparse_complex_numIfEEEvi20rocsparse_direction_NS_24const_host_device_scalarIT2_EEPKiS8_PKS5_SA_S6_PS5_21rocsparse_index_base_b,"axG",@progbits,_ZN9rocsparseL19gebsrmvn_4xn_kernelILj128ELj6ELj64E21rocsparse_complex_numIfEEEvi20rocsparse_direction_NS_24const_host_device_scalarIT2_EEPKiS8_PKS5_SA_S6_PS5_21rocsparse_index_base_b,comdat
.Lfunc_end98:
	.size	_ZN9rocsparseL19gebsrmvn_4xn_kernelILj128ELj6ELj64E21rocsparse_complex_numIfEEEvi20rocsparse_direction_NS_24const_host_device_scalarIT2_EEPKiS8_PKS5_SA_S6_PS5_21rocsparse_index_base_b, .Lfunc_end98-_ZN9rocsparseL19gebsrmvn_4xn_kernelILj128ELj6ELj64E21rocsparse_complex_numIfEEEvi20rocsparse_direction_NS_24const_host_device_scalarIT2_EEPKiS8_PKS5_SA_S6_PS5_21rocsparse_index_base_b
                                        ; -- End function
	.set _ZN9rocsparseL19gebsrmvn_4xn_kernelILj128ELj6ELj64E21rocsparse_complex_numIfEEEvi20rocsparse_direction_NS_24const_host_device_scalarIT2_EEPKiS8_PKS5_SA_S6_PS5_21rocsparse_index_base_b.num_vgpr, 98
	.set _ZN9rocsparseL19gebsrmvn_4xn_kernelILj128ELj6ELj64E21rocsparse_complex_numIfEEEvi20rocsparse_direction_NS_24const_host_device_scalarIT2_EEPKiS8_PKS5_SA_S6_PS5_21rocsparse_index_base_b.num_agpr, 0
	.set _ZN9rocsparseL19gebsrmvn_4xn_kernelILj128ELj6ELj64E21rocsparse_complex_numIfEEEvi20rocsparse_direction_NS_24const_host_device_scalarIT2_EEPKiS8_PKS5_SA_S6_PS5_21rocsparse_index_base_b.numbered_sgpr, 14
	.set _ZN9rocsparseL19gebsrmvn_4xn_kernelILj128ELj6ELj64E21rocsparse_complex_numIfEEEvi20rocsparse_direction_NS_24const_host_device_scalarIT2_EEPKiS8_PKS5_SA_S6_PS5_21rocsparse_index_base_b.num_named_barrier, 0
	.set _ZN9rocsparseL19gebsrmvn_4xn_kernelILj128ELj6ELj64E21rocsparse_complex_numIfEEEvi20rocsparse_direction_NS_24const_host_device_scalarIT2_EEPKiS8_PKS5_SA_S6_PS5_21rocsparse_index_base_b.private_seg_size, 0
	.set _ZN9rocsparseL19gebsrmvn_4xn_kernelILj128ELj6ELj64E21rocsparse_complex_numIfEEEvi20rocsparse_direction_NS_24const_host_device_scalarIT2_EEPKiS8_PKS5_SA_S6_PS5_21rocsparse_index_base_b.uses_vcc, 1
	.set _ZN9rocsparseL19gebsrmvn_4xn_kernelILj128ELj6ELj64E21rocsparse_complex_numIfEEEvi20rocsparse_direction_NS_24const_host_device_scalarIT2_EEPKiS8_PKS5_SA_S6_PS5_21rocsparse_index_base_b.uses_flat_scratch, 1
	.set _ZN9rocsparseL19gebsrmvn_4xn_kernelILj128ELj6ELj64E21rocsparse_complex_numIfEEEvi20rocsparse_direction_NS_24const_host_device_scalarIT2_EEPKiS8_PKS5_SA_S6_PS5_21rocsparse_index_base_b.has_dyn_sized_stack, 0
	.set _ZN9rocsparseL19gebsrmvn_4xn_kernelILj128ELj6ELj64E21rocsparse_complex_numIfEEEvi20rocsparse_direction_NS_24const_host_device_scalarIT2_EEPKiS8_PKS5_SA_S6_PS5_21rocsparse_index_base_b.has_recursion, 0
	.set _ZN9rocsparseL19gebsrmvn_4xn_kernelILj128ELj6ELj64E21rocsparse_complex_numIfEEEvi20rocsparse_direction_NS_24const_host_device_scalarIT2_EEPKiS8_PKS5_SA_S6_PS5_21rocsparse_index_base_b.has_indirect_call, 0
	.section	.AMDGPU.csdata,"",@progbits
; Kernel info:
; codeLenInByte = 3904
; TotalNumSgprs: 16
; NumVgprs: 98
; ScratchSize: 0
; MemoryBound: 0
; FloatMode: 240
; IeeeMode: 1
; LDSByteSize: 0 bytes/workgroup (compile time only)
; SGPRBlocks: 0
; VGPRBlocks: 6
; NumSGPRsForWavesPerEU: 16
; NumVGPRsForWavesPerEU: 98
; NamedBarCnt: 0
; Occupancy: 9
; WaveLimiterHint : 1
; COMPUTE_PGM_RSRC2:SCRATCH_EN: 0
; COMPUTE_PGM_RSRC2:USER_SGPR: 2
; COMPUTE_PGM_RSRC2:TRAP_HANDLER: 0
; COMPUTE_PGM_RSRC2:TGID_X_EN: 1
; COMPUTE_PGM_RSRC2:TGID_Y_EN: 0
; COMPUTE_PGM_RSRC2:TGID_Z_EN: 0
; COMPUTE_PGM_RSRC2:TIDIG_COMP_CNT: 0
	.section	.text._ZN9rocsparseL19gebsrmvn_4xn_kernelILj128ELj7ELj4E21rocsparse_complex_numIfEEEvi20rocsparse_direction_NS_24const_host_device_scalarIT2_EEPKiS8_PKS5_SA_S6_PS5_21rocsparse_index_base_b,"axG",@progbits,_ZN9rocsparseL19gebsrmvn_4xn_kernelILj128ELj7ELj4E21rocsparse_complex_numIfEEEvi20rocsparse_direction_NS_24const_host_device_scalarIT2_EEPKiS8_PKS5_SA_S6_PS5_21rocsparse_index_base_b,comdat
	.globl	_ZN9rocsparseL19gebsrmvn_4xn_kernelILj128ELj7ELj4E21rocsparse_complex_numIfEEEvi20rocsparse_direction_NS_24const_host_device_scalarIT2_EEPKiS8_PKS5_SA_S6_PS5_21rocsparse_index_base_b ; -- Begin function _ZN9rocsparseL19gebsrmvn_4xn_kernelILj128ELj7ELj4E21rocsparse_complex_numIfEEEvi20rocsparse_direction_NS_24const_host_device_scalarIT2_EEPKiS8_PKS5_SA_S6_PS5_21rocsparse_index_base_b
	.p2align	8
	.type	_ZN9rocsparseL19gebsrmvn_4xn_kernelILj128ELj7ELj4E21rocsparse_complex_numIfEEEvi20rocsparse_direction_NS_24const_host_device_scalarIT2_EEPKiS8_PKS5_SA_S6_PS5_21rocsparse_index_base_b,@function
_ZN9rocsparseL19gebsrmvn_4xn_kernelILj128ELj7ELj4E21rocsparse_complex_numIfEEEvi20rocsparse_direction_NS_24const_host_device_scalarIT2_EEPKiS8_PKS5_SA_S6_PS5_21rocsparse_index_base_b: ; @_ZN9rocsparseL19gebsrmvn_4xn_kernelILj128ELj7ELj4E21rocsparse_complex_numIfEEEvi20rocsparse_direction_NS_24const_host_device_scalarIT2_EEPKiS8_PKS5_SA_S6_PS5_21rocsparse_index_base_b
; %bb.0:
	s_clause 0x2
	s_load_b64 s[12:13], s[0:1], 0x40
	s_load_b64 s[2:3], s[0:1], 0x8
	;; [unrolled: 1-line block ×3, first 2 shown]
	v_mov_b32_e32 v1, 0
	s_add_nc_u64 s[6:7], s[0:1], 8
	s_add_nc_u64 s[8:9], s[0:1], 48
	s_wait_kmcnt 0x0
	s_bitcmp1_b32 s13, 0
	s_cselect_b32 s3, s7, s3
	s_cselect_b32 s2, s6, s2
	;; [unrolled: 1-line block ×4, first 2 shown]
	s_clause 0x1
	flat_load_b64 v[2:3], v1, s[2:3]
	flat_load_b64 v[4:5], v1, s[4:5]
	s_wait_loadcnt_dscnt 0x101
	v_cmp_eq_f32_e32 vcc_lo, 0, v2
	v_cmp_eq_f32_e64 s2, 0, v3
	s_wait_loadcnt_dscnt 0x0
	v_cmp_eq_f32_e64 s3, 1.0, v4
	v_cmp_eq_f32_e64 s4, 0, v5
	s_and_b32 s2, vcc_lo, s2
	s_and_b32 s3, s3, s4
	s_delay_alu instid0(SALU_CYCLE_1) | instskip(NEXT) | instid1(SALU_CYCLE_1)
	s_and_b32 s2, s2, s3
	s_xor_b32 s2, s2, -1
	s_delay_alu instid0(SALU_CYCLE_1)
	s_and_saveexec_b32 s3, s2
	s_cbranch_execz .LBB99_19
; %bb.1:
	s_load_b64 s[2:3], s[0:1], 0x0
	s_bfe_u32 s4, ttmp6, 0x4000c
	s_and_b32 s5, ttmp6, 15
	s_add_co_i32 s4, s4, 1
	s_getreg_b32 s6, hwreg(HW_REG_IB_STS2, 6, 4)
	s_mul_i32 s4, ttmp9, s4
	v_lshrrev_b32_e32 v1, 2, v0
	s_add_co_i32 s5, s5, s4
	s_cmp_eq_u32 s6, 0
	s_cselect_b32 s4, ttmp9, s5
	s_delay_alu instid0(VALU_DEP_1) | instid1(SALU_CYCLE_1)
	v_lshl_or_b32 v6, s4, 5, v1
	s_wait_kmcnt 0x0
	s_delay_alu instid0(VALU_DEP_1)
	v_cmp_gt_i32_e32 vcc_lo, s2, v6
	s_and_b32 exec_lo, exec_lo, vcc_lo
	s_cbranch_execz .LBB99_19
; %bb.2:
	s_load_b256 s[4:11], s[0:1], 0x10
	v_ashrrev_i32_e32 v7, 31, v6
	s_cmp_lg_u32 s3, 0
	s_wait_kmcnt 0x0
	s_delay_alu instid0(VALU_DEP_1)
	v_lshl_add_u64 v[8:9], v[6:7], 2, s[4:5]
	v_and_b32_e32 v7, 3, v0
	global_load_b64 v[8:9], v[8:9], off
	s_wait_loadcnt 0x0
	v_subrev_nc_u32_e32 v0, s12, v8
	v_subrev_nc_u32_e32 v18, s12, v9
	s_delay_alu instid0(VALU_DEP_2) | instskip(NEXT) | instid1(VALU_DEP_1)
	v_add_nc_u32_e32 v19, v0, v7
	v_cmp_lt_i32_e64 s2, v19, v18
	s_cbranch_scc0 .LBB99_8
; %bb.3:
	v_mov_b32_e32 v9, 0
	s_delay_alu instid0(VALU_DEP_1)
	v_dual_mov_b32 v8, v9 :: v_dual_mov_b32 v1, v9
	v_dual_mov_b32 v0, v9 :: v_dual_mov_b32 v11, v9
	;; [unrolled: 1-line block ×3, first 2 shown]
	v_mov_b32_e32 v12, v9
	s_and_saveexec_b32 s3, s2
	s_cbranch_execz .LBB99_7
; %bb.4:
	v_mad_u32 v16, v19, 28, 24
	v_dual_mov_b32 v15, 0 :: v_dual_mov_b32 v20, v19
	s_mov_b32 s4, 0
	s_delay_alu instid0(VALU_DEP_1)
	v_dual_mov_b32 v0, v15 :: v_dual_mov_b32 v1, v15
	v_dual_mov_b32 v10, v15 :: v_dual_mov_b32 v11, v15
	;; [unrolled: 1-line block ×4, first 2 shown]
.LBB99_5:                               ; =>This Inner Loop Header: Depth=1
	global_load_b32 v21, v20, s[6:7] scale_offset
	v_subrev_nc_u32_e32 v14, 24, v16
	s_wait_xcnt 0x0
	v_dual_mov_b32 v17, v15 :: v_dual_add_nc_u32 v20, 4, v20
	s_delay_alu instid0(VALU_DEP_2) | instskip(SKIP_1) | instid1(VALU_DEP_3)
	v_lshl_add_u64 v[34:35], v[14:15], 3, s[8:9]
	v_subrev_nc_u32_e32 v14, 20, v16
	v_cmp_ge_i32_e32 vcc_lo, v20, v18
	s_delay_alu instid0(VALU_DEP_2)
	v_lshl_add_u64 v[42:43], v[14:15], 3, s[8:9]
	v_add_nc_u32_e32 v14, -16, v16
	v_lshl_add_u64 v[78:79], v[16:17], 3, s[8:9]
	s_clause 0x2
	global_load_b128 v[22:25], v[34:35], off
	global_load_b128 v[26:29], v[34:35], off offset:16
	global_load_b128 v[30:33], v[78:79], off
	v_lshl_add_u64 v[50:51], v[14:15], 3, s[8:9]
	v_add_nc_u32_e32 v14, -12, v16
	s_clause 0x3
	global_load_b128 v[34:37], v[42:43], off offset:16
	global_load_b128 v[38:41], v[42:43], off
	global_load_b128 v[42:45], v[50:51], off offset:16
	global_load_b128 v[46:49], v[50:51], off
	v_lshl_add_u64 v[58:59], v[14:15], 3, s[8:9]
	v_add_nc_u32_e32 v14, -8, v16
	s_or_b32 s4, vcc_lo, s4
	global_load_b128 v[50:53], v[58:59], off offset:16
	v_lshl_add_u64 v[66:67], v[14:15], 3, s[8:9]
	s_wait_loadcnt 0x8
	v_subrev_nc_u32_e32 v14, s12, v21
	s_delay_alu instid0(VALU_DEP_1)
	v_mul_lo_u32 v17, v14, 7
	global_load_b64 v[80:81], v17, s[10:11] scale_offset
	global_load_b128 v[54:57], v[58:59], off
	v_add_nc_u32_e32 v21, 1, v17
	global_load_b64 v[82:83], v21, s[10:11] scale_offset
	global_load_b128 v[58:61], v[66:67], off
	s_wait_xcnt 0x1
	v_add_nc_u32_e32 v21, 2, v17
	global_load_b128 v[62:65], v[66:67], off offset:16
	global_load_b64 v[84:85], v21, s[10:11] scale_offset
	s_wait_xcnt 0x0
	v_dual_add_nc_u32 v14, -4, v16 :: v_dual_add_nc_u32 v21, 4, v17
	s_wait_loadcnt 0xc
	v_xor_b32_e32 v94, 0x80000000, v29
	s_wait_loadcnt 0xb
	v_dual_mov_b32 v95, v28 :: v_dual_mov_b32 v97, v32
	s_wait_loadcnt 0x9
	v_mov_b32_e32 v99, v40
	v_lshl_add_u64 v[74:75], v[14:15], 3, s[8:9]
	v_add_nc_u32_e32 v14, 3, v17
	global_load_b64 v[86:87], v14, s[10:11] scale_offset
	global_load_b128 v[66:69], v[74:75], off
	global_load_b64 v[88:89], v21, s[10:11] scale_offset
	global_load_b128 v[70:73], v[74:75], off offset:16
	s_wait_xcnt 0x3
	v_dual_add_nc_u32 v14, 5, v17 :: v_dual_add_nc_u32 v17, 6, v17
	global_load_b64 v[90:91], v14, s[10:11] scale_offset
	global_load_b128 v[74:77], v[78:79], off offset:16
	global_load_b64 v[92:93], v17, s[10:11] scale_offset
	s_wait_xcnt 0x1
	v_xor_b32_e32 v78, 0x80000000, v25
	v_mov_b32_e32 v79, v24
	v_xor_b32_e32 v98, 0x80000000, v41
	v_xor_b32_e32 v96, 0x80000000, v33
	v_add_nc_u32_e32 v16, 0x70, v16
	s_wait_loadcnt 0xc
	v_pk_fma_f32 v[8:9], v[22:23], v[80:81], v[8:9] op_sel_hi:[1,0,1]
	v_pk_fma_f32 v[12:13], v[24:25], v[80:81], v[12:13] op_sel_hi:[1,0,1]
	;; [unrolled: 1-line block ×4, first 2 shown]
	v_xor_b32_e32 v24, 0x80000000, v49
	v_pk_fma_f32 v[8:9], v[22:23], v[80:81], v[8:9] op_sel:[1,1,0] op_sel_hi:[0,1,1] neg_lo:[1,0,0]
	v_pk_fma_f32 v[12:13], v[78:79], v[80:81], v[12:13] op_sel:[0,1,0]
	v_pk_fma_f32 v[10:11], v[26:27], v[80:81], v[10:11] op_sel:[1,1,0] op_sel_hi:[0,1,1] neg_lo:[1,0,0]
	v_pk_fma_f32 v[0:1], v[94:95], v[80:81], v[0:1] op_sel:[0,1,0]
	v_xor_b32_e32 v22, 0x80000000, v37
	v_dual_mov_b32 v23, v36 :: v_dual_mov_b32 v25, v48
	s_wait_loadcnt 0xa
	v_pk_fma_f32 v[8:9], v[38:39], v[82:83], v[8:9] op_sel_hi:[1,0,1]
	v_pk_fma_f32 v[12:13], v[40:41], v[82:83], v[12:13] op_sel_hi:[1,0,1]
	;; [unrolled: 1-line block ×4, first 2 shown]
	v_xor_b32_e32 v26, 0x80000000, v45
	v_pk_fma_f32 v[8:9], v[38:39], v[82:83], v[8:9] op_sel:[1,1,0] op_sel_hi:[0,1,1] neg_lo:[1,0,0]
	v_pk_fma_f32 v[12:13], v[98:99], v[82:83], v[12:13] op_sel:[0,1,0]
	v_pk_fma_f32 v[10:11], v[34:35], v[82:83], v[10:11] op_sel:[1,1,0] op_sel_hi:[0,1,1] neg_lo:[1,0,0]
	v_pk_fma_f32 v[0:1], v[22:23], v[82:83], v[0:1] op_sel:[0,1,0]
	v_dual_mov_b32 v27, v44 :: v_dual_mov_b32 v29, v56
	s_wait_loadcnt 0x7
	v_pk_fma_f32 v[8:9], v[46:47], v[84:85], v[8:9] op_sel_hi:[1,0,1]
	v_pk_fma_f32 v[12:13], v[48:49], v[84:85], v[12:13] op_sel_hi:[1,0,1]
	;; [unrolled: 1-line block ×4, first 2 shown]
	v_xor_b32_e32 v28, 0x80000000, v57
	v_pk_fma_f32 v[8:9], v[46:47], v[84:85], v[8:9] op_sel:[1,1,0] op_sel_hi:[0,1,1] neg_lo:[1,0,0]
	v_pk_fma_f32 v[12:13], v[24:25], v[84:85], v[12:13] op_sel:[0,1,0]
	v_pk_fma_f32 v[10:11], v[42:43], v[84:85], v[10:11] op_sel:[1,1,0] op_sel_hi:[0,1,1] neg_lo:[1,0,0]
	v_pk_fma_f32 v[0:1], v[26:27], v[84:85], v[0:1] op_sel:[0,1,0]
	v_xor_b32_e32 v78, 0x80000000, v53
	v_dual_mov_b32 v79, v52 :: v_dual_mov_b32 v37, v60
	s_wait_loadcnt 0x6
	v_pk_fma_f32 v[8:9], v[54:55], v[86:87], v[8:9] op_sel_hi:[1,0,1]
	v_pk_fma_f32 v[12:13], v[56:57], v[86:87], v[12:13] op_sel_hi:[1,0,1]
	;; [unrolled: 1-line block ×4, first 2 shown]
	v_xor_b32_e32 v36, 0x80000000, v61
	v_pk_fma_f32 v[8:9], v[54:55], v[86:87], v[8:9] op_sel:[1,1,0] op_sel_hi:[0,1,1] neg_lo:[1,0,0]
	v_pk_fma_f32 v[12:13], v[28:29], v[86:87], v[12:13] op_sel:[0,1,0]
	v_pk_fma_f32 v[10:11], v[50:51], v[86:87], v[10:11] op_sel:[1,1,0] op_sel_hi:[0,1,1] neg_lo:[1,0,0]
	v_pk_fma_f32 v[0:1], v[78:79], v[86:87], v[0:1] op_sel:[0,1,0]
	v_xor_b32_e32 v22, 0x80000000, v65
	s_wait_loadcnt 0x5
	v_dual_mov_b32 v23, v64 :: v_dual_mov_b32 v25, v68
	s_wait_loadcnt 0x4
	v_pk_fma_f32 v[8:9], v[58:59], v[88:89], v[8:9] op_sel_hi:[1,0,1]
	v_pk_fma_f32 v[12:13], v[60:61], v[88:89], v[12:13] op_sel_hi:[1,0,1]
	;; [unrolled: 1-line block ×4, first 2 shown]
	v_xor_b32_e32 v24, 0x80000000, v69
	v_pk_fma_f32 v[8:9], v[58:59], v[88:89], v[8:9] op_sel:[1,1,0] op_sel_hi:[0,1,1] neg_lo:[1,0,0]
	v_pk_fma_f32 v[12:13], v[36:37], v[88:89], v[12:13] op_sel:[0,1,0]
	v_pk_fma_f32 v[10:11], v[62:63], v[88:89], v[10:11] op_sel:[1,1,0] op_sel_hi:[0,1,1] neg_lo:[1,0,0]
	v_pk_fma_f32 v[0:1], v[22:23], v[88:89], v[0:1] op_sel:[0,1,0]
	s_wait_loadcnt 0x3
	v_xor_b32_e32 v26, 0x80000000, v73
	s_wait_loadcnt 0x1
	v_dual_mov_b32 v27, v72 :: v_dual_mov_b32 v23, v76
	v_pk_fma_f32 v[8:9], v[66:67], v[90:91], v[8:9] op_sel_hi:[1,0,1]
	v_pk_fma_f32 v[12:13], v[68:69], v[90:91], v[12:13] op_sel_hi:[1,0,1]
	;; [unrolled: 1-line block ×4, first 2 shown]
	v_xor_b32_e32 v22, 0x80000000, v77
	v_pk_fma_f32 v[8:9], v[66:67], v[90:91], v[8:9] op_sel:[1,1,0] op_sel_hi:[0,1,1] neg_lo:[1,0,0]
	v_pk_fma_f32 v[12:13], v[24:25], v[90:91], v[12:13] op_sel:[0,1,0]
	v_pk_fma_f32 v[10:11], v[70:71], v[90:91], v[10:11] op_sel:[1,1,0] op_sel_hi:[0,1,1] neg_lo:[1,0,0]
	v_pk_fma_f32 v[0:1], v[26:27], v[90:91], v[0:1] op_sel:[0,1,0]
	s_wait_loadcnt 0x0
	v_pk_fma_f32 v[8:9], v[30:31], v[92:93], v[8:9] op_sel_hi:[1,0,1]
	v_pk_fma_f32 v[12:13], v[32:33], v[92:93], v[12:13] op_sel_hi:[1,0,1]
	;; [unrolled: 1-line block ×4, first 2 shown]
	s_delay_alu instid0(VALU_DEP_4) | instskip(NEXT) | instid1(VALU_DEP_4)
	v_pk_fma_f32 v[8:9], v[30:31], v[92:93], v[8:9] op_sel:[1,1,0] op_sel_hi:[0,1,1] neg_lo:[1,0,0]
	v_pk_fma_f32 v[12:13], v[96:97], v[92:93], v[12:13] op_sel:[0,1,0]
	s_delay_alu instid0(VALU_DEP_4) | instskip(NEXT) | instid1(VALU_DEP_4)
	v_pk_fma_f32 v[10:11], v[74:75], v[92:93], v[10:11] op_sel:[1,1,0] op_sel_hi:[0,1,1] neg_lo:[1,0,0]
	v_pk_fma_f32 v[0:1], v[22:23], v[92:93], v[0:1] op_sel:[0,1,0]
	s_and_not1_b32 exec_lo, exec_lo, s4
	s_cbranch_execnz .LBB99_5
; %bb.6:
	s_or_b32 exec_lo, exec_lo, s4
.LBB99_7:
	s_delay_alu instid0(SALU_CYCLE_1)
	s_or_b32 exec_lo, exec_lo, s3
	s_cbranch_execz .LBB99_9
	s_branch .LBB99_14
.LBB99_8:
                                        ; implicit-def: $vgpr9
                                        ; implicit-def: $vgpr1
                                        ; implicit-def: $vgpr11
                                        ; implicit-def: $vgpr13
.LBB99_9:
	v_mov_b32_e32 v9, 0
	s_delay_alu instid0(VALU_DEP_1)
	v_dual_mov_b32 v8, v9 :: v_dual_mov_b32 v1, v9
	v_dual_mov_b32 v0, v9 :: v_dual_mov_b32 v11, v9
	;; [unrolled: 1-line block ×3, first 2 shown]
	v_mov_b32_e32 v12, v9
	s_and_saveexec_b32 s3, s2
	s_cbranch_execz .LBB99_13
; %bb.10:
	v_mad_u32 v16, v19, 28, 27
	v_mov_b32_e32 v15, 0
	s_mov_b32 s2, 0
	s_delay_alu instid0(VALU_DEP_1)
	v_dual_mov_b32 v0, v15 :: v_dual_mov_b32 v1, v15
	v_dual_mov_b32 v10, v15 :: v_dual_mov_b32 v11, v15
	;; [unrolled: 1-line block ×4, first 2 shown]
.LBB99_11:                              ; =>This Inner Loop Header: Depth=1
	global_load_b32 v17, v19, s[6:7] scale_offset
	v_subrev_nc_u32_e32 v14, 27, v16
	v_subrev_nc_u32_e32 v20, 20, v16
	v_dual_add_nc_u32 v21, -13, v16 :: v_dual_add_nc_u32 v22, -6, v16
	v_subrev_nc_u32_e32 v23, 19, v16
	s_delay_alu instid0(VALU_DEP_4)
	v_lshl_add_u64 v[28:29], v[14:15], 3, s[8:9]
	v_dual_add_nc_u32 v24, -12, v16 :: v_dual_add_nc_u32 v25, -5, v16
	v_subrev_nc_u32_e32 v26, 18, v16
	v_dual_add_nc_u32 v27, -11, v16 :: v_dual_add_nc_u32 v60, -4, v16
	v_subrev_nc_u32_e32 v61, 17, v16
	;; [unrolled: 2-line block ×4, first 2 shown]
	v_dual_add_nc_u32 v79, -2, v16 :: v_dual_add_nc_u32 v80, -15, v16
	v_dual_add_nc_u32 v81, -8, v16 :: v_dual_add_nc_u32 v82, -1, v16
	v_subrev_nc_u32_e32 v83, 21, v16
	v_dual_add_nc_u32 v84, -14, v16 :: v_dual_add_nc_u32 v85, -7, v16
	s_clause 0x19
	global_load_b64 v[30:31], v20, s[8:9] scale_offset
	global_load_b64 v[32:33], v21, s[8:9] scale_offset
	;; [unrolled: 1-line block ×15, first 2 shown]
	; meta instruction
	; meta instruction
	;; [unrolled: 1-line block ×15, first 2 shown]
	global_load_b64 v[60:61], v78, s[8:9] scale_offset
	global_load_b64 v[62:63], v79, s[8:9] scale_offset
	global_load_b64 v[64:65], v83, s[8:9] scale_offset
	global_load_b64 v[66:67], v80, s[8:9] scale_offset
	global_load_b64 v[68:69], v81, s[8:9] scale_offset
	global_load_b64 v[70:71], v82, s[8:9] scale_offset
	global_load_b64 v[72:73], v84, s[8:9] scale_offset
	global_load_b64 v[74:75], v85, s[8:9] scale_offset
	global_load_b64 v[76:77], v16, s[8:9] scale_offset
	global_load_b128 v[20:23], v[28:29], off
	global_load_b128 v[24:27], v[28:29], off offset:16
	v_add_nc_u32_e32 v19, 4, v19
	s_wait_xcnt 0x2
	v_add_nc_u32_e32 v16, 0x70, v16
	s_delay_alu instid0(VALU_DEP_2) | instskip(SKIP_3) | instid1(VALU_DEP_1)
	v_cmp_ge_i32_e32 vcc_lo, v19, v18
	s_or_b32 s2, vcc_lo, s2
	s_wait_loadcnt 0x1a
	v_subrev_nc_u32_e32 v14, s12, v17
	v_mul_lo_u32 v14, v14, 7
	global_load_b64 v[28:29], v14, s[10:11] scale_offset
	v_dual_add_nc_u32 v17, 1, v14 :: v_dual_add_nc_u32 v80, 2, v14
	v_add_nc_u32_e32 v81, 3, v14
	global_load_b64 v[78:79], v17, s[10:11] scale_offset
	s_wait_xcnt 0x0
	v_add_nc_u32_e32 v17, 4, v14
	s_wait_loadcnt 0x1
	v_pk_fma_f32 v[12:13], v[30:31], v[28:29], v[12:13] op_sel_hi:[1,0,1]
	v_pk_fma_f32 v[10:11], v[32:33], v[28:29], v[10:11] op_sel_hi:[1,0,1]
	;; [unrolled: 1-line block ×4, first 2 shown]
	s_delay_alu instid0(VALU_DEP_4)
	v_pk_fma_f32 v[12:13], v[30:31], v[28:29], v[12:13] op_sel:[1,1,0] op_sel_hi:[0,1,1] neg_lo:[1,0,0]
	global_load_b64 v[30:31], v80, s[10:11] scale_offset
	v_pk_fma_f32 v[10:11], v[32:33], v[28:29], v[10:11] op_sel:[1,1,0] op_sel_hi:[0,1,1] neg_lo:[1,0,0]
	global_load_b64 v[32:33], v81, s[10:11] scale_offset
	v_pk_fma_f32 v[0:1], v[34:35], v[28:29], v[0:1] op_sel:[1,1,0] op_sel_hi:[0,1,1] neg_lo:[1,0,0]
	global_load_b64 v[34:35], v17, s[10:11] scale_offset
	s_wait_xcnt 0x2
	v_add_nc_u32_e32 v80, 5, v14
	v_pk_fma_f32 v[8:9], v[20:21], v[28:29], v[8:9] op_sel:[1,1,0] op_sel_hi:[0,1,1] neg_lo:[1,0,0]
	v_mov_b32_e32 v21, v22
	v_xor_b32_e32 v20, 0x80000000, v23
	v_add_nc_u32_e32 v14, 6, v14
	global_load_b64 v[28:29], v80, s[10:11] scale_offset
	s_wait_loadcnt 0x4
	v_pk_fma_f32 v[8:9], v[22:23], v[78:79], v[8:9] op_sel_hi:[1,0,1]
	v_pk_fma_f32 v[12:13], v[36:37], v[78:79], v[12:13] op_sel_hi:[1,0,1]
	v_pk_fma_f32 v[10:11], v[38:39], v[78:79], v[10:11] op_sel_hi:[1,0,1]
	v_pk_fma_f32 v[0:1], v[40:41], v[78:79], v[0:1] op_sel_hi:[1,0,1]
	s_delay_alu instid0(VALU_DEP_4)
	v_pk_fma_f32 v[8:9], v[20:21], v[78:79], v[8:9] op_sel:[0,1,0]
	v_mov_b32_e32 v21, v26
	global_load_b64 v[22:23], v14, s[10:11] scale_offset
	v_pk_fma_f32 v[12:13], v[36:37], v[78:79], v[12:13] op_sel:[1,1,0] op_sel_hi:[0,1,1] neg_lo:[1,0,0]
	v_pk_fma_f32 v[10:11], v[38:39], v[78:79], v[10:11] op_sel:[1,1,0] op_sel_hi:[0,1,1] neg_lo:[1,0,0]
	;; [unrolled: 1-line block ×3, first 2 shown]
	v_xor_b32_e32 v20, 0x80000000, v27
	s_wait_loadcnt 0x4
	v_pk_fma_f32 v[8:9], v[24:25], v[30:31], v[8:9] op_sel_hi:[1,0,1]
	v_pk_fma_f32 v[12:13], v[42:43], v[30:31], v[12:13] op_sel_hi:[1,0,1]
	;; [unrolled: 1-line block ×4, first 2 shown]
	s_delay_alu instid0(VALU_DEP_4) | instskip(NEXT) | instid1(VALU_DEP_4)
	v_pk_fma_f32 v[8:9], v[24:25], v[30:31], v[8:9] op_sel:[1,1,0] op_sel_hi:[0,1,1] neg_lo:[1,0,0]
	v_pk_fma_f32 v[12:13], v[42:43], v[30:31], v[12:13] op_sel:[1,1,0] op_sel_hi:[0,1,1] neg_lo:[1,0,0]
	s_delay_alu instid0(VALU_DEP_4) | instskip(NEXT) | instid1(VALU_DEP_4)
	v_pk_fma_f32 v[10:11], v[44:45], v[30:31], v[10:11] op_sel:[1,1,0] op_sel_hi:[0,1,1] neg_lo:[1,0,0]
	v_pk_fma_f32 v[0:1], v[46:47], v[30:31], v[0:1] op_sel:[1,1,0] op_sel_hi:[0,1,1] neg_lo:[1,0,0]
	s_wait_loadcnt 0x3
	v_pk_fma_f32 v[8:9], v[26:27], v[32:33], v[8:9] op_sel_hi:[1,0,1]
	v_pk_fma_f32 v[12:13], v[50:51], v[32:33], v[12:13] op_sel_hi:[1,0,1]
	;; [unrolled: 1-line block ×4, first 2 shown]
	s_delay_alu instid0(VALU_DEP_4) | instskip(NEXT) | instid1(VALU_DEP_4)
	v_pk_fma_f32 v[8:9], v[20:21], v[32:33], v[8:9] op_sel:[0,1,0]
	v_pk_fma_f32 v[12:13], v[50:51], v[32:33], v[12:13] op_sel:[1,1,0] op_sel_hi:[0,1,1] neg_lo:[1,0,0]
	s_delay_alu instid0(VALU_DEP_4) | instskip(NEXT) | instid1(VALU_DEP_4)
	v_pk_fma_f32 v[10:11], v[52:53], v[32:33], v[10:11] op_sel:[1,1,0] op_sel_hi:[0,1,1] neg_lo:[1,0,0]
	v_pk_fma_f32 v[0:1], v[54:55], v[32:33], v[0:1] op_sel:[1,1,0] op_sel_hi:[0,1,1] neg_lo:[1,0,0]
	s_wait_loadcnt 0x2
	v_pk_fma_f32 v[8:9], v[48:49], v[34:35], v[8:9] op_sel_hi:[1,0,1]
	v_pk_fma_f32 v[12:13], v[58:59], v[34:35], v[12:13] op_sel_hi:[1,0,1]
	v_pk_fma_f32 v[10:11], v[60:61], v[34:35], v[10:11] op_sel_hi:[1,0,1]
	v_pk_fma_f32 v[0:1], v[62:63], v[34:35], v[0:1] op_sel_hi:[1,0,1]
	s_delay_alu instid0(VALU_DEP_4) | instskip(NEXT) | instid1(VALU_DEP_4)
	v_pk_fma_f32 v[8:9], v[48:49], v[34:35], v[8:9] op_sel:[1,1,0] op_sel_hi:[0,1,1] neg_lo:[1,0,0]
	v_pk_fma_f32 v[12:13], v[58:59], v[34:35], v[12:13] op_sel:[1,1,0] op_sel_hi:[0,1,1] neg_lo:[1,0,0]
	s_delay_alu instid0(VALU_DEP_4) | instskip(NEXT) | instid1(VALU_DEP_4)
	v_pk_fma_f32 v[10:11], v[60:61], v[34:35], v[10:11] op_sel:[1,1,0] op_sel_hi:[0,1,1] neg_lo:[1,0,0]
	v_pk_fma_f32 v[0:1], v[62:63], v[34:35], v[0:1] op_sel:[1,1,0] op_sel_hi:[0,1,1] neg_lo:[1,0,0]
	s_wait_loadcnt 0x1
	v_pk_fma_f32 v[8:9], v[56:57], v[28:29], v[8:9] op_sel_hi:[1,0,1]
	v_pk_fma_f32 v[12:13], v[66:67], v[28:29], v[12:13] op_sel_hi:[1,0,1]
	v_pk_fma_f32 v[10:11], v[68:69], v[28:29], v[10:11] op_sel_hi:[1,0,1]
	v_pk_fma_f32 v[0:1], v[70:71], v[28:29], v[0:1] op_sel_hi:[1,0,1]
	s_delay_alu instid0(VALU_DEP_4) | instskip(NEXT) | instid1(VALU_DEP_4)
	v_pk_fma_f32 v[8:9], v[56:57], v[28:29], v[8:9] op_sel:[1,1,0] op_sel_hi:[0,1,1] neg_lo:[1,0,0]
	;; [unrolled: 11-line block ×3, first 2 shown]
	v_pk_fma_f32 v[12:13], v[72:73], v[22:23], v[12:13] op_sel:[1,1,0] op_sel_hi:[0,1,1] neg_lo:[1,0,0]
	s_delay_alu instid0(VALU_DEP_4) | instskip(NEXT) | instid1(VALU_DEP_4)
	v_pk_fma_f32 v[10:11], v[74:75], v[22:23], v[10:11] op_sel:[1,1,0] op_sel_hi:[0,1,1] neg_lo:[1,0,0]
	v_pk_fma_f32 v[0:1], v[76:77], v[22:23], v[0:1] op_sel:[1,1,0] op_sel_hi:[0,1,1] neg_lo:[1,0,0]
	s_and_not1_b32 exec_lo, exec_lo, s2
	s_cbranch_execnz .LBB99_11
; %bb.12:
	s_or_b32 exec_lo, exec_lo, s2
.LBB99_13:
	s_delay_alu instid0(SALU_CYCLE_1)
	s_or_b32 exec_lo, exec_lo, s3
.LBB99_14:
	v_mbcnt_lo_u32_b32 v14, -1, 0
	s_delay_alu instid0(VALU_DEP_1) | instskip(SKIP_1) | instid1(VALU_DEP_1)
	v_xor_b32_e32 v23, 1, v14
	v_xor_b32_e32 v15, 2, v14
	v_cmp_gt_i32_e32 vcc_lo, 32, v15
	v_cndmask_b32_e32 v15, v14, v15, vcc_lo
	s_delay_alu instid0(VALU_DEP_4) | instskip(SKIP_2) | instid1(VALU_DEP_2)
	v_cmp_gt_i32_e32 vcc_lo, 32, v23
	v_cndmask_b32_e32 v14, v14, v23, vcc_lo
	v_cmp_eq_u32_e32 vcc_lo, 3, v7
	v_dual_lshlrev_b32 v23, 2, v14 :: v_dual_lshlrev_b32 v15, 2, v15
	ds_bpermute_b32 v16, v15, v8
	s_wait_dscnt 0x0
	v_add_f32_e32 v8, v8, v16
	ds_bpermute_b32 v17, v15, v9
	ds_bpermute_b32 v18, v15, v12
	;; [unrolled: 1-line block ×7, first 2 shown]
	s_wait_dscnt 0x5
	v_dual_add_f32 v14, v9, v17 :: v_dual_add_f32 v12, v12, v18
	s_wait_dscnt 0x3
	v_dual_add_f32 v13, v13, v19 :: v_dual_add_f32 v10, v10, v20
	;; [unrolled: 2-line block ×3, first 2 shown]
	s_wait_dscnt 0x0
	v_add_f32_e32 v1, v1, v15
	ds_bpermute_b32 v0, v23, v8
	ds_bpermute_b32 v16, v23, v14
	;; [unrolled: 1-line block ×8, first 2 shown]
	s_and_b32 exec_lo, exec_lo, vcc_lo
	s_cbranch_execz .LBB99_19
; %bb.15:
	s_load_b64 s[2:3], s[0:1], 0x38
	v_cmp_eq_f32_e32 vcc_lo, 0, v4
	s_wait_xcnt 0x0
	v_cmp_eq_f32_e64 s0, 0, v5
	s_wait_dscnt 0x7
	v_add_f32_e32 v0, v8, v0
	s_wait_dscnt 0x5
	v_dual_add_f32 v20, v14, v16 :: v_dual_add_f32 v8, v12, v18
	s_wait_dscnt 0x3
	v_dual_add_f32 v18, v13, v19 :: v_dual_add_f32 v10, v10, v21
	s_wait_dscnt 0x1
	v_dual_add_f32 v16, v11, v22 :: v_dual_add_f32 v12, v9, v15
	s_wait_dscnt 0x0
	v_add_f32_e32 v14, v1, v17
	s_and_b32 s0, vcc_lo, s0
	s_delay_alu instid0(SALU_CYCLE_1) | instskip(NEXT) | instid1(SALU_CYCLE_1)
	s_and_saveexec_b32 s1, s0
	s_xor_b32 s0, exec_lo, s1
	s_cbranch_execz .LBB99_17
; %bb.16:
	v_xor_b32_e32 v4, 0x80000000, v3
	v_dual_mov_b32 v5, v2 :: v_dual_lshlrev_b32 v6, 2, v6
	s_delay_alu instid0(VALU_DEP_1) | instskip(NEXT) | instid1(VALU_DEP_2)
	v_ashrrev_i32_e32 v7, 31, v6
	v_pk_mul_f32 v[20:21], v[20:21], v[4:5] op_sel_hi:[0,1]
	v_pk_mul_f32 v[18:19], v[18:19], v[4:5] op_sel_hi:[0,1]
	v_pk_mul_f32 v[16:17], v[16:17], v[4:5] op_sel_hi:[0,1]
	v_pk_mul_f32 v[14:15], v[14:15], v[4:5] op_sel_hi:[0,1]
	s_wait_kmcnt 0x0
	v_lshl_add_u64 v[22:23], v[6:7], 3, s[2:3]
	v_pk_fma_f32 v[4:5], v[2:3], v[0:1], v[20:21] op_sel_hi:[1,0,1]
	v_pk_fma_f32 v[6:7], v[2:3], v[8:9], v[18:19] op_sel_hi:[1,0,1]
	;; [unrolled: 1-line block ×4, first 2 shown]
	s_clause 0x1
	global_store_b128 v[22:23], v[4:7], off
	global_store_b128 v[22:23], v[0:3], off offset:16
                                        ; implicit-def: $vgpr6
                                        ; implicit-def: $vgpr0
                                        ; implicit-def: $vgpr20
                                        ; implicit-def: $vgpr8
                                        ; implicit-def: $vgpr18
                                        ; implicit-def: $vgpr10
                                        ; implicit-def: $vgpr16
                                        ; implicit-def: $vgpr12
                                        ; implicit-def: $vgpr14
                                        ; implicit-def: $vgpr2_vgpr3
                                        ; implicit-def: $vgpr4_vgpr5
.LBB99_17:
	s_wait_xcnt 0x0
	s_and_not1_saveexec_b32 s0, s0
	s_cbranch_execz .LBB99_19
; %bb.18:
	v_lshlrev_b32_e32 v6, 2, v6
	v_xor_b32_e32 v32, 0x80000000, v5
	s_delay_alu instid0(VALU_DEP_2) | instskip(SKIP_1) | instid1(VALU_DEP_1)
	v_dual_mov_b32 v33, v4 :: v_dual_ashrrev_i32 v7, 31, v6
	s_wait_kmcnt 0x0
	v_lshl_add_u64 v[30:31], v[6:7], 3, s[2:3]
	v_xor_b32_e32 v6, 0x80000000, v3
	v_mov_b32_e32 v7, v2
	s_clause 0x1
	global_load_b128 v[22:25], v[30:31], off
	global_load_b128 v[26:29], v[30:31], off offset:16
	v_pk_mul_f32 v[20:21], v[20:21], v[6:7] op_sel_hi:[0,1]
	v_pk_mul_f32 v[18:19], v[18:19], v[6:7] op_sel_hi:[0,1]
	;; [unrolled: 1-line block ×4, first 2 shown]
	s_delay_alu instid0(VALU_DEP_4) | instskip(NEXT) | instid1(VALU_DEP_4)
	v_pk_fma_f32 v[0:1], v[2:3], v[0:1], v[20:21] op_sel_hi:[1,0,1]
	v_pk_fma_f32 v[8:9], v[2:3], v[8:9], v[18:19] op_sel_hi:[1,0,1]
	s_delay_alu instid0(VALU_DEP_4) | instskip(NEXT) | instid1(VALU_DEP_4)
	v_pk_fma_f32 v[10:11], v[2:3], v[10:11], v[16:17] op_sel_hi:[1,0,1]
	v_pk_fma_f32 v[2:3], v[2:3], v[12:13], v[6:7] op_sel_hi:[1,0,1]
	s_wait_loadcnt 0x1
	v_pk_fma_f32 v[0:1], v[4:5], v[22:23], v[0:1] op_sel_hi:[1,0,1]
	v_pk_fma_f32 v[6:7], v[4:5], v[24:25], v[8:9] op_sel_hi:[1,0,1]
	s_wait_loadcnt 0x0
	v_dual_mov_b32 v8, v25 :: v_dual_mov_b32 v14, v29
	v_pk_fma_f32 v[10:11], v[4:5], v[26:27], v[10:11] op_sel_hi:[1,0,1]
	v_pk_fma_f32 v[12:13], v[4:5], v[28:29], v[2:3] op_sel_hi:[1,0,1]
	v_pk_fma_f32 v[0:1], v[32:33], v[22:23], v[0:1] op_sel:[0,1,0]
	s_delay_alu instid0(VALU_DEP_4) | instskip(NEXT) | instid1(VALU_DEP_4)
	v_pk_fma_f32 v[2:3], v[32:33], v[8:9], v[6:7] op_sel_hi:[1,0,1]
	v_pk_fma_f32 v[4:5], v[32:33], v[26:27], v[10:11] op_sel:[0,1,0]
	s_delay_alu instid0(VALU_DEP_4)
	v_pk_fma_f32 v[6:7], v[32:33], v[14:15], v[12:13] op_sel_hi:[1,0,1]
	s_clause 0x1
	global_store_b128 v[30:31], v[0:3], off
	global_store_b128 v[30:31], v[4:7], off offset:16
.LBB99_19:
	s_sendmsg sendmsg(MSG_DEALLOC_VGPRS)
	s_endpgm
	.section	.rodata,"a",@progbits
	.p2align	6, 0x0
	.amdhsa_kernel _ZN9rocsparseL19gebsrmvn_4xn_kernelILj128ELj7ELj4E21rocsparse_complex_numIfEEEvi20rocsparse_direction_NS_24const_host_device_scalarIT2_EEPKiS8_PKS5_SA_S6_PS5_21rocsparse_index_base_b
		.amdhsa_group_segment_fixed_size 0
		.amdhsa_private_segment_fixed_size 0
		.amdhsa_kernarg_size 72
		.amdhsa_user_sgpr_count 2
		.amdhsa_user_sgpr_dispatch_ptr 0
		.amdhsa_user_sgpr_queue_ptr 0
		.amdhsa_user_sgpr_kernarg_segment_ptr 1
		.amdhsa_user_sgpr_dispatch_id 0
		.amdhsa_user_sgpr_kernarg_preload_length 0
		.amdhsa_user_sgpr_kernarg_preload_offset 0
		.amdhsa_user_sgpr_private_segment_size 0
		.amdhsa_wavefront_size32 1
		.amdhsa_uses_dynamic_stack 0
		.amdhsa_enable_private_segment 0
		.amdhsa_system_sgpr_workgroup_id_x 1
		.amdhsa_system_sgpr_workgroup_id_y 0
		.amdhsa_system_sgpr_workgroup_id_z 0
		.amdhsa_system_sgpr_workgroup_info 0
		.amdhsa_system_vgpr_workitem_id 0
		.amdhsa_next_free_vgpr 100
		.amdhsa_next_free_sgpr 14
		.amdhsa_named_barrier_count 0
		.amdhsa_reserve_vcc 1
		.amdhsa_float_round_mode_32 0
		.amdhsa_float_round_mode_16_64 0
		.amdhsa_float_denorm_mode_32 3
		.amdhsa_float_denorm_mode_16_64 3
		.amdhsa_fp16_overflow 0
		.amdhsa_memory_ordered 1
		.amdhsa_forward_progress 1
		.amdhsa_inst_pref_size 29
		.amdhsa_round_robin_scheduling 0
		.amdhsa_exception_fp_ieee_invalid_op 0
		.amdhsa_exception_fp_denorm_src 0
		.amdhsa_exception_fp_ieee_div_zero 0
		.amdhsa_exception_fp_ieee_overflow 0
		.amdhsa_exception_fp_ieee_underflow 0
		.amdhsa_exception_fp_ieee_inexact 0
		.amdhsa_exception_int_div_zero 0
	.end_amdhsa_kernel
	.section	.text._ZN9rocsparseL19gebsrmvn_4xn_kernelILj128ELj7ELj4E21rocsparse_complex_numIfEEEvi20rocsparse_direction_NS_24const_host_device_scalarIT2_EEPKiS8_PKS5_SA_S6_PS5_21rocsparse_index_base_b,"axG",@progbits,_ZN9rocsparseL19gebsrmvn_4xn_kernelILj128ELj7ELj4E21rocsparse_complex_numIfEEEvi20rocsparse_direction_NS_24const_host_device_scalarIT2_EEPKiS8_PKS5_SA_S6_PS5_21rocsparse_index_base_b,comdat
.Lfunc_end99:
	.size	_ZN9rocsparseL19gebsrmvn_4xn_kernelILj128ELj7ELj4E21rocsparse_complex_numIfEEEvi20rocsparse_direction_NS_24const_host_device_scalarIT2_EEPKiS8_PKS5_SA_S6_PS5_21rocsparse_index_base_b, .Lfunc_end99-_ZN9rocsparseL19gebsrmvn_4xn_kernelILj128ELj7ELj4E21rocsparse_complex_numIfEEEvi20rocsparse_direction_NS_24const_host_device_scalarIT2_EEPKiS8_PKS5_SA_S6_PS5_21rocsparse_index_base_b
                                        ; -- End function
	.set _ZN9rocsparseL19gebsrmvn_4xn_kernelILj128ELj7ELj4E21rocsparse_complex_numIfEEEvi20rocsparse_direction_NS_24const_host_device_scalarIT2_EEPKiS8_PKS5_SA_S6_PS5_21rocsparse_index_base_b.num_vgpr, 100
	.set _ZN9rocsparseL19gebsrmvn_4xn_kernelILj128ELj7ELj4E21rocsparse_complex_numIfEEEvi20rocsparse_direction_NS_24const_host_device_scalarIT2_EEPKiS8_PKS5_SA_S6_PS5_21rocsparse_index_base_b.num_agpr, 0
	.set _ZN9rocsparseL19gebsrmvn_4xn_kernelILj128ELj7ELj4E21rocsparse_complex_numIfEEEvi20rocsparse_direction_NS_24const_host_device_scalarIT2_EEPKiS8_PKS5_SA_S6_PS5_21rocsparse_index_base_b.numbered_sgpr, 14
	.set _ZN9rocsparseL19gebsrmvn_4xn_kernelILj128ELj7ELj4E21rocsparse_complex_numIfEEEvi20rocsparse_direction_NS_24const_host_device_scalarIT2_EEPKiS8_PKS5_SA_S6_PS5_21rocsparse_index_base_b.num_named_barrier, 0
	.set _ZN9rocsparseL19gebsrmvn_4xn_kernelILj128ELj7ELj4E21rocsparse_complex_numIfEEEvi20rocsparse_direction_NS_24const_host_device_scalarIT2_EEPKiS8_PKS5_SA_S6_PS5_21rocsparse_index_base_b.private_seg_size, 0
	.set _ZN9rocsparseL19gebsrmvn_4xn_kernelILj128ELj7ELj4E21rocsparse_complex_numIfEEEvi20rocsparse_direction_NS_24const_host_device_scalarIT2_EEPKiS8_PKS5_SA_S6_PS5_21rocsparse_index_base_b.uses_vcc, 1
	.set _ZN9rocsparseL19gebsrmvn_4xn_kernelILj128ELj7ELj4E21rocsparse_complex_numIfEEEvi20rocsparse_direction_NS_24const_host_device_scalarIT2_EEPKiS8_PKS5_SA_S6_PS5_21rocsparse_index_base_b.uses_flat_scratch, 1
	.set _ZN9rocsparseL19gebsrmvn_4xn_kernelILj128ELj7ELj4E21rocsparse_complex_numIfEEEvi20rocsparse_direction_NS_24const_host_device_scalarIT2_EEPKiS8_PKS5_SA_S6_PS5_21rocsparse_index_base_b.has_dyn_sized_stack, 0
	.set _ZN9rocsparseL19gebsrmvn_4xn_kernelILj128ELj7ELj4E21rocsparse_complex_numIfEEEvi20rocsparse_direction_NS_24const_host_device_scalarIT2_EEPKiS8_PKS5_SA_S6_PS5_21rocsparse_index_base_b.has_recursion, 0
	.set _ZN9rocsparseL19gebsrmvn_4xn_kernelILj128ELj7ELj4E21rocsparse_complex_numIfEEEvi20rocsparse_direction_NS_24const_host_device_scalarIT2_EEPKiS8_PKS5_SA_S6_PS5_21rocsparse_index_base_b.has_indirect_call, 0
	.section	.AMDGPU.csdata,"",@progbits
; Kernel info:
; codeLenInByte = 3676
; TotalNumSgprs: 16
; NumVgprs: 100
; ScratchSize: 0
; MemoryBound: 0
; FloatMode: 240
; IeeeMode: 1
; LDSByteSize: 0 bytes/workgroup (compile time only)
; SGPRBlocks: 0
; VGPRBlocks: 6
; NumSGPRsForWavesPerEU: 16
; NumVGPRsForWavesPerEU: 100
; NamedBarCnt: 0
; Occupancy: 9
; WaveLimiterHint : 1
; COMPUTE_PGM_RSRC2:SCRATCH_EN: 0
; COMPUTE_PGM_RSRC2:USER_SGPR: 2
; COMPUTE_PGM_RSRC2:TRAP_HANDLER: 0
; COMPUTE_PGM_RSRC2:TGID_X_EN: 1
; COMPUTE_PGM_RSRC2:TGID_Y_EN: 0
; COMPUTE_PGM_RSRC2:TGID_Z_EN: 0
; COMPUTE_PGM_RSRC2:TIDIG_COMP_CNT: 0
	.section	.text._ZN9rocsparseL19gebsrmvn_4xn_kernelILj128ELj7ELj8E21rocsparse_complex_numIfEEEvi20rocsparse_direction_NS_24const_host_device_scalarIT2_EEPKiS8_PKS5_SA_S6_PS5_21rocsparse_index_base_b,"axG",@progbits,_ZN9rocsparseL19gebsrmvn_4xn_kernelILj128ELj7ELj8E21rocsparse_complex_numIfEEEvi20rocsparse_direction_NS_24const_host_device_scalarIT2_EEPKiS8_PKS5_SA_S6_PS5_21rocsparse_index_base_b,comdat
	.globl	_ZN9rocsparseL19gebsrmvn_4xn_kernelILj128ELj7ELj8E21rocsparse_complex_numIfEEEvi20rocsparse_direction_NS_24const_host_device_scalarIT2_EEPKiS8_PKS5_SA_S6_PS5_21rocsparse_index_base_b ; -- Begin function _ZN9rocsparseL19gebsrmvn_4xn_kernelILj128ELj7ELj8E21rocsparse_complex_numIfEEEvi20rocsparse_direction_NS_24const_host_device_scalarIT2_EEPKiS8_PKS5_SA_S6_PS5_21rocsparse_index_base_b
	.p2align	8
	.type	_ZN9rocsparseL19gebsrmvn_4xn_kernelILj128ELj7ELj8E21rocsparse_complex_numIfEEEvi20rocsparse_direction_NS_24const_host_device_scalarIT2_EEPKiS8_PKS5_SA_S6_PS5_21rocsparse_index_base_b,@function
_ZN9rocsparseL19gebsrmvn_4xn_kernelILj128ELj7ELj8E21rocsparse_complex_numIfEEEvi20rocsparse_direction_NS_24const_host_device_scalarIT2_EEPKiS8_PKS5_SA_S6_PS5_21rocsparse_index_base_b: ; @_ZN9rocsparseL19gebsrmvn_4xn_kernelILj128ELj7ELj8E21rocsparse_complex_numIfEEEvi20rocsparse_direction_NS_24const_host_device_scalarIT2_EEPKiS8_PKS5_SA_S6_PS5_21rocsparse_index_base_b
; %bb.0:
	s_clause 0x2
	s_load_b64 s[12:13], s[0:1], 0x40
	s_load_b64 s[2:3], s[0:1], 0x8
	s_load_b64 s[4:5], s[0:1], 0x30
	v_mov_b32_e32 v1, 0
	s_add_nc_u64 s[6:7], s[0:1], 8
	s_add_nc_u64 s[8:9], s[0:1], 48
	s_wait_kmcnt 0x0
	s_bitcmp1_b32 s13, 0
	s_cselect_b32 s3, s7, s3
	s_cselect_b32 s2, s6, s2
	;; [unrolled: 1-line block ×4, first 2 shown]
	s_clause 0x1
	flat_load_b64 v[2:3], v1, s[2:3]
	flat_load_b64 v[4:5], v1, s[4:5]
	s_wait_loadcnt_dscnt 0x101
	v_cmp_eq_f32_e32 vcc_lo, 0, v2
	v_cmp_eq_f32_e64 s2, 0, v3
	s_wait_loadcnt_dscnt 0x0
	v_cmp_eq_f32_e64 s3, 1.0, v4
	v_cmp_eq_f32_e64 s4, 0, v5
	s_and_b32 s2, vcc_lo, s2
	s_and_b32 s3, s3, s4
	s_delay_alu instid0(SALU_CYCLE_1) | instskip(NEXT) | instid1(SALU_CYCLE_1)
	s_and_b32 s2, s2, s3
	s_xor_b32 s2, s2, -1
	s_delay_alu instid0(SALU_CYCLE_1)
	s_and_saveexec_b32 s3, s2
	s_cbranch_execz .LBB100_19
; %bb.1:
	s_load_b64 s[2:3], s[0:1], 0x0
	s_bfe_u32 s4, ttmp6, 0x4000c
	s_and_b32 s5, ttmp6, 15
	s_add_co_i32 s4, s4, 1
	s_getreg_b32 s6, hwreg(HW_REG_IB_STS2, 6, 4)
	s_mul_i32 s4, ttmp9, s4
	v_lshrrev_b32_e32 v1, 3, v0
	s_add_co_i32 s5, s5, s4
	s_cmp_eq_u32 s6, 0
	s_cselect_b32 s4, ttmp9, s5
	s_delay_alu instid0(VALU_DEP_1) | instid1(SALU_CYCLE_1)
	v_lshl_or_b32 v6, s4, 4, v1
	s_wait_kmcnt 0x0
	s_delay_alu instid0(VALU_DEP_1)
	v_cmp_gt_i32_e32 vcc_lo, s2, v6
	s_and_b32 exec_lo, exec_lo, vcc_lo
	s_cbranch_execz .LBB100_19
; %bb.2:
	s_load_b256 s[4:11], s[0:1], 0x10
	v_ashrrev_i32_e32 v7, 31, v6
	s_cmp_lg_u32 s3, 0
	s_wait_kmcnt 0x0
	s_delay_alu instid0(VALU_DEP_1)
	v_lshl_add_u64 v[8:9], v[6:7], 2, s[4:5]
	v_and_b32_e32 v7, 7, v0
	global_load_b64 v[8:9], v[8:9], off
	s_wait_loadcnt 0x0
	v_subrev_nc_u32_e32 v0, s12, v8
	v_subrev_nc_u32_e32 v18, s12, v9
	s_delay_alu instid0(VALU_DEP_2) | instskip(NEXT) | instid1(VALU_DEP_1)
	v_add_nc_u32_e32 v19, v0, v7
	v_cmp_lt_i32_e64 s2, v19, v18
	s_cbranch_scc0 .LBB100_8
; %bb.3:
	v_mov_b32_e32 v9, 0
	s_delay_alu instid0(VALU_DEP_1)
	v_dual_mov_b32 v8, v9 :: v_dual_mov_b32 v1, v9
	v_dual_mov_b32 v0, v9 :: v_dual_mov_b32 v11, v9
	v_dual_mov_b32 v10, v9 :: v_dual_mov_b32 v13, v9
	v_mov_b32_e32 v12, v9
	s_and_saveexec_b32 s3, s2
	s_cbranch_execz .LBB100_7
; %bb.4:
	v_mad_u32 v16, v19, 28, 24
	v_dual_mov_b32 v15, 0 :: v_dual_mov_b32 v20, v19
	s_mov_b32 s4, 0
	s_delay_alu instid0(VALU_DEP_1)
	v_dual_mov_b32 v0, v15 :: v_dual_mov_b32 v1, v15
	v_dual_mov_b32 v10, v15 :: v_dual_mov_b32 v11, v15
	;; [unrolled: 1-line block ×4, first 2 shown]
.LBB100_5:                              ; =>This Inner Loop Header: Depth=1
	global_load_b32 v21, v20, s[6:7] scale_offset
	v_subrev_nc_u32_e32 v14, 24, v16
	s_wait_xcnt 0x0
	v_dual_mov_b32 v17, v15 :: v_dual_add_nc_u32 v20, 8, v20
	s_delay_alu instid0(VALU_DEP_2) | instskip(SKIP_1) | instid1(VALU_DEP_3)
	v_lshl_add_u64 v[34:35], v[14:15], 3, s[8:9]
	v_subrev_nc_u32_e32 v14, 20, v16
	v_cmp_ge_i32_e32 vcc_lo, v20, v18
	s_delay_alu instid0(VALU_DEP_2)
	v_lshl_add_u64 v[42:43], v[14:15], 3, s[8:9]
	v_add_nc_u32_e32 v14, -16, v16
	v_lshl_add_u64 v[78:79], v[16:17], 3, s[8:9]
	s_clause 0x2
	global_load_b128 v[22:25], v[34:35], off
	global_load_b128 v[26:29], v[34:35], off offset:16
	global_load_b128 v[30:33], v[78:79], off
	v_lshl_add_u64 v[50:51], v[14:15], 3, s[8:9]
	v_add_nc_u32_e32 v14, -12, v16
	s_clause 0x3
	global_load_b128 v[34:37], v[42:43], off offset:16
	global_load_b128 v[38:41], v[42:43], off
	global_load_b128 v[42:45], v[50:51], off offset:16
	global_load_b128 v[46:49], v[50:51], off
	v_lshl_add_u64 v[58:59], v[14:15], 3, s[8:9]
	v_add_nc_u32_e32 v14, -8, v16
	s_or_b32 s4, vcc_lo, s4
	global_load_b128 v[50:53], v[58:59], off offset:16
	v_lshl_add_u64 v[66:67], v[14:15], 3, s[8:9]
	s_wait_loadcnt 0x8
	v_subrev_nc_u32_e32 v14, s12, v21
	s_delay_alu instid0(VALU_DEP_1)
	v_mul_lo_u32 v17, v14, 7
	global_load_b64 v[80:81], v17, s[10:11] scale_offset
	global_load_b128 v[54:57], v[58:59], off
	v_add_nc_u32_e32 v21, 1, v17
	global_load_b64 v[82:83], v21, s[10:11] scale_offset
	global_load_b128 v[58:61], v[66:67], off
	s_wait_xcnt 0x1
	v_add_nc_u32_e32 v21, 2, v17
	global_load_b128 v[62:65], v[66:67], off offset:16
	global_load_b64 v[84:85], v21, s[10:11] scale_offset
	s_wait_xcnt 0x0
	v_dual_add_nc_u32 v14, -4, v16 :: v_dual_add_nc_u32 v21, 4, v17
	s_wait_loadcnt 0xc
	v_xor_b32_e32 v94, 0x80000000, v29
	s_wait_loadcnt 0xb
	v_dual_mov_b32 v95, v28 :: v_dual_mov_b32 v97, v32
	s_wait_loadcnt 0x9
	v_mov_b32_e32 v99, v40
	v_lshl_add_u64 v[74:75], v[14:15], 3, s[8:9]
	v_add_nc_u32_e32 v14, 3, v17
	global_load_b64 v[86:87], v14, s[10:11] scale_offset
	global_load_b128 v[66:69], v[74:75], off
	global_load_b64 v[88:89], v21, s[10:11] scale_offset
	global_load_b128 v[70:73], v[74:75], off offset:16
	s_wait_xcnt 0x3
	v_dual_add_nc_u32 v14, 5, v17 :: v_dual_add_nc_u32 v17, 6, v17
	global_load_b64 v[90:91], v14, s[10:11] scale_offset
	global_load_b128 v[74:77], v[78:79], off offset:16
	global_load_b64 v[92:93], v17, s[10:11] scale_offset
	s_wait_xcnt 0x1
	v_xor_b32_e32 v78, 0x80000000, v25
	v_mov_b32_e32 v79, v24
	v_xor_b32_e32 v98, 0x80000000, v41
	v_xor_b32_e32 v96, 0x80000000, v33
	v_add_nc_u32_e32 v16, 0xe0, v16
	s_wait_loadcnt 0xc
	v_pk_fma_f32 v[8:9], v[22:23], v[80:81], v[8:9] op_sel_hi:[1,0,1]
	v_pk_fma_f32 v[12:13], v[24:25], v[80:81], v[12:13] op_sel_hi:[1,0,1]
	;; [unrolled: 1-line block ×4, first 2 shown]
	v_xor_b32_e32 v24, 0x80000000, v49
	v_pk_fma_f32 v[8:9], v[22:23], v[80:81], v[8:9] op_sel:[1,1,0] op_sel_hi:[0,1,1] neg_lo:[1,0,0]
	v_pk_fma_f32 v[12:13], v[78:79], v[80:81], v[12:13] op_sel:[0,1,0]
	v_pk_fma_f32 v[10:11], v[26:27], v[80:81], v[10:11] op_sel:[1,1,0] op_sel_hi:[0,1,1] neg_lo:[1,0,0]
	v_pk_fma_f32 v[0:1], v[94:95], v[80:81], v[0:1] op_sel:[0,1,0]
	v_xor_b32_e32 v22, 0x80000000, v37
	v_dual_mov_b32 v23, v36 :: v_dual_mov_b32 v25, v48
	s_wait_loadcnt 0xa
	v_pk_fma_f32 v[8:9], v[38:39], v[82:83], v[8:9] op_sel_hi:[1,0,1]
	v_pk_fma_f32 v[12:13], v[40:41], v[82:83], v[12:13] op_sel_hi:[1,0,1]
	;; [unrolled: 1-line block ×4, first 2 shown]
	v_xor_b32_e32 v26, 0x80000000, v45
	v_pk_fma_f32 v[8:9], v[38:39], v[82:83], v[8:9] op_sel:[1,1,0] op_sel_hi:[0,1,1] neg_lo:[1,0,0]
	v_pk_fma_f32 v[12:13], v[98:99], v[82:83], v[12:13] op_sel:[0,1,0]
	v_pk_fma_f32 v[10:11], v[34:35], v[82:83], v[10:11] op_sel:[1,1,0] op_sel_hi:[0,1,1] neg_lo:[1,0,0]
	v_pk_fma_f32 v[0:1], v[22:23], v[82:83], v[0:1] op_sel:[0,1,0]
	v_dual_mov_b32 v27, v44 :: v_dual_mov_b32 v29, v56
	s_wait_loadcnt 0x7
	v_pk_fma_f32 v[8:9], v[46:47], v[84:85], v[8:9] op_sel_hi:[1,0,1]
	v_pk_fma_f32 v[12:13], v[48:49], v[84:85], v[12:13] op_sel_hi:[1,0,1]
	;; [unrolled: 1-line block ×4, first 2 shown]
	v_xor_b32_e32 v28, 0x80000000, v57
	v_pk_fma_f32 v[8:9], v[46:47], v[84:85], v[8:9] op_sel:[1,1,0] op_sel_hi:[0,1,1] neg_lo:[1,0,0]
	v_pk_fma_f32 v[12:13], v[24:25], v[84:85], v[12:13] op_sel:[0,1,0]
	v_pk_fma_f32 v[10:11], v[42:43], v[84:85], v[10:11] op_sel:[1,1,0] op_sel_hi:[0,1,1] neg_lo:[1,0,0]
	v_pk_fma_f32 v[0:1], v[26:27], v[84:85], v[0:1] op_sel:[0,1,0]
	v_xor_b32_e32 v78, 0x80000000, v53
	v_dual_mov_b32 v79, v52 :: v_dual_mov_b32 v37, v60
	s_wait_loadcnt 0x6
	v_pk_fma_f32 v[8:9], v[54:55], v[86:87], v[8:9] op_sel_hi:[1,0,1]
	v_pk_fma_f32 v[12:13], v[56:57], v[86:87], v[12:13] op_sel_hi:[1,0,1]
	;; [unrolled: 1-line block ×4, first 2 shown]
	v_xor_b32_e32 v36, 0x80000000, v61
	v_pk_fma_f32 v[8:9], v[54:55], v[86:87], v[8:9] op_sel:[1,1,0] op_sel_hi:[0,1,1] neg_lo:[1,0,0]
	v_pk_fma_f32 v[12:13], v[28:29], v[86:87], v[12:13] op_sel:[0,1,0]
	v_pk_fma_f32 v[10:11], v[50:51], v[86:87], v[10:11] op_sel:[1,1,0] op_sel_hi:[0,1,1] neg_lo:[1,0,0]
	v_pk_fma_f32 v[0:1], v[78:79], v[86:87], v[0:1] op_sel:[0,1,0]
	v_xor_b32_e32 v22, 0x80000000, v65
	s_wait_loadcnt 0x5
	v_dual_mov_b32 v23, v64 :: v_dual_mov_b32 v25, v68
	s_wait_loadcnt 0x4
	v_pk_fma_f32 v[8:9], v[58:59], v[88:89], v[8:9] op_sel_hi:[1,0,1]
	v_pk_fma_f32 v[12:13], v[60:61], v[88:89], v[12:13] op_sel_hi:[1,0,1]
	;; [unrolled: 1-line block ×4, first 2 shown]
	v_xor_b32_e32 v24, 0x80000000, v69
	v_pk_fma_f32 v[8:9], v[58:59], v[88:89], v[8:9] op_sel:[1,1,0] op_sel_hi:[0,1,1] neg_lo:[1,0,0]
	v_pk_fma_f32 v[12:13], v[36:37], v[88:89], v[12:13] op_sel:[0,1,0]
	v_pk_fma_f32 v[10:11], v[62:63], v[88:89], v[10:11] op_sel:[1,1,0] op_sel_hi:[0,1,1] neg_lo:[1,0,0]
	v_pk_fma_f32 v[0:1], v[22:23], v[88:89], v[0:1] op_sel:[0,1,0]
	s_wait_loadcnt 0x3
	v_xor_b32_e32 v26, 0x80000000, v73
	s_wait_loadcnt 0x1
	v_dual_mov_b32 v27, v72 :: v_dual_mov_b32 v23, v76
	v_pk_fma_f32 v[8:9], v[66:67], v[90:91], v[8:9] op_sel_hi:[1,0,1]
	v_pk_fma_f32 v[12:13], v[68:69], v[90:91], v[12:13] op_sel_hi:[1,0,1]
	;; [unrolled: 1-line block ×4, first 2 shown]
	v_xor_b32_e32 v22, 0x80000000, v77
	v_pk_fma_f32 v[8:9], v[66:67], v[90:91], v[8:9] op_sel:[1,1,0] op_sel_hi:[0,1,1] neg_lo:[1,0,0]
	v_pk_fma_f32 v[12:13], v[24:25], v[90:91], v[12:13] op_sel:[0,1,0]
	v_pk_fma_f32 v[10:11], v[70:71], v[90:91], v[10:11] op_sel:[1,1,0] op_sel_hi:[0,1,1] neg_lo:[1,0,0]
	v_pk_fma_f32 v[0:1], v[26:27], v[90:91], v[0:1] op_sel:[0,1,0]
	s_wait_loadcnt 0x0
	v_pk_fma_f32 v[8:9], v[30:31], v[92:93], v[8:9] op_sel_hi:[1,0,1]
	v_pk_fma_f32 v[12:13], v[32:33], v[92:93], v[12:13] op_sel_hi:[1,0,1]
	;; [unrolled: 1-line block ×4, first 2 shown]
	s_delay_alu instid0(VALU_DEP_4) | instskip(NEXT) | instid1(VALU_DEP_4)
	v_pk_fma_f32 v[8:9], v[30:31], v[92:93], v[8:9] op_sel:[1,1,0] op_sel_hi:[0,1,1] neg_lo:[1,0,0]
	v_pk_fma_f32 v[12:13], v[96:97], v[92:93], v[12:13] op_sel:[0,1,0]
	s_delay_alu instid0(VALU_DEP_4) | instskip(NEXT) | instid1(VALU_DEP_4)
	v_pk_fma_f32 v[10:11], v[74:75], v[92:93], v[10:11] op_sel:[1,1,0] op_sel_hi:[0,1,1] neg_lo:[1,0,0]
	v_pk_fma_f32 v[0:1], v[22:23], v[92:93], v[0:1] op_sel:[0,1,0]
	s_and_not1_b32 exec_lo, exec_lo, s4
	s_cbranch_execnz .LBB100_5
; %bb.6:
	s_or_b32 exec_lo, exec_lo, s4
.LBB100_7:
	s_delay_alu instid0(SALU_CYCLE_1)
	s_or_b32 exec_lo, exec_lo, s3
	s_cbranch_execz .LBB100_9
	s_branch .LBB100_14
.LBB100_8:
                                        ; implicit-def: $vgpr9
                                        ; implicit-def: $vgpr1
                                        ; implicit-def: $vgpr11
                                        ; implicit-def: $vgpr13
.LBB100_9:
	v_mov_b32_e32 v9, 0
	s_delay_alu instid0(VALU_DEP_1)
	v_dual_mov_b32 v8, v9 :: v_dual_mov_b32 v1, v9
	v_dual_mov_b32 v0, v9 :: v_dual_mov_b32 v11, v9
	;; [unrolled: 1-line block ×3, first 2 shown]
	v_mov_b32_e32 v12, v9
	s_and_saveexec_b32 s3, s2
	s_cbranch_execz .LBB100_13
; %bb.10:
	v_mad_u32 v16, v19, 28, 27
	v_mov_b32_e32 v15, 0
	s_mov_b32 s2, 0
	s_delay_alu instid0(VALU_DEP_1)
	v_dual_mov_b32 v0, v15 :: v_dual_mov_b32 v1, v15
	v_dual_mov_b32 v10, v15 :: v_dual_mov_b32 v11, v15
	;; [unrolled: 1-line block ×4, first 2 shown]
.LBB100_11:                             ; =>This Inner Loop Header: Depth=1
	global_load_b32 v17, v19, s[6:7] scale_offset
	v_subrev_nc_u32_e32 v14, 27, v16
	v_subrev_nc_u32_e32 v20, 20, v16
	v_dual_add_nc_u32 v21, -13, v16 :: v_dual_add_nc_u32 v22, -6, v16
	v_subrev_nc_u32_e32 v23, 19, v16
	s_delay_alu instid0(VALU_DEP_4)
	v_lshl_add_u64 v[28:29], v[14:15], 3, s[8:9]
	v_dual_add_nc_u32 v24, -12, v16 :: v_dual_add_nc_u32 v25, -5, v16
	v_subrev_nc_u32_e32 v26, 18, v16
	v_dual_add_nc_u32 v27, -11, v16 :: v_dual_add_nc_u32 v60, -4, v16
	v_subrev_nc_u32_e32 v61, 17, v16
	;; [unrolled: 2-line block ×4, first 2 shown]
	v_dual_add_nc_u32 v79, -2, v16 :: v_dual_add_nc_u32 v80, -15, v16
	v_dual_add_nc_u32 v81, -8, v16 :: v_dual_add_nc_u32 v82, -1, v16
	v_subrev_nc_u32_e32 v83, 21, v16
	v_dual_add_nc_u32 v84, -14, v16 :: v_dual_add_nc_u32 v85, -7, v16
	s_clause 0x19
	global_load_b64 v[30:31], v20, s[8:9] scale_offset
	global_load_b64 v[32:33], v21, s[8:9] scale_offset
	;; [unrolled: 1-line block ×15, first 2 shown]
	; meta instruction
	; meta instruction
	;; [unrolled: 1-line block ×15, first 2 shown]
	global_load_b64 v[60:61], v78, s[8:9] scale_offset
	global_load_b64 v[62:63], v79, s[8:9] scale_offset
	;; [unrolled: 1-line block ×9, first 2 shown]
	global_load_b128 v[20:23], v[28:29], off
	global_load_b128 v[24:27], v[28:29], off offset:16
	v_add_nc_u32_e32 v19, 8, v19
	s_wait_xcnt 0x2
	v_add_nc_u32_e32 v16, 0xe0, v16
	s_delay_alu instid0(VALU_DEP_2) | instskip(SKIP_3) | instid1(VALU_DEP_1)
	v_cmp_ge_i32_e32 vcc_lo, v19, v18
	s_or_b32 s2, vcc_lo, s2
	s_wait_loadcnt 0x1a
	v_subrev_nc_u32_e32 v14, s12, v17
	v_mul_lo_u32 v14, v14, 7
	global_load_b64 v[28:29], v14, s[10:11] scale_offset
	v_dual_add_nc_u32 v17, 1, v14 :: v_dual_add_nc_u32 v80, 2, v14
	v_add_nc_u32_e32 v81, 3, v14
	global_load_b64 v[78:79], v17, s[10:11] scale_offset
	s_wait_xcnt 0x0
	v_add_nc_u32_e32 v17, 4, v14
	s_wait_loadcnt 0x1
	v_pk_fma_f32 v[12:13], v[30:31], v[28:29], v[12:13] op_sel_hi:[1,0,1]
	v_pk_fma_f32 v[10:11], v[32:33], v[28:29], v[10:11] op_sel_hi:[1,0,1]
	;; [unrolled: 1-line block ×4, first 2 shown]
	s_delay_alu instid0(VALU_DEP_4)
	v_pk_fma_f32 v[12:13], v[30:31], v[28:29], v[12:13] op_sel:[1,1,0] op_sel_hi:[0,1,1] neg_lo:[1,0,0]
	global_load_b64 v[30:31], v80, s[10:11] scale_offset
	v_pk_fma_f32 v[10:11], v[32:33], v[28:29], v[10:11] op_sel:[1,1,0] op_sel_hi:[0,1,1] neg_lo:[1,0,0]
	global_load_b64 v[32:33], v81, s[10:11] scale_offset
	;; [unrolled: 2-line block ×3, first 2 shown]
	s_wait_xcnt 0x2
	v_add_nc_u32_e32 v80, 5, v14
	v_pk_fma_f32 v[8:9], v[20:21], v[28:29], v[8:9] op_sel:[1,1,0] op_sel_hi:[0,1,1] neg_lo:[1,0,0]
	v_mov_b32_e32 v21, v22
	v_xor_b32_e32 v20, 0x80000000, v23
	v_add_nc_u32_e32 v14, 6, v14
	global_load_b64 v[28:29], v80, s[10:11] scale_offset
	s_wait_loadcnt 0x4
	v_pk_fma_f32 v[8:9], v[22:23], v[78:79], v[8:9] op_sel_hi:[1,0,1]
	v_pk_fma_f32 v[12:13], v[36:37], v[78:79], v[12:13] op_sel_hi:[1,0,1]
	;; [unrolled: 1-line block ×4, first 2 shown]
	s_delay_alu instid0(VALU_DEP_4)
	v_pk_fma_f32 v[8:9], v[20:21], v[78:79], v[8:9] op_sel:[0,1,0]
	v_mov_b32_e32 v21, v26
	global_load_b64 v[22:23], v14, s[10:11] scale_offset
	v_pk_fma_f32 v[12:13], v[36:37], v[78:79], v[12:13] op_sel:[1,1,0] op_sel_hi:[0,1,1] neg_lo:[1,0,0]
	v_pk_fma_f32 v[10:11], v[38:39], v[78:79], v[10:11] op_sel:[1,1,0] op_sel_hi:[0,1,1] neg_lo:[1,0,0]
	;; [unrolled: 1-line block ×3, first 2 shown]
	v_xor_b32_e32 v20, 0x80000000, v27
	s_wait_loadcnt 0x4
	v_pk_fma_f32 v[8:9], v[24:25], v[30:31], v[8:9] op_sel_hi:[1,0,1]
	v_pk_fma_f32 v[12:13], v[42:43], v[30:31], v[12:13] op_sel_hi:[1,0,1]
	;; [unrolled: 1-line block ×4, first 2 shown]
	s_delay_alu instid0(VALU_DEP_4) | instskip(NEXT) | instid1(VALU_DEP_4)
	v_pk_fma_f32 v[8:9], v[24:25], v[30:31], v[8:9] op_sel:[1,1,0] op_sel_hi:[0,1,1] neg_lo:[1,0,0]
	v_pk_fma_f32 v[12:13], v[42:43], v[30:31], v[12:13] op_sel:[1,1,0] op_sel_hi:[0,1,1] neg_lo:[1,0,0]
	s_delay_alu instid0(VALU_DEP_4) | instskip(NEXT) | instid1(VALU_DEP_4)
	v_pk_fma_f32 v[10:11], v[44:45], v[30:31], v[10:11] op_sel:[1,1,0] op_sel_hi:[0,1,1] neg_lo:[1,0,0]
	v_pk_fma_f32 v[0:1], v[46:47], v[30:31], v[0:1] op_sel:[1,1,0] op_sel_hi:[0,1,1] neg_lo:[1,0,0]
	s_wait_loadcnt 0x3
	v_pk_fma_f32 v[8:9], v[26:27], v[32:33], v[8:9] op_sel_hi:[1,0,1]
	v_pk_fma_f32 v[12:13], v[50:51], v[32:33], v[12:13] op_sel_hi:[1,0,1]
	;; [unrolled: 1-line block ×4, first 2 shown]
	s_delay_alu instid0(VALU_DEP_4) | instskip(NEXT) | instid1(VALU_DEP_4)
	v_pk_fma_f32 v[8:9], v[20:21], v[32:33], v[8:9] op_sel:[0,1,0]
	v_pk_fma_f32 v[12:13], v[50:51], v[32:33], v[12:13] op_sel:[1,1,0] op_sel_hi:[0,1,1] neg_lo:[1,0,0]
	s_delay_alu instid0(VALU_DEP_4) | instskip(NEXT) | instid1(VALU_DEP_4)
	v_pk_fma_f32 v[10:11], v[52:53], v[32:33], v[10:11] op_sel:[1,1,0] op_sel_hi:[0,1,1] neg_lo:[1,0,0]
	v_pk_fma_f32 v[0:1], v[54:55], v[32:33], v[0:1] op_sel:[1,1,0] op_sel_hi:[0,1,1] neg_lo:[1,0,0]
	s_wait_loadcnt 0x2
	v_pk_fma_f32 v[8:9], v[48:49], v[34:35], v[8:9] op_sel_hi:[1,0,1]
	v_pk_fma_f32 v[12:13], v[58:59], v[34:35], v[12:13] op_sel_hi:[1,0,1]
	v_pk_fma_f32 v[10:11], v[60:61], v[34:35], v[10:11] op_sel_hi:[1,0,1]
	v_pk_fma_f32 v[0:1], v[62:63], v[34:35], v[0:1] op_sel_hi:[1,0,1]
	s_delay_alu instid0(VALU_DEP_4) | instskip(NEXT) | instid1(VALU_DEP_4)
	v_pk_fma_f32 v[8:9], v[48:49], v[34:35], v[8:9] op_sel:[1,1,0] op_sel_hi:[0,1,1] neg_lo:[1,0,0]
	v_pk_fma_f32 v[12:13], v[58:59], v[34:35], v[12:13] op_sel:[1,1,0] op_sel_hi:[0,1,1] neg_lo:[1,0,0]
	s_delay_alu instid0(VALU_DEP_4) | instskip(NEXT) | instid1(VALU_DEP_4)
	v_pk_fma_f32 v[10:11], v[60:61], v[34:35], v[10:11] op_sel:[1,1,0] op_sel_hi:[0,1,1] neg_lo:[1,0,0]
	v_pk_fma_f32 v[0:1], v[62:63], v[34:35], v[0:1] op_sel:[1,1,0] op_sel_hi:[0,1,1] neg_lo:[1,0,0]
	s_wait_loadcnt 0x1
	v_pk_fma_f32 v[8:9], v[56:57], v[28:29], v[8:9] op_sel_hi:[1,0,1]
	v_pk_fma_f32 v[12:13], v[66:67], v[28:29], v[12:13] op_sel_hi:[1,0,1]
	v_pk_fma_f32 v[10:11], v[68:69], v[28:29], v[10:11] op_sel_hi:[1,0,1]
	v_pk_fma_f32 v[0:1], v[70:71], v[28:29], v[0:1] op_sel_hi:[1,0,1]
	s_delay_alu instid0(VALU_DEP_4) | instskip(NEXT) | instid1(VALU_DEP_4)
	v_pk_fma_f32 v[8:9], v[56:57], v[28:29], v[8:9] op_sel:[1,1,0] op_sel_hi:[0,1,1] neg_lo:[1,0,0]
	;; [unrolled: 11-line block ×3, first 2 shown]
	v_pk_fma_f32 v[12:13], v[72:73], v[22:23], v[12:13] op_sel:[1,1,0] op_sel_hi:[0,1,1] neg_lo:[1,0,0]
	s_delay_alu instid0(VALU_DEP_4) | instskip(NEXT) | instid1(VALU_DEP_4)
	v_pk_fma_f32 v[10:11], v[74:75], v[22:23], v[10:11] op_sel:[1,1,0] op_sel_hi:[0,1,1] neg_lo:[1,0,0]
	v_pk_fma_f32 v[0:1], v[76:77], v[22:23], v[0:1] op_sel:[1,1,0] op_sel_hi:[0,1,1] neg_lo:[1,0,0]
	s_and_not1_b32 exec_lo, exec_lo, s2
	s_cbranch_execnz .LBB100_11
; %bb.12:
	s_or_b32 exec_lo, exec_lo, s2
.LBB100_13:
	s_delay_alu instid0(SALU_CYCLE_1)
	s_or_b32 exec_lo, exec_lo, s3
.LBB100_14:
	v_mbcnt_lo_u32_b32 v14, -1, 0
	s_delay_alu instid0(VALU_DEP_1) | instskip(SKIP_1) | instid1(VALU_DEP_1)
	v_xor_b32_e32 v23, 2, v14
	v_xor_b32_e32 v15, 4, v14
	v_cmp_gt_i32_e32 vcc_lo, 32, v15
	v_cndmask_b32_e32 v15, v14, v15, vcc_lo
	s_delay_alu instid0(VALU_DEP_1)
	v_lshlrev_b32_e32 v15, 2, v15
	ds_bpermute_b32 v17, v15, v9
	s_wait_dscnt 0x0
	v_add_f32_e32 v9, v9, v17
	ds_bpermute_b32 v19, v15, v13
	ds_bpermute_b32 v16, v15, v8
	ds_bpermute_b32 v18, v15, v12
	ds_bpermute_b32 v22, v15, v0
	ds_bpermute_b32 v20, v15, v10
	ds_bpermute_b32 v21, v15, v11
	ds_bpermute_b32 v15, v15, v1
	s_wait_dscnt 0x6
	v_add_f32_e32 v13, v13, v19
	v_cmp_gt_i32_e32 vcc_lo, 32, v23
	s_wait_dscnt 0x5
	v_add_f32_e32 v8, v8, v16
	s_wait_dscnt 0x4
	v_add_f32_e32 v12, v12, v18
	s_wait_dscnt 0x2
	v_dual_add_f32 v18, v0, v22 :: v_dual_add_f32 v16, v10, v20
	s_wait_dscnt 0x1
	v_dual_add_f32 v17, v11, v21 :: v_dual_cndmask_b32 v23, v14, v23, vcc_lo
	s_wait_dscnt 0x0
	v_add_f32_e32 v15, v1, v15
	s_delay_alu instid0(VALU_DEP_2)
	v_lshlrev_b32_e32 v23, 2, v23
	ds_bpermute_b32 v0, v23, v8
	ds_bpermute_b32 v1, v23, v9
	;; [unrolled: 1-line block ×8, first 2 shown]
	s_wait_dscnt 0x7
	v_dual_add_f32 v0, v8, v0 :: v_dual_bitop2_b32 v23, 1, v14 bitop3:0x14
	s_delay_alu instid0(VALU_DEP_1)
	v_cmp_gt_i32_e32 vcc_lo, 32, v23
	s_wait_dscnt 0x5
	v_dual_add_f32 v8, v9, v1 :: v_dual_add_f32 v10, v12, v10
	s_wait_dscnt 0x3
	v_add_f32_e32 v12, v16, v19
	v_add_f32_e32 v11, v13, v11
	s_wait_dscnt 0x2
	v_dual_cndmask_b32 v14, v14, v23 :: v_dual_add_f32 v13, v17, v20
	s_wait_dscnt 0x0
	v_dual_add_f32 v1, v18, v21 :: v_dual_add_f32 v9, v15, v22
	v_cmp_eq_u32_e32 vcc_lo, 7, v7
	s_delay_alu instid0(VALU_DEP_3)
	v_lshlrev_b32_e32 v23, 2, v14
	ds_bpermute_b32 v16, v23, v0
	ds_bpermute_b32 v17, v23, v8
	;; [unrolled: 1-line block ×8, first 2 shown]
	s_and_b32 exec_lo, exec_lo, vcc_lo
	s_cbranch_execz .LBB100_19
; %bb.15:
	s_load_b64 s[2:3], s[0:1], 0x38
	v_cmp_eq_f32_e32 vcc_lo, 0, v4
	s_wait_xcnt 0x0
	v_cmp_eq_f32_e64 s0, 0, v5
	s_wait_dscnt 0x7
	v_add_f32_e32 v0, v0, v16
	s_wait_dscnt 0x5
	v_dual_add_f32 v20, v8, v17 :: v_dual_add_f32 v8, v10, v18
	s_wait_dscnt 0x3
	v_dual_add_f32 v18, v11, v19 :: v_dual_add_f32 v10, v12, v21
	s_wait_dscnt 0x2
	v_add_f32_e32 v16, v13, v22
	s_wait_dscnt 0x1
	v_add_f32_e32 v12, v1, v14
	;; [unrolled: 2-line block ×3, first 2 shown]
	s_and_b32 s0, vcc_lo, s0
	s_delay_alu instid0(SALU_CYCLE_1) | instskip(NEXT) | instid1(SALU_CYCLE_1)
	s_and_saveexec_b32 s1, s0
	s_xor_b32 s0, exec_lo, s1
	s_cbranch_execz .LBB100_17
; %bb.16:
	v_xor_b32_e32 v4, 0x80000000, v3
	v_dual_mov_b32 v5, v2 :: v_dual_lshlrev_b32 v6, 2, v6
	s_delay_alu instid0(VALU_DEP_1) | instskip(NEXT) | instid1(VALU_DEP_2)
	v_ashrrev_i32_e32 v7, 31, v6
	v_pk_mul_f32 v[20:21], v[20:21], v[4:5] op_sel_hi:[0,1]
	v_pk_mul_f32 v[18:19], v[18:19], v[4:5] op_sel_hi:[0,1]
	;; [unrolled: 1-line block ×4, first 2 shown]
	s_wait_kmcnt 0x0
	v_lshl_add_u64 v[22:23], v[6:7], 3, s[2:3]
	v_pk_fma_f32 v[4:5], v[2:3], v[0:1], v[20:21] op_sel_hi:[1,0,1]
	v_pk_fma_f32 v[6:7], v[2:3], v[8:9], v[18:19] op_sel_hi:[1,0,1]
	;; [unrolled: 1-line block ×4, first 2 shown]
	s_clause 0x1
	global_store_b128 v[22:23], v[4:7], off
	global_store_b128 v[22:23], v[0:3], off offset:16
                                        ; implicit-def: $vgpr6
                                        ; implicit-def: $vgpr0
                                        ; implicit-def: $vgpr20
                                        ; implicit-def: $vgpr8
                                        ; implicit-def: $vgpr18
                                        ; implicit-def: $vgpr10
                                        ; implicit-def: $vgpr16
                                        ; implicit-def: $vgpr12
                                        ; implicit-def: $vgpr14
                                        ; implicit-def: $vgpr2_vgpr3
                                        ; implicit-def: $vgpr4_vgpr5
.LBB100_17:
	s_wait_xcnt 0x0
	s_and_not1_saveexec_b32 s0, s0
	s_cbranch_execz .LBB100_19
; %bb.18:
	v_lshlrev_b32_e32 v6, 2, v6
	v_xor_b32_e32 v32, 0x80000000, v5
	s_delay_alu instid0(VALU_DEP_2) | instskip(SKIP_1) | instid1(VALU_DEP_1)
	v_dual_mov_b32 v33, v4 :: v_dual_ashrrev_i32 v7, 31, v6
	s_wait_kmcnt 0x0
	v_lshl_add_u64 v[30:31], v[6:7], 3, s[2:3]
	v_xor_b32_e32 v6, 0x80000000, v3
	v_mov_b32_e32 v7, v2
	s_clause 0x1
	global_load_b128 v[22:25], v[30:31], off
	global_load_b128 v[26:29], v[30:31], off offset:16
	v_pk_mul_f32 v[20:21], v[20:21], v[6:7] op_sel_hi:[0,1]
	v_pk_mul_f32 v[18:19], v[18:19], v[6:7] op_sel_hi:[0,1]
	;; [unrolled: 1-line block ×4, first 2 shown]
	s_delay_alu instid0(VALU_DEP_4) | instskip(NEXT) | instid1(VALU_DEP_4)
	v_pk_fma_f32 v[0:1], v[2:3], v[0:1], v[20:21] op_sel_hi:[1,0,1]
	v_pk_fma_f32 v[8:9], v[2:3], v[8:9], v[18:19] op_sel_hi:[1,0,1]
	s_delay_alu instid0(VALU_DEP_4) | instskip(NEXT) | instid1(VALU_DEP_4)
	v_pk_fma_f32 v[10:11], v[2:3], v[10:11], v[16:17] op_sel_hi:[1,0,1]
	v_pk_fma_f32 v[2:3], v[2:3], v[12:13], v[6:7] op_sel_hi:[1,0,1]
	s_wait_loadcnt 0x1
	v_pk_fma_f32 v[0:1], v[4:5], v[22:23], v[0:1] op_sel_hi:[1,0,1]
	v_pk_fma_f32 v[6:7], v[4:5], v[24:25], v[8:9] op_sel_hi:[1,0,1]
	s_wait_loadcnt 0x0
	v_dual_mov_b32 v8, v25 :: v_dual_mov_b32 v14, v29
	v_pk_fma_f32 v[10:11], v[4:5], v[26:27], v[10:11] op_sel_hi:[1,0,1]
	v_pk_fma_f32 v[12:13], v[4:5], v[28:29], v[2:3] op_sel_hi:[1,0,1]
	v_pk_fma_f32 v[0:1], v[32:33], v[22:23], v[0:1] op_sel:[0,1,0]
	s_delay_alu instid0(VALU_DEP_4) | instskip(NEXT) | instid1(VALU_DEP_4)
	v_pk_fma_f32 v[2:3], v[32:33], v[8:9], v[6:7] op_sel_hi:[1,0,1]
	v_pk_fma_f32 v[4:5], v[32:33], v[26:27], v[10:11] op_sel:[0,1,0]
	s_delay_alu instid0(VALU_DEP_4)
	v_pk_fma_f32 v[6:7], v[32:33], v[14:15], v[12:13] op_sel_hi:[1,0,1]
	s_clause 0x1
	global_store_b128 v[30:31], v[0:3], off
	global_store_b128 v[30:31], v[4:7], off offset:16
.LBB100_19:
	s_sendmsg sendmsg(MSG_DEALLOC_VGPRS)
	s_endpgm
	.section	.rodata,"a",@progbits
	.p2align	6, 0x0
	.amdhsa_kernel _ZN9rocsparseL19gebsrmvn_4xn_kernelILj128ELj7ELj8E21rocsparse_complex_numIfEEEvi20rocsparse_direction_NS_24const_host_device_scalarIT2_EEPKiS8_PKS5_SA_S6_PS5_21rocsparse_index_base_b
		.amdhsa_group_segment_fixed_size 0
		.amdhsa_private_segment_fixed_size 0
		.amdhsa_kernarg_size 72
		.amdhsa_user_sgpr_count 2
		.amdhsa_user_sgpr_dispatch_ptr 0
		.amdhsa_user_sgpr_queue_ptr 0
		.amdhsa_user_sgpr_kernarg_segment_ptr 1
		.amdhsa_user_sgpr_dispatch_id 0
		.amdhsa_user_sgpr_kernarg_preload_length 0
		.amdhsa_user_sgpr_kernarg_preload_offset 0
		.amdhsa_user_sgpr_private_segment_size 0
		.amdhsa_wavefront_size32 1
		.amdhsa_uses_dynamic_stack 0
		.amdhsa_enable_private_segment 0
		.amdhsa_system_sgpr_workgroup_id_x 1
		.amdhsa_system_sgpr_workgroup_id_y 0
		.amdhsa_system_sgpr_workgroup_id_z 0
		.amdhsa_system_sgpr_workgroup_info 0
		.amdhsa_system_vgpr_workitem_id 0
		.amdhsa_next_free_vgpr 100
		.amdhsa_next_free_sgpr 14
		.amdhsa_named_barrier_count 0
		.amdhsa_reserve_vcc 1
		.amdhsa_float_round_mode_32 0
		.amdhsa_float_round_mode_16_64 0
		.amdhsa_float_denorm_mode_32 3
		.amdhsa_float_denorm_mode_16_64 3
		.amdhsa_fp16_overflow 0
		.amdhsa_memory_ordered 1
		.amdhsa_forward_progress 1
		.amdhsa_inst_pref_size 30
		.amdhsa_round_robin_scheduling 0
		.amdhsa_exception_fp_ieee_invalid_op 0
		.amdhsa_exception_fp_denorm_src 0
		.amdhsa_exception_fp_ieee_div_zero 0
		.amdhsa_exception_fp_ieee_overflow 0
		.amdhsa_exception_fp_ieee_underflow 0
		.amdhsa_exception_fp_ieee_inexact 0
		.amdhsa_exception_int_div_zero 0
	.end_amdhsa_kernel
	.section	.text._ZN9rocsparseL19gebsrmvn_4xn_kernelILj128ELj7ELj8E21rocsparse_complex_numIfEEEvi20rocsparse_direction_NS_24const_host_device_scalarIT2_EEPKiS8_PKS5_SA_S6_PS5_21rocsparse_index_base_b,"axG",@progbits,_ZN9rocsparseL19gebsrmvn_4xn_kernelILj128ELj7ELj8E21rocsparse_complex_numIfEEEvi20rocsparse_direction_NS_24const_host_device_scalarIT2_EEPKiS8_PKS5_SA_S6_PS5_21rocsparse_index_base_b,comdat
.Lfunc_end100:
	.size	_ZN9rocsparseL19gebsrmvn_4xn_kernelILj128ELj7ELj8E21rocsparse_complex_numIfEEEvi20rocsparse_direction_NS_24const_host_device_scalarIT2_EEPKiS8_PKS5_SA_S6_PS5_21rocsparse_index_base_b, .Lfunc_end100-_ZN9rocsparseL19gebsrmvn_4xn_kernelILj128ELj7ELj8E21rocsparse_complex_numIfEEEvi20rocsparse_direction_NS_24const_host_device_scalarIT2_EEPKiS8_PKS5_SA_S6_PS5_21rocsparse_index_base_b
                                        ; -- End function
	.set _ZN9rocsparseL19gebsrmvn_4xn_kernelILj128ELj7ELj8E21rocsparse_complex_numIfEEEvi20rocsparse_direction_NS_24const_host_device_scalarIT2_EEPKiS8_PKS5_SA_S6_PS5_21rocsparse_index_base_b.num_vgpr, 100
	.set _ZN9rocsparseL19gebsrmvn_4xn_kernelILj128ELj7ELj8E21rocsparse_complex_numIfEEEvi20rocsparse_direction_NS_24const_host_device_scalarIT2_EEPKiS8_PKS5_SA_S6_PS5_21rocsparse_index_base_b.num_agpr, 0
	.set _ZN9rocsparseL19gebsrmvn_4xn_kernelILj128ELj7ELj8E21rocsparse_complex_numIfEEEvi20rocsparse_direction_NS_24const_host_device_scalarIT2_EEPKiS8_PKS5_SA_S6_PS5_21rocsparse_index_base_b.numbered_sgpr, 14
	.set _ZN9rocsparseL19gebsrmvn_4xn_kernelILj128ELj7ELj8E21rocsparse_complex_numIfEEEvi20rocsparse_direction_NS_24const_host_device_scalarIT2_EEPKiS8_PKS5_SA_S6_PS5_21rocsparse_index_base_b.num_named_barrier, 0
	.set _ZN9rocsparseL19gebsrmvn_4xn_kernelILj128ELj7ELj8E21rocsparse_complex_numIfEEEvi20rocsparse_direction_NS_24const_host_device_scalarIT2_EEPKiS8_PKS5_SA_S6_PS5_21rocsparse_index_base_b.private_seg_size, 0
	.set _ZN9rocsparseL19gebsrmvn_4xn_kernelILj128ELj7ELj8E21rocsparse_complex_numIfEEEvi20rocsparse_direction_NS_24const_host_device_scalarIT2_EEPKiS8_PKS5_SA_S6_PS5_21rocsparse_index_base_b.uses_vcc, 1
	.set _ZN9rocsparseL19gebsrmvn_4xn_kernelILj128ELj7ELj8E21rocsparse_complex_numIfEEEvi20rocsparse_direction_NS_24const_host_device_scalarIT2_EEPKiS8_PKS5_SA_S6_PS5_21rocsparse_index_base_b.uses_flat_scratch, 1
	.set _ZN9rocsparseL19gebsrmvn_4xn_kernelILj128ELj7ELj8E21rocsparse_complex_numIfEEEvi20rocsparse_direction_NS_24const_host_device_scalarIT2_EEPKiS8_PKS5_SA_S6_PS5_21rocsparse_index_base_b.has_dyn_sized_stack, 0
	.set _ZN9rocsparseL19gebsrmvn_4xn_kernelILj128ELj7ELj8E21rocsparse_complex_numIfEEEvi20rocsparse_direction_NS_24const_host_device_scalarIT2_EEPKiS8_PKS5_SA_S6_PS5_21rocsparse_index_base_b.has_recursion, 0
	.set _ZN9rocsparseL19gebsrmvn_4xn_kernelILj128ELj7ELj8E21rocsparse_complex_numIfEEEvi20rocsparse_direction_NS_24const_host_device_scalarIT2_EEPKiS8_PKS5_SA_S6_PS5_21rocsparse_index_base_b.has_indirect_call, 0
	.section	.AMDGPU.csdata,"",@progbits
; Kernel info:
; codeLenInByte = 3836
; TotalNumSgprs: 16
; NumVgprs: 100
; ScratchSize: 0
; MemoryBound: 0
; FloatMode: 240
; IeeeMode: 1
; LDSByteSize: 0 bytes/workgroup (compile time only)
; SGPRBlocks: 0
; VGPRBlocks: 6
; NumSGPRsForWavesPerEU: 16
; NumVGPRsForWavesPerEU: 100
; NamedBarCnt: 0
; Occupancy: 9
; WaveLimiterHint : 1
; COMPUTE_PGM_RSRC2:SCRATCH_EN: 0
; COMPUTE_PGM_RSRC2:USER_SGPR: 2
; COMPUTE_PGM_RSRC2:TRAP_HANDLER: 0
; COMPUTE_PGM_RSRC2:TGID_X_EN: 1
; COMPUTE_PGM_RSRC2:TGID_Y_EN: 0
; COMPUTE_PGM_RSRC2:TGID_Z_EN: 0
; COMPUTE_PGM_RSRC2:TIDIG_COMP_CNT: 0
	.section	.text._ZN9rocsparseL19gebsrmvn_4xn_kernelILj128ELj7ELj16E21rocsparse_complex_numIfEEEvi20rocsparse_direction_NS_24const_host_device_scalarIT2_EEPKiS8_PKS5_SA_S6_PS5_21rocsparse_index_base_b,"axG",@progbits,_ZN9rocsparseL19gebsrmvn_4xn_kernelILj128ELj7ELj16E21rocsparse_complex_numIfEEEvi20rocsparse_direction_NS_24const_host_device_scalarIT2_EEPKiS8_PKS5_SA_S6_PS5_21rocsparse_index_base_b,comdat
	.globl	_ZN9rocsparseL19gebsrmvn_4xn_kernelILj128ELj7ELj16E21rocsparse_complex_numIfEEEvi20rocsparse_direction_NS_24const_host_device_scalarIT2_EEPKiS8_PKS5_SA_S6_PS5_21rocsparse_index_base_b ; -- Begin function _ZN9rocsparseL19gebsrmvn_4xn_kernelILj128ELj7ELj16E21rocsparse_complex_numIfEEEvi20rocsparse_direction_NS_24const_host_device_scalarIT2_EEPKiS8_PKS5_SA_S6_PS5_21rocsparse_index_base_b
	.p2align	8
	.type	_ZN9rocsparseL19gebsrmvn_4xn_kernelILj128ELj7ELj16E21rocsparse_complex_numIfEEEvi20rocsparse_direction_NS_24const_host_device_scalarIT2_EEPKiS8_PKS5_SA_S6_PS5_21rocsparse_index_base_b,@function
_ZN9rocsparseL19gebsrmvn_4xn_kernelILj128ELj7ELj16E21rocsparse_complex_numIfEEEvi20rocsparse_direction_NS_24const_host_device_scalarIT2_EEPKiS8_PKS5_SA_S6_PS5_21rocsparse_index_base_b: ; @_ZN9rocsparseL19gebsrmvn_4xn_kernelILj128ELj7ELj16E21rocsparse_complex_numIfEEEvi20rocsparse_direction_NS_24const_host_device_scalarIT2_EEPKiS8_PKS5_SA_S6_PS5_21rocsparse_index_base_b
; %bb.0:
	s_clause 0x2
	s_load_b64 s[12:13], s[0:1], 0x40
	s_load_b64 s[2:3], s[0:1], 0x8
	;; [unrolled: 1-line block ×3, first 2 shown]
	v_mov_b32_e32 v1, 0
	s_add_nc_u64 s[6:7], s[0:1], 8
	s_add_nc_u64 s[8:9], s[0:1], 48
	s_wait_kmcnt 0x0
	s_bitcmp1_b32 s13, 0
	s_cselect_b32 s3, s7, s3
	s_cselect_b32 s2, s6, s2
	;; [unrolled: 1-line block ×4, first 2 shown]
	s_clause 0x1
	flat_load_b64 v[2:3], v1, s[2:3]
	flat_load_b64 v[4:5], v1, s[4:5]
	s_wait_loadcnt_dscnt 0x101
	v_cmp_eq_f32_e32 vcc_lo, 0, v2
	v_cmp_eq_f32_e64 s2, 0, v3
	s_wait_loadcnt_dscnt 0x0
	v_cmp_eq_f32_e64 s3, 1.0, v4
	v_cmp_eq_f32_e64 s4, 0, v5
	s_and_b32 s2, vcc_lo, s2
	s_and_b32 s3, s3, s4
	s_delay_alu instid0(SALU_CYCLE_1) | instskip(NEXT) | instid1(SALU_CYCLE_1)
	s_and_b32 s2, s2, s3
	s_xor_b32 s2, s2, -1
	s_delay_alu instid0(SALU_CYCLE_1)
	s_and_saveexec_b32 s3, s2
	s_cbranch_execz .LBB101_19
; %bb.1:
	s_load_b64 s[2:3], s[0:1], 0x0
	s_bfe_u32 s4, ttmp6, 0x4000c
	s_and_b32 s5, ttmp6, 15
	s_add_co_i32 s4, s4, 1
	s_getreg_b32 s6, hwreg(HW_REG_IB_STS2, 6, 4)
	s_mul_i32 s4, ttmp9, s4
	v_lshrrev_b32_e32 v1, 4, v0
	s_add_co_i32 s5, s5, s4
	s_cmp_eq_u32 s6, 0
	s_cselect_b32 s4, ttmp9, s5
	s_delay_alu instid0(VALU_DEP_1) | instid1(SALU_CYCLE_1)
	v_lshl_or_b32 v6, s4, 3, v1
	s_wait_kmcnt 0x0
	s_delay_alu instid0(VALU_DEP_1)
	v_cmp_gt_i32_e32 vcc_lo, s2, v6
	s_and_b32 exec_lo, exec_lo, vcc_lo
	s_cbranch_execz .LBB101_19
; %bb.2:
	s_load_b256 s[4:11], s[0:1], 0x10
	v_ashrrev_i32_e32 v7, 31, v6
	s_cmp_lg_u32 s3, 0
	s_wait_kmcnt 0x0
	s_delay_alu instid0(VALU_DEP_1)
	v_lshl_add_u64 v[8:9], v[6:7], 2, s[4:5]
	v_and_b32_e32 v7, 15, v0
	global_load_b64 v[8:9], v[8:9], off
	s_wait_loadcnt 0x0
	v_subrev_nc_u32_e32 v0, s12, v8
	v_subrev_nc_u32_e32 v18, s12, v9
	s_delay_alu instid0(VALU_DEP_2) | instskip(NEXT) | instid1(VALU_DEP_1)
	v_add_nc_u32_e32 v19, v0, v7
	v_cmp_lt_i32_e64 s2, v19, v18
	s_cbranch_scc0 .LBB101_8
; %bb.3:
	v_mov_b32_e32 v9, 0
	s_delay_alu instid0(VALU_DEP_1)
	v_dual_mov_b32 v8, v9 :: v_dual_mov_b32 v1, v9
	v_dual_mov_b32 v0, v9 :: v_dual_mov_b32 v11, v9
	;; [unrolled: 1-line block ×3, first 2 shown]
	v_mov_b32_e32 v12, v9
	s_and_saveexec_b32 s3, s2
	s_cbranch_execz .LBB101_7
; %bb.4:
	v_mad_u32 v16, v19, 28, 24
	v_dual_mov_b32 v15, 0 :: v_dual_mov_b32 v20, v19
	s_mov_b32 s4, 0
	s_delay_alu instid0(VALU_DEP_1)
	v_dual_mov_b32 v0, v15 :: v_dual_mov_b32 v1, v15
	v_dual_mov_b32 v10, v15 :: v_dual_mov_b32 v11, v15
	;; [unrolled: 1-line block ×4, first 2 shown]
.LBB101_5:                              ; =>This Inner Loop Header: Depth=1
	global_load_b32 v21, v20, s[6:7] scale_offset
	v_subrev_nc_u32_e32 v14, 24, v16
	s_wait_xcnt 0x0
	v_dual_mov_b32 v17, v15 :: v_dual_add_nc_u32 v20, 16, v20
	s_delay_alu instid0(VALU_DEP_2) | instskip(SKIP_1) | instid1(VALU_DEP_3)
	v_lshl_add_u64 v[34:35], v[14:15], 3, s[8:9]
	v_subrev_nc_u32_e32 v14, 20, v16
	v_cmp_ge_i32_e32 vcc_lo, v20, v18
	s_delay_alu instid0(VALU_DEP_2)
	v_lshl_add_u64 v[42:43], v[14:15], 3, s[8:9]
	v_add_nc_u32_e32 v14, -16, v16
	v_lshl_add_u64 v[78:79], v[16:17], 3, s[8:9]
	s_clause 0x2
	global_load_b128 v[22:25], v[34:35], off
	global_load_b128 v[26:29], v[34:35], off offset:16
	global_load_b128 v[30:33], v[78:79], off
	v_lshl_add_u64 v[50:51], v[14:15], 3, s[8:9]
	v_add_nc_u32_e32 v14, -12, v16
	s_clause 0x3
	global_load_b128 v[34:37], v[42:43], off offset:16
	global_load_b128 v[38:41], v[42:43], off
	global_load_b128 v[42:45], v[50:51], off offset:16
	global_load_b128 v[46:49], v[50:51], off
	v_lshl_add_u64 v[58:59], v[14:15], 3, s[8:9]
	v_add_nc_u32_e32 v14, -8, v16
	s_or_b32 s4, vcc_lo, s4
	global_load_b128 v[50:53], v[58:59], off offset:16
	v_lshl_add_u64 v[66:67], v[14:15], 3, s[8:9]
	s_wait_loadcnt 0x8
	v_subrev_nc_u32_e32 v14, s12, v21
	s_delay_alu instid0(VALU_DEP_1)
	v_mul_lo_u32 v17, v14, 7
	global_load_b64 v[80:81], v17, s[10:11] scale_offset
	global_load_b128 v[54:57], v[58:59], off
	v_add_nc_u32_e32 v21, 1, v17
	global_load_b64 v[82:83], v21, s[10:11] scale_offset
	global_load_b128 v[58:61], v[66:67], off
	s_wait_xcnt 0x1
	v_add_nc_u32_e32 v21, 2, v17
	global_load_b128 v[62:65], v[66:67], off offset:16
	global_load_b64 v[84:85], v21, s[10:11] scale_offset
	s_wait_xcnt 0x0
	v_dual_add_nc_u32 v14, -4, v16 :: v_dual_add_nc_u32 v21, 4, v17
	s_wait_loadcnt 0xc
	v_xor_b32_e32 v94, 0x80000000, v29
	s_wait_loadcnt 0xb
	v_dual_mov_b32 v95, v28 :: v_dual_mov_b32 v97, v32
	s_wait_loadcnt 0x9
	v_mov_b32_e32 v99, v40
	v_lshl_add_u64 v[74:75], v[14:15], 3, s[8:9]
	v_add_nc_u32_e32 v14, 3, v17
	global_load_b64 v[86:87], v14, s[10:11] scale_offset
	global_load_b128 v[66:69], v[74:75], off
	global_load_b64 v[88:89], v21, s[10:11] scale_offset
	global_load_b128 v[70:73], v[74:75], off offset:16
	s_wait_xcnt 0x3
	v_dual_add_nc_u32 v14, 5, v17 :: v_dual_add_nc_u32 v17, 6, v17
	global_load_b64 v[90:91], v14, s[10:11] scale_offset
	global_load_b128 v[74:77], v[78:79], off offset:16
	global_load_b64 v[92:93], v17, s[10:11] scale_offset
	s_wait_xcnt 0x1
	v_xor_b32_e32 v78, 0x80000000, v25
	v_mov_b32_e32 v79, v24
	v_xor_b32_e32 v98, 0x80000000, v41
	v_xor_b32_e32 v96, 0x80000000, v33
	v_add_nc_u32_e32 v16, 0x1c0, v16
	s_wait_loadcnt 0xc
	v_pk_fma_f32 v[8:9], v[22:23], v[80:81], v[8:9] op_sel_hi:[1,0,1]
	v_pk_fma_f32 v[12:13], v[24:25], v[80:81], v[12:13] op_sel_hi:[1,0,1]
	;; [unrolled: 1-line block ×4, first 2 shown]
	v_xor_b32_e32 v24, 0x80000000, v49
	v_pk_fma_f32 v[8:9], v[22:23], v[80:81], v[8:9] op_sel:[1,1,0] op_sel_hi:[0,1,1] neg_lo:[1,0,0]
	v_pk_fma_f32 v[12:13], v[78:79], v[80:81], v[12:13] op_sel:[0,1,0]
	v_pk_fma_f32 v[10:11], v[26:27], v[80:81], v[10:11] op_sel:[1,1,0] op_sel_hi:[0,1,1] neg_lo:[1,0,0]
	v_pk_fma_f32 v[0:1], v[94:95], v[80:81], v[0:1] op_sel:[0,1,0]
	v_xor_b32_e32 v22, 0x80000000, v37
	v_dual_mov_b32 v23, v36 :: v_dual_mov_b32 v25, v48
	s_wait_loadcnt 0xa
	v_pk_fma_f32 v[8:9], v[38:39], v[82:83], v[8:9] op_sel_hi:[1,0,1]
	v_pk_fma_f32 v[12:13], v[40:41], v[82:83], v[12:13] op_sel_hi:[1,0,1]
	;; [unrolled: 1-line block ×4, first 2 shown]
	v_xor_b32_e32 v26, 0x80000000, v45
	v_pk_fma_f32 v[8:9], v[38:39], v[82:83], v[8:9] op_sel:[1,1,0] op_sel_hi:[0,1,1] neg_lo:[1,0,0]
	v_pk_fma_f32 v[12:13], v[98:99], v[82:83], v[12:13] op_sel:[0,1,0]
	v_pk_fma_f32 v[10:11], v[34:35], v[82:83], v[10:11] op_sel:[1,1,0] op_sel_hi:[0,1,1] neg_lo:[1,0,0]
	v_pk_fma_f32 v[0:1], v[22:23], v[82:83], v[0:1] op_sel:[0,1,0]
	v_dual_mov_b32 v27, v44 :: v_dual_mov_b32 v29, v56
	s_wait_loadcnt 0x7
	v_pk_fma_f32 v[8:9], v[46:47], v[84:85], v[8:9] op_sel_hi:[1,0,1]
	v_pk_fma_f32 v[12:13], v[48:49], v[84:85], v[12:13] op_sel_hi:[1,0,1]
	v_pk_fma_f32 v[10:11], v[42:43], v[84:85], v[10:11] op_sel_hi:[1,0,1]
	v_pk_fma_f32 v[0:1], v[44:45], v[84:85], v[0:1] op_sel_hi:[1,0,1]
	v_xor_b32_e32 v28, 0x80000000, v57
	v_pk_fma_f32 v[8:9], v[46:47], v[84:85], v[8:9] op_sel:[1,1,0] op_sel_hi:[0,1,1] neg_lo:[1,0,0]
	v_pk_fma_f32 v[12:13], v[24:25], v[84:85], v[12:13] op_sel:[0,1,0]
	v_pk_fma_f32 v[10:11], v[42:43], v[84:85], v[10:11] op_sel:[1,1,0] op_sel_hi:[0,1,1] neg_lo:[1,0,0]
	v_pk_fma_f32 v[0:1], v[26:27], v[84:85], v[0:1] op_sel:[0,1,0]
	v_xor_b32_e32 v78, 0x80000000, v53
	v_dual_mov_b32 v79, v52 :: v_dual_mov_b32 v37, v60
	s_wait_loadcnt 0x6
	v_pk_fma_f32 v[8:9], v[54:55], v[86:87], v[8:9] op_sel_hi:[1,0,1]
	v_pk_fma_f32 v[12:13], v[56:57], v[86:87], v[12:13] op_sel_hi:[1,0,1]
	v_pk_fma_f32 v[10:11], v[50:51], v[86:87], v[10:11] op_sel_hi:[1,0,1]
	v_pk_fma_f32 v[0:1], v[52:53], v[86:87], v[0:1] op_sel_hi:[1,0,1]
	v_xor_b32_e32 v36, 0x80000000, v61
	v_pk_fma_f32 v[8:9], v[54:55], v[86:87], v[8:9] op_sel:[1,1,0] op_sel_hi:[0,1,1] neg_lo:[1,0,0]
	v_pk_fma_f32 v[12:13], v[28:29], v[86:87], v[12:13] op_sel:[0,1,0]
	v_pk_fma_f32 v[10:11], v[50:51], v[86:87], v[10:11] op_sel:[1,1,0] op_sel_hi:[0,1,1] neg_lo:[1,0,0]
	v_pk_fma_f32 v[0:1], v[78:79], v[86:87], v[0:1] op_sel:[0,1,0]
	v_xor_b32_e32 v22, 0x80000000, v65
	s_wait_loadcnt 0x5
	v_dual_mov_b32 v23, v64 :: v_dual_mov_b32 v25, v68
	s_wait_loadcnt 0x4
	v_pk_fma_f32 v[8:9], v[58:59], v[88:89], v[8:9] op_sel_hi:[1,0,1]
	v_pk_fma_f32 v[12:13], v[60:61], v[88:89], v[12:13] op_sel_hi:[1,0,1]
	;; [unrolled: 1-line block ×4, first 2 shown]
	v_xor_b32_e32 v24, 0x80000000, v69
	v_pk_fma_f32 v[8:9], v[58:59], v[88:89], v[8:9] op_sel:[1,1,0] op_sel_hi:[0,1,1] neg_lo:[1,0,0]
	v_pk_fma_f32 v[12:13], v[36:37], v[88:89], v[12:13] op_sel:[0,1,0]
	v_pk_fma_f32 v[10:11], v[62:63], v[88:89], v[10:11] op_sel:[1,1,0] op_sel_hi:[0,1,1] neg_lo:[1,0,0]
	v_pk_fma_f32 v[0:1], v[22:23], v[88:89], v[0:1] op_sel:[0,1,0]
	s_wait_loadcnt 0x3
	v_xor_b32_e32 v26, 0x80000000, v73
	s_wait_loadcnt 0x1
	v_dual_mov_b32 v27, v72 :: v_dual_mov_b32 v23, v76
	v_pk_fma_f32 v[8:9], v[66:67], v[90:91], v[8:9] op_sel_hi:[1,0,1]
	v_pk_fma_f32 v[12:13], v[68:69], v[90:91], v[12:13] op_sel_hi:[1,0,1]
	;; [unrolled: 1-line block ×4, first 2 shown]
	v_xor_b32_e32 v22, 0x80000000, v77
	v_pk_fma_f32 v[8:9], v[66:67], v[90:91], v[8:9] op_sel:[1,1,0] op_sel_hi:[0,1,1] neg_lo:[1,0,0]
	v_pk_fma_f32 v[12:13], v[24:25], v[90:91], v[12:13] op_sel:[0,1,0]
	v_pk_fma_f32 v[10:11], v[70:71], v[90:91], v[10:11] op_sel:[1,1,0] op_sel_hi:[0,1,1] neg_lo:[1,0,0]
	v_pk_fma_f32 v[0:1], v[26:27], v[90:91], v[0:1] op_sel:[0,1,0]
	s_wait_loadcnt 0x0
	v_pk_fma_f32 v[8:9], v[30:31], v[92:93], v[8:9] op_sel_hi:[1,0,1]
	v_pk_fma_f32 v[12:13], v[32:33], v[92:93], v[12:13] op_sel_hi:[1,0,1]
	;; [unrolled: 1-line block ×4, first 2 shown]
	s_delay_alu instid0(VALU_DEP_4) | instskip(NEXT) | instid1(VALU_DEP_4)
	v_pk_fma_f32 v[8:9], v[30:31], v[92:93], v[8:9] op_sel:[1,1,0] op_sel_hi:[0,1,1] neg_lo:[1,0,0]
	v_pk_fma_f32 v[12:13], v[96:97], v[92:93], v[12:13] op_sel:[0,1,0]
	s_delay_alu instid0(VALU_DEP_4) | instskip(NEXT) | instid1(VALU_DEP_4)
	v_pk_fma_f32 v[10:11], v[74:75], v[92:93], v[10:11] op_sel:[1,1,0] op_sel_hi:[0,1,1] neg_lo:[1,0,0]
	v_pk_fma_f32 v[0:1], v[22:23], v[92:93], v[0:1] op_sel:[0,1,0]
	s_and_not1_b32 exec_lo, exec_lo, s4
	s_cbranch_execnz .LBB101_5
; %bb.6:
	s_or_b32 exec_lo, exec_lo, s4
.LBB101_7:
	s_delay_alu instid0(SALU_CYCLE_1)
	s_or_b32 exec_lo, exec_lo, s3
	s_cbranch_execz .LBB101_9
	s_branch .LBB101_14
.LBB101_8:
                                        ; implicit-def: $vgpr9
                                        ; implicit-def: $vgpr1
                                        ; implicit-def: $vgpr11
                                        ; implicit-def: $vgpr13
.LBB101_9:
	v_mov_b32_e32 v9, 0
	s_delay_alu instid0(VALU_DEP_1)
	v_dual_mov_b32 v8, v9 :: v_dual_mov_b32 v1, v9
	v_dual_mov_b32 v0, v9 :: v_dual_mov_b32 v11, v9
	;; [unrolled: 1-line block ×3, first 2 shown]
	v_mov_b32_e32 v12, v9
	s_and_saveexec_b32 s3, s2
	s_cbranch_execz .LBB101_13
; %bb.10:
	v_mad_u32 v16, v19, 28, 27
	v_mov_b32_e32 v15, 0
	s_mov_b32 s2, 0
	s_delay_alu instid0(VALU_DEP_1)
	v_dual_mov_b32 v0, v15 :: v_dual_mov_b32 v1, v15
	v_dual_mov_b32 v10, v15 :: v_dual_mov_b32 v11, v15
	;; [unrolled: 1-line block ×4, first 2 shown]
.LBB101_11:                             ; =>This Inner Loop Header: Depth=1
	global_load_b32 v17, v19, s[6:7] scale_offset
	v_subrev_nc_u32_e32 v14, 27, v16
	v_subrev_nc_u32_e32 v20, 20, v16
	v_dual_add_nc_u32 v21, -13, v16 :: v_dual_add_nc_u32 v22, -6, v16
	v_subrev_nc_u32_e32 v23, 19, v16
	s_delay_alu instid0(VALU_DEP_4)
	v_lshl_add_u64 v[28:29], v[14:15], 3, s[8:9]
	v_dual_add_nc_u32 v24, -12, v16 :: v_dual_add_nc_u32 v25, -5, v16
	v_subrev_nc_u32_e32 v26, 18, v16
	v_dual_add_nc_u32 v27, -11, v16 :: v_dual_add_nc_u32 v60, -4, v16
	v_subrev_nc_u32_e32 v61, 17, v16
	;; [unrolled: 2-line block ×4, first 2 shown]
	v_dual_add_nc_u32 v79, -2, v16 :: v_dual_add_nc_u32 v80, -15, v16
	v_dual_add_nc_u32 v81, -8, v16 :: v_dual_add_nc_u32 v82, -1, v16
	v_subrev_nc_u32_e32 v83, 21, v16
	v_dual_add_nc_u32 v84, -14, v16 :: v_dual_add_nc_u32 v85, -7, v16
	s_clause 0x19
	global_load_b64 v[30:31], v20, s[8:9] scale_offset
	global_load_b64 v[32:33], v21, s[8:9] scale_offset
	;; [unrolled: 1-line block ×15, first 2 shown]
	; meta instruction
	; meta instruction
	;; [unrolled: 1-line block ×15, first 2 shown]
	global_load_b64 v[60:61], v78, s[8:9] scale_offset
	global_load_b64 v[62:63], v79, s[8:9] scale_offset
	;; [unrolled: 1-line block ×9, first 2 shown]
	global_load_b128 v[20:23], v[28:29], off
	global_load_b128 v[24:27], v[28:29], off offset:16
	v_add_nc_u32_e32 v19, 16, v19
	s_wait_xcnt 0x2
	v_add_nc_u32_e32 v16, 0x1c0, v16
	s_delay_alu instid0(VALU_DEP_2) | instskip(SKIP_3) | instid1(VALU_DEP_1)
	v_cmp_ge_i32_e32 vcc_lo, v19, v18
	s_or_b32 s2, vcc_lo, s2
	s_wait_loadcnt 0x1a
	v_subrev_nc_u32_e32 v14, s12, v17
	v_mul_lo_u32 v14, v14, 7
	global_load_b64 v[28:29], v14, s[10:11] scale_offset
	v_dual_add_nc_u32 v17, 1, v14 :: v_dual_add_nc_u32 v80, 2, v14
	v_add_nc_u32_e32 v81, 3, v14
	global_load_b64 v[78:79], v17, s[10:11] scale_offset
	s_wait_xcnt 0x0
	v_add_nc_u32_e32 v17, 4, v14
	s_wait_loadcnt 0x1
	v_pk_fma_f32 v[12:13], v[30:31], v[28:29], v[12:13] op_sel_hi:[1,0,1]
	v_pk_fma_f32 v[10:11], v[32:33], v[28:29], v[10:11] op_sel_hi:[1,0,1]
	;; [unrolled: 1-line block ×4, first 2 shown]
	s_delay_alu instid0(VALU_DEP_4)
	v_pk_fma_f32 v[12:13], v[30:31], v[28:29], v[12:13] op_sel:[1,1,0] op_sel_hi:[0,1,1] neg_lo:[1,0,0]
	global_load_b64 v[30:31], v80, s[10:11] scale_offset
	v_pk_fma_f32 v[10:11], v[32:33], v[28:29], v[10:11] op_sel:[1,1,0] op_sel_hi:[0,1,1] neg_lo:[1,0,0]
	global_load_b64 v[32:33], v81, s[10:11] scale_offset
	;; [unrolled: 2-line block ×3, first 2 shown]
	s_wait_xcnt 0x2
	v_add_nc_u32_e32 v80, 5, v14
	v_pk_fma_f32 v[8:9], v[20:21], v[28:29], v[8:9] op_sel:[1,1,0] op_sel_hi:[0,1,1] neg_lo:[1,0,0]
	v_mov_b32_e32 v21, v22
	v_xor_b32_e32 v20, 0x80000000, v23
	v_add_nc_u32_e32 v14, 6, v14
	global_load_b64 v[28:29], v80, s[10:11] scale_offset
	s_wait_loadcnt 0x4
	v_pk_fma_f32 v[8:9], v[22:23], v[78:79], v[8:9] op_sel_hi:[1,0,1]
	v_pk_fma_f32 v[12:13], v[36:37], v[78:79], v[12:13] op_sel_hi:[1,0,1]
	;; [unrolled: 1-line block ×4, first 2 shown]
	s_delay_alu instid0(VALU_DEP_4)
	v_pk_fma_f32 v[8:9], v[20:21], v[78:79], v[8:9] op_sel:[0,1,0]
	v_mov_b32_e32 v21, v26
	global_load_b64 v[22:23], v14, s[10:11] scale_offset
	v_pk_fma_f32 v[12:13], v[36:37], v[78:79], v[12:13] op_sel:[1,1,0] op_sel_hi:[0,1,1] neg_lo:[1,0,0]
	v_pk_fma_f32 v[10:11], v[38:39], v[78:79], v[10:11] op_sel:[1,1,0] op_sel_hi:[0,1,1] neg_lo:[1,0,0]
	;; [unrolled: 1-line block ×3, first 2 shown]
	v_xor_b32_e32 v20, 0x80000000, v27
	s_wait_loadcnt 0x4
	v_pk_fma_f32 v[8:9], v[24:25], v[30:31], v[8:9] op_sel_hi:[1,0,1]
	v_pk_fma_f32 v[12:13], v[42:43], v[30:31], v[12:13] op_sel_hi:[1,0,1]
	;; [unrolled: 1-line block ×4, first 2 shown]
	s_delay_alu instid0(VALU_DEP_4) | instskip(NEXT) | instid1(VALU_DEP_4)
	v_pk_fma_f32 v[8:9], v[24:25], v[30:31], v[8:9] op_sel:[1,1,0] op_sel_hi:[0,1,1] neg_lo:[1,0,0]
	v_pk_fma_f32 v[12:13], v[42:43], v[30:31], v[12:13] op_sel:[1,1,0] op_sel_hi:[0,1,1] neg_lo:[1,0,0]
	s_delay_alu instid0(VALU_DEP_4) | instskip(NEXT) | instid1(VALU_DEP_4)
	v_pk_fma_f32 v[10:11], v[44:45], v[30:31], v[10:11] op_sel:[1,1,0] op_sel_hi:[0,1,1] neg_lo:[1,0,0]
	v_pk_fma_f32 v[0:1], v[46:47], v[30:31], v[0:1] op_sel:[1,1,0] op_sel_hi:[0,1,1] neg_lo:[1,0,0]
	s_wait_loadcnt 0x3
	v_pk_fma_f32 v[8:9], v[26:27], v[32:33], v[8:9] op_sel_hi:[1,0,1]
	v_pk_fma_f32 v[12:13], v[50:51], v[32:33], v[12:13] op_sel_hi:[1,0,1]
	;; [unrolled: 1-line block ×4, first 2 shown]
	s_delay_alu instid0(VALU_DEP_4) | instskip(NEXT) | instid1(VALU_DEP_4)
	v_pk_fma_f32 v[8:9], v[20:21], v[32:33], v[8:9] op_sel:[0,1,0]
	v_pk_fma_f32 v[12:13], v[50:51], v[32:33], v[12:13] op_sel:[1,1,0] op_sel_hi:[0,1,1] neg_lo:[1,0,0]
	s_delay_alu instid0(VALU_DEP_4) | instskip(NEXT) | instid1(VALU_DEP_4)
	v_pk_fma_f32 v[10:11], v[52:53], v[32:33], v[10:11] op_sel:[1,1,0] op_sel_hi:[0,1,1] neg_lo:[1,0,0]
	v_pk_fma_f32 v[0:1], v[54:55], v[32:33], v[0:1] op_sel:[1,1,0] op_sel_hi:[0,1,1] neg_lo:[1,0,0]
	s_wait_loadcnt 0x2
	v_pk_fma_f32 v[8:9], v[48:49], v[34:35], v[8:9] op_sel_hi:[1,0,1]
	v_pk_fma_f32 v[12:13], v[58:59], v[34:35], v[12:13] op_sel_hi:[1,0,1]
	v_pk_fma_f32 v[10:11], v[60:61], v[34:35], v[10:11] op_sel_hi:[1,0,1]
	v_pk_fma_f32 v[0:1], v[62:63], v[34:35], v[0:1] op_sel_hi:[1,0,1]
	s_delay_alu instid0(VALU_DEP_4) | instskip(NEXT) | instid1(VALU_DEP_4)
	v_pk_fma_f32 v[8:9], v[48:49], v[34:35], v[8:9] op_sel:[1,1,0] op_sel_hi:[0,1,1] neg_lo:[1,0,0]
	v_pk_fma_f32 v[12:13], v[58:59], v[34:35], v[12:13] op_sel:[1,1,0] op_sel_hi:[0,1,1] neg_lo:[1,0,0]
	s_delay_alu instid0(VALU_DEP_4) | instskip(NEXT) | instid1(VALU_DEP_4)
	v_pk_fma_f32 v[10:11], v[60:61], v[34:35], v[10:11] op_sel:[1,1,0] op_sel_hi:[0,1,1] neg_lo:[1,0,0]
	v_pk_fma_f32 v[0:1], v[62:63], v[34:35], v[0:1] op_sel:[1,1,0] op_sel_hi:[0,1,1] neg_lo:[1,0,0]
	s_wait_loadcnt 0x1
	v_pk_fma_f32 v[8:9], v[56:57], v[28:29], v[8:9] op_sel_hi:[1,0,1]
	v_pk_fma_f32 v[12:13], v[66:67], v[28:29], v[12:13] op_sel_hi:[1,0,1]
	v_pk_fma_f32 v[10:11], v[68:69], v[28:29], v[10:11] op_sel_hi:[1,0,1]
	v_pk_fma_f32 v[0:1], v[70:71], v[28:29], v[0:1] op_sel_hi:[1,0,1]
	s_delay_alu instid0(VALU_DEP_4) | instskip(NEXT) | instid1(VALU_DEP_4)
	v_pk_fma_f32 v[8:9], v[56:57], v[28:29], v[8:9] op_sel:[1,1,0] op_sel_hi:[0,1,1] neg_lo:[1,0,0]
	;; [unrolled: 11-line block ×3, first 2 shown]
	v_pk_fma_f32 v[12:13], v[72:73], v[22:23], v[12:13] op_sel:[1,1,0] op_sel_hi:[0,1,1] neg_lo:[1,0,0]
	s_delay_alu instid0(VALU_DEP_4) | instskip(NEXT) | instid1(VALU_DEP_4)
	v_pk_fma_f32 v[10:11], v[74:75], v[22:23], v[10:11] op_sel:[1,1,0] op_sel_hi:[0,1,1] neg_lo:[1,0,0]
	v_pk_fma_f32 v[0:1], v[76:77], v[22:23], v[0:1] op_sel:[1,1,0] op_sel_hi:[0,1,1] neg_lo:[1,0,0]
	s_and_not1_b32 exec_lo, exec_lo, s2
	s_cbranch_execnz .LBB101_11
; %bb.12:
	s_or_b32 exec_lo, exec_lo, s2
.LBB101_13:
	s_delay_alu instid0(SALU_CYCLE_1)
	s_or_b32 exec_lo, exec_lo, s3
.LBB101_14:
	v_mbcnt_lo_u32_b32 v14, -1, 0
	s_delay_alu instid0(VALU_DEP_1) | instskip(SKIP_1) | instid1(VALU_DEP_1)
	v_xor_b32_e32 v23, 4, v14
	v_xor_b32_e32 v15, 8, v14
	v_cmp_gt_i32_e32 vcc_lo, 32, v15
	v_cndmask_b32_e32 v15, v14, v15, vcc_lo
	s_delay_alu instid0(VALU_DEP_1)
	v_lshlrev_b32_e32 v15, 2, v15
	ds_bpermute_b32 v17, v15, v9
	s_wait_dscnt 0x0
	v_add_f32_e32 v9, v9, v17
	ds_bpermute_b32 v19, v15, v13
	ds_bpermute_b32 v16, v15, v8
	ds_bpermute_b32 v18, v15, v12
	ds_bpermute_b32 v20, v15, v10
	ds_bpermute_b32 v21, v15, v11
	ds_bpermute_b32 v22, v15, v0
	ds_bpermute_b32 v15, v15, v1
	s_wait_dscnt 0x6
	v_add_f32_e32 v13, v13, v19
	v_cmp_gt_i32_e32 vcc_lo, 32, v23
	s_wait_dscnt 0x5
	v_add_f32_e32 v8, v8, v16
	s_wait_dscnt 0x2
	v_dual_add_f32 v10, v10, v20 :: v_dual_add_f32 v11, v11, v21
	s_wait_dscnt 0x0
	v_dual_add_f32 v0, v0, v22 :: v_dual_add_f32 v1, v1, v15
	v_dual_cndmask_b32 v23, v14, v23 :: v_dual_add_f32 v12, v12, v18
	s_delay_alu instid0(VALU_DEP_1)
	v_lshlrev_b32_e32 v23, 2, v23
	ds_bpermute_b32 v15, v23, v8
	ds_bpermute_b32 v16, v23, v9
	;; [unrolled: 1-line block ×8, first 2 shown]
	s_wait_dscnt 0x7
	v_dual_add_f32 v8, v8, v15 :: v_dual_bitop2_b32 v23, 2, v14 bitop3:0x14
	s_delay_alu instid0(VALU_DEP_1)
	v_cmp_gt_i32_e32 vcc_lo, 32, v23
	s_wait_dscnt 0x6
	v_add_f32_e32 v9, v9, v16
	s_wait_dscnt 0x3
	v_dual_add_f32 v13, v13, v18 :: v_dual_add_f32 v15, v10, v19
	s_wait_dscnt 0x2
	v_dual_add_f32 v16, v11, v20 :: v_dual_cndmask_b32 v23, v14, v23
	v_add_f32_e32 v12, v12, v17
	s_wait_dscnt 0x0
	v_dual_add_f32 v17, v0, v21 :: v_dual_add_f32 v18, v1, v22
	s_delay_alu instid0(VALU_DEP_3)
	v_lshlrev_b32_e32 v23, 2, v23
	ds_bpermute_b32 v0, v23, v8
	ds_bpermute_b32 v1, v23, v9
	;; [unrolled: 1-line block ×8, first 2 shown]
	s_wait_dscnt 0x7
	v_dual_add_f32 v0, v8, v0 :: v_dual_bitop2_b32 v23, 1, v14 bitop3:0x14
	s_delay_alu instid0(VALU_DEP_1)
	v_cmp_gt_i32_e32 vcc_lo, 32, v23
	s_wait_dscnt 0x4
	v_dual_add_f32 v10, v12, v10 :: v_dual_add_f32 v11, v13, v11
	s_wait_dscnt 0x2
	v_dual_add_f32 v12, v15, v19 :: v_dual_add_f32 v13, v16, v20
	v_dual_cndmask_b32 v14, v14, v23, vcc_lo :: v_dual_add_f32 v8, v9, v1
	s_wait_dscnt 0x0
	v_dual_add_f32 v1, v17, v21 :: v_dual_add_f32 v9, v18, v22
	v_cmp_eq_u32_e32 vcc_lo, 15, v7
	s_delay_alu instid0(VALU_DEP_3)
	v_lshlrev_b32_e32 v23, 2, v14
	ds_bpermute_b32 v16, v23, v0
	ds_bpermute_b32 v17, v23, v8
	;; [unrolled: 1-line block ×8, first 2 shown]
	s_and_b32 exec_lo, exec_lo, vcc_lo
	s_cbranch_execz .LBB101_19
; %bb.15:
	s_load_b64 s[2:3], s[0:1], 0x38
	v_cmp_eq_f32_e32 vcc_lo, 0, v4
	s_wait_xcnt 0x0
	v_cmp_eq_f32_e64 s0, 0, v5
	s_wait_dscnt 0x7
	v_add_f32_e32 v0, v0, v16
	s_wait_dscnt 0x5
	v_dual_add_f32 v20, v8, v17 :: v_dual_add_f32 v8, v10, v18
	s_wait_dscnt 0x3
	v_dual_add_f32 v18, v11, v19 :: v_dual_add_f32 v10, v12, v21
	s_wait_dscnt 0x2
	v_add_f32_e32 v16, v13, v22
	s_wait_dscnt 0x1
	v_add_f32_e32 v12, v1, v14
	;; [unrolled: 2-line block ×3, first 2 shown]
	s_and_b32 s0, vcc_lo, s0
	s_delay_alu instid0(SALU_CYCLE_1) | instskip(NEXT) | instid1(SALU_CYCLE_1)
	s_and_saveexec_b32 s1, s0
	s_xor_b32 s0, exec_lo, s1
	s_cbranch_execz .LBB101_17
; %bb.16:
	v_xor_b32_e32 v4, 0x80000000, v3
	v_dual_mov_b32 v5, v2 :: v_dual_lshlrev_b32 v6, 2, v6
	s_delay_alu instid0(VALU_DEP_1) | instskip(NEXT) | instid1(VALU_DEP_2)
	v_ashrrev_i32_e32 v7, 31, v6
	v_pk_mul_f32 v[20:21], v[20:21], v[4:5] op_sel_hi:[0,1]
	v_pk_mul_f32 v[18:19], v[18:19], v[4:5] op_sel_hi:[0,1]
	;; [unrolled: 1-line block ×4, first 2 shown]
	s_wait_kmcnt 0x0
	v_lshl_add_u64 v[22:23], v[6:7], 3, s[2:3]
	v_pk_fma_f32 v[4:5], v[2:3], v[0:1], v[20:21] op_sel_hi:[1,0,1]
	v_pk_fma_f32 v[6:7], v[2:3], v[8:9], v[18:19] op_sel_hi:[1,0,1]
	;; [unrolled: 1-line block ×4, first 2 shown]
	s_clause 0x1
	global_store_b128 v[22:23], v[4:7], off
	global_store_b128 v[22:23], v[0:3], off offset:16
                                        ; implicit-def: $vgpr6
                                        ; implicit-def: $vgpr0
                                        ; implicit-def: $vgpr20
                                        ; implicit-def: $vgpr8
                                        ; implicit-def: $vgpr18
                                        ; implicit-def: $vgpr10
                                        ; implicit-def: $vgpr16
                                        ; implicit-def: $vgpr12
                                        ; implicit-def: $vgpr14
                                        ; implicit-def: $vgpr2_vgpr3
                                        ; implicit-def: $vgpr4_vgpr5
.LBB101_17:
	s_wait_xcnt 0x0
	s_and_not1_saveexec_b32 s0, s0
	s_cbranch_execz .LBB101_19
; %bb.18:
	v_lshlrev_b32_e32 v6, 2, v6
	v_xor_b32_e32 v32, 0x80000000, v5
	s_delay_alu instid0(VALU_DEP_2) | instskip(SKIP_1) | instid1(VALU_DEP_1)
	v_dual_mov_b32 v33, v4 :: v_dual_ashrrev_i32 v7, 31, v6
	s_wait_kmcnt 0x0
	v_lshl_add_u64 v[30:31], v[6:7], 3, s[2:3]
	v_xor_b32_e32 v6, 0x80000000, v3
	v_mov_b32_e32 v7, v2
	s_clause 0x1
	global_load_b128 v[22:25], v[30:31], off
	global_load_b128 v[26:29], v[30:31], off offset:16
	v_pk_mul_f32 v[20:21], v[20:21], v[6:7] op_sel_hi:[0,1]
	v_pk_mul_f32 v[18:19], v[18:19], v[6:7] op_sel_hi:[0,1]
	;; [unrolled: 1-line block ×4, first 2 shown]
	s_delay_alu instid0(VALU_DEP_4) | instskip(NEXT) | instid1(VALU_DEP_4)
	v_pk_fma_f32 v[0:1], v[2:3], v[0:1], v[20:21] op_sel_hi:[1,0,1]
	v_pk_fma_f32 v[8:9], v[2:3], v[8:9], v[18:19] op_sel_hi:[1,0,1]
	s_delay_alu instid0(VALU_DEP_4) | instskip(NEXT) | instid1(VALU_DEP_4)
	v_pk_fma_f32 v[10:11], v[2:3], v[10:11], v[16:17] op_sel_hi:[1,0,1]
	v_pk_fma_f32 v[2:3], v[2:3], v[12:13], v[6:7] op_sel_hi:[1,0,1]
	s_wait_loadcnt 0x1
	v_pk_fma_f32 v[0:1], v[4:5], v[22:23], v[0:1] op_sel_hi:[1,0,1]
	v_pk_fma_f32 v[6:7], v[4:5], v[24:25], v[8:9] op_sel_hi:[1,0,1]
	s_wait_loadcnt 0x0
	v_dual_mov_b32 v8, v25 :: v_dual_mov_b32 v14, v29
	v_pk_fma_f32 v[10:11], v[4:5], v[26:27], v[10:11] op_sel_hi:[1,0,1]
	v_pk_fma_f32 v[12:13], v[4:5], v[28:29], v[2:3] op_sel_hi:[1,0,1]
	v_pk_fma_f32 v[0:1], v[32:33], v[22:23], v[0:1] op_sel:[0,1,0]
	s_delay_alu instid0(VALU_DEP_4) | instskip(NEXT) | instid1(VALU_DEP_4)
	v_pk_fma_f32 v[2:3], v[32:33], v[8:9], v[6:7] op_sel_hi:[1,0,1]
	v_pk_fma_f32 v[4:5], v[32:33], v[26:27], v[10:11] op_sel:[0,1,0]
	s_delay_alu instid0(VALU_DEP_4)
	v_pk_fma_f32 v[6:7], v[32:33], v[14:15], v[12:13] op_sel_hi:[1,0,1]
	s_clause 0x1
	global_store_b128 v[30:31], v[0:3], off
	global_store_b128 v[30:31], v[4:7], off offset:16
.LBB101_19:
	s_sendmsg sendmsg(MSG_DEALLOC_VGPRS)
	s_endpgm
	.section	.rodata,"a",@progbits
	.p2align	6, 0x0
	.amdhsa_kernel _ZN9rocsparseL19gebsrmvn_4xn_kernelILj128ELj7ELj16E21rocsparse_complex_numIfEEEvi20rocsparse_direction_NS_24const_host_device_scalarIT2_EEPKiS8_PKS5_SA_S6_PS5_21rocsparse_index_base_b
		.amdhsa_group_segment_fixed_size 0
		.amdhsa_private_segment_fixed_size 0
		.amdhsa_kernarg_size 72
		.amdhsa_user_sgpr_count 2
		.amdhsa_user_sgpr_dispatch_ptr 0
		.amdhsa_user_sgpr_queue_ptr 0
		.amdhsa_user_sgpr_kernarg_segment_ptr 1
		.amdhsa_user_sgpr_dispatch_id 0
		.amdhsa_user_sgpr_kernarg_preload_length 0
		.amdhsa_user_sgpr_kernarg_preload_offset 0
		.amdhsa_user_sgpr_private_segment_size 0
		.amdhsa_wavefront_size32 1
		.amdhsa_uses_dynamic_stack 0
		.amdhsa_enable_private_segment 0
		.amdhsa_system_sgpr_workgroup_id_x 1
		.amdhsa_system_sgpr_workgroup_id_y 0
		.amdhsa_system_sgpr_workgroup_id_z 0
		.amdhsa_system_sgpr_workgroup_info 0
		.amdhsa_system_vgpr_workitem_id 0
		.amdhsa_next_free_vgpr 100
		.amdhsa_next_free_sgpr 14
		.amdhsa_named_barrier_count 0
		.amdhsa_reserve_vcc 1
		.amdhsa_float_round_mode_32 0
		.amdhsa_float_round_mode_16_64 0
		.amdhsa_float_denorm_mode_32 3
		.amdhsa_float_denorm_mode_16_64 3
		.amdhsa_fp16_overflow 0
		.amdhsa_memory_ordered 1
		.amdhsa_forward_progress 1
		.amdhsa_inst_pref_size 31
		.amdhsa_round_robin_scheduling 0
		.amdhsa_exception_fp_ieee_invalid_op 0
		.amdhsa_exception_fp_denorm_src 0
		.amdhsa_exception_fp_ieee_div_zero 0
		.amdhsa_exception_fp_ieee_overflow 0
		.amdhsa_exception_fp_ieee_underflow 0
		.amdhsa_exception_fp_ieee_inexact 0
		.amdhsa_exception_int_div_zero 0
	.end_amdhsa_kernel
	.section	.text._ZN9rocsparseL19gebsrmvn_4xn_kernelILj128ELj7ELj16E21rocsparse_complex_numIfEEEvi20rocsparse_direction_NS_24const_host_device_scalarIT2_EEPKiS8_PKS5_SA_S6_PS5_21rocsparse_index_base_b,"axG",@progbits,_ZN9rocsparseL19gebsrmvn_4xn_kernelILj128ELj7ELj16E21rocsparse_complex_numIfEEEvi20rocsparse_direction_NS_24const_host_device_scalarIT2_EEPKiS8_PKS5_SA_S6_PS5_21rocsparse_index_base_b,comdat
.Lfunc_end101:
	.size	_ZN9rocsparseL19gebsrmvn_4xn_kernelILj128ELj7ELj16E21rocsparse_complex_numIfEEEvi20rocsparse_direction_NS_24const_host_device_scalarIT2_EEPKiS8_PKS5_SA_S6_PS5_21rocsparse_index_base_b, .Lfunc_end101-_ZN9rocsparseL19gebsrmvn_4xn_kernelILj128ELj7ELj16E21rocsparse_complex_numIfEEEvi20rocsparse_direction_NS_24const_host_device_scalarIT2_EEPKiS8_PKS5_SA_S6_PS5_21rocsparse_index_base_b
                                        ; -- End function
	.set _ZN9rocsparseL19gebsrmvn_4xn_kernelILj128ELj7ELj16E21rocsparse_complex_numIfEEEvi20rocsparse_direction_NS_24const_host_device_scalarIT2_EEPKiS8_PKS5_SA_S6_PS5_21rocsparse_index_base_b.num_vgpr, 100
	.set _ZN9rocsparseL19gebsrmvn_4xn_kernelILj128ELj7ELj16E21rocsparse_complex_numIfEEEvi20rocsparse_direction_NS_24const_host_device_scalarIT2_EEPKiS8_PKS5_SA_S6_PS5_21rocsparse_index_base_b.num_agpr, 0
	.set _ZN9rocsparseL19gebsrmvn_4xn_kernelILj128ELj7ELj16E21rocsparse_complex_numIfEEEvi20rocsparse_direction_NS_24const_host_device_scalarIT2_EEPKiS8_PKS5_SA_S6_PS5_21rocsparse_index_base_b.numbered_sgpr, 14
	.set _ZN9rocsparseL19gebsrmvn_4xn_kernelILj128ELj7ELj16E21rocsparse_complex_numIfEEEvi20rocsparse_direction_NS_24const_host_device_scalarIT2_EEPKiS8_PKS5_SA_S6_PS5_21rocsparse_index_base_b.num_named_barrier, 0
	.set _ZN9rocsparseL19gebsrmvn_4xn_kernelILj128ELj7ELj16E21rocsparse_complex_numIfEEEvi20rocsparse_direction_NS_24const_host_device_scalarIT2_EEPKiS8_PKS5_SA_S6_PS5_21rocsparse_index_base_b.private_seg_size, 0
	.set _ZN9rocsparseL19gebsrmvn_4xn_kernelILj128ELj7ELj16E21rocsparse_complex_numIfEEEvi20rocsparse_direction_NS_24const_host_device_scalarIT2_EEPKiS8_PKS5_SA_S6_PS5_21rocsparse_index_base_b.uses_vcc, 1
	.set _ZN9rocsparseL19gebsrmvn_4xn_kernelILj128ELj7ELj16E21rocsparse_complex_numIfEEEvi20rocsparse_direction_NS_24const_host_device_scalarIT2_EEPKiS8_PKS5_SA_S6_PS5_21rocsparse_index_base_b.uses_flat_scratch, 1
	.set _ZN9rocsparseL19gebsrmvn_4xn_kernelILj128ELj7ELj16E21rocsparse_complex_numIfEEEvi20rocsparse_direction_NS_24const_host_device_scalarIT2_EEPKiS8_PKS5_SA_S6_PS5_21rocsparse_index_base_b.has_dyn_sized_stack, 0
	.set _ZN9rocsparseL19gebsrmvn_4xn_kernelILj128ELj7ELj16E21rocsparse_complex_numIfEEEvi20rocsparse_direction_NS_24const_host_device_scalarIT2_EEPKiS8_PKS5_SA_S6_PS5_21rocsparse_index_base_b.has_recursion, 0
	.set _ZN9rocsparseL19gebsrmvn_4xn_kernelILj128ELj7ELj16E21rocsparse_complex_numIfEEEvi20rocsparse_direction_NS_24const_host_device_scalarIT2_EEPKiS8_PKS5_SA_S6_PS5_21rocsparse_index_base_b.has_indirect_call, 0
	.section	.AMDGPU.csdata,"",@progbits
; Kernel info:
; codeLenInByte = 3964
; TotalNumSgprs: 16
; NumVgprs: 100
; ScratchSize: 0
; MemoryBound: 0
; FloatMode: 240
; IeeeMode: 1
; LDSByteSize: 0 bytes/workgroup (compile time only)
; SGPRBlocks: 0
; VGPRBlocks: 6
; NumSGPRsForWavesPerEU: 16
; NumVGPRsForWavesPerEU: 100
; NamedBarCnt: 0
; Occupancy: 9
; WaveLimiterHint : 1
; COMPUTE_PGM_RSRC2:SCRATCH_EN: 0
; COMPUTE_PGM_RSRC2:USER_SGPR: 2
; COMPUTE_PGM_RSRC2:TRAP_HANDLER: 0
; COMPUTE_PGM_RSRC2:TGID_X_EN: 1
; COMPUTE_PGM_RSRC2:TGID_Y_EN: 0
; COMPUTE_PGM_RSRC2:TGID_Z_EN: 0
; COMPUTE_PGM_RSRC2:TIDIG_COMP_CNT: 0
	.section	.text._ZN9rocsparseL19gebsrmvn_4xn_kernelILj128ELj7ELj32E21rocsparse_complex_numIfEEEvi20rocsparse_direction_NS_24const_host_device_scalarIT2_EEPKiS8_PKS5_SA_S6_PS5_21rocsparse_index_base_b,"axG",@progbits,_ZN9rocsparseL19gebsrmvn_4xn_kernelILj128ELj7ELj32E21rocsparse_complex_numIfEEEvi20rocsparse_direction_NS_24const_host_device_scalarIT2_EEPKiS8_PKS5_SA_S6_PS5_21rocsparse_index_base_b,comdat
	.globl	_ZN9rocsparseL19gebsrmvn_4xn_kernelILj128ELj7ELj32E21rocsparse_complex_numIfEEEvi20rocsparse_direction_NS_24const_host_device_scalarIT2_EEPKiS8_PKS5_SA_S6_PS5_21rocsparse_index_base_b ; -- Begin function _ZN9rocsparseL19gebsrmvn_4xn_kernelILj128ELj7ELj32E21rocsparse_complex_numIfEEEvi20rocsparse_direction_NS_24const_host_device_scalarIT2_EEPKiS8_PKS5_SA_S6_PS5_21rocsparse_index_base_b
	.p2align	8
	.type	_ZN9rocsparseL19gebsrmvn_4xn_kernelILj128ELj7ELj32E21rocsparse_complex_numIfEEEvi20rocsparse_direction_NS_24const_host_device_scalarIT2_EEPKiS8_PKS5_SA_S6_PS5_21rocsparse_index_base_b,@function
_ZN9rocsparseL19gebsrmvn_4xn_kernelILj128ELj7ELj32E21rocsparse_complex_numIfEEEvi20rocsparse_direction_NS_24const_host_device_scalarIT2_EEPKiS8_PKS5_SA_S6_PS5_21rocsparse_index_base_b: ; @_ZN9rocsparseL19gebsrmvn_4xn_kernelILj128ELj7ELj32E21rocsparse_complex_numIfEEEvi20rocsparse_direction_NS_24const_host_device_scalarIT2_EEPKiS8_PKS5_SA_S6_PS5_21rocsparse_index_base_b
; %bb.0:
	s_clause 0x2
	s_load_b64 s[12:13], s[0:1], 0x40
	s_load_b64 s[2:3], s[0:1], 0x8
	;; [unrolled: 1-line block ×3, first 2 shown]
	v_mov_b32_e32 v1, 0
	s_add_nc_u64 s[6:7], s[0:1], 8
	s_add_nc_u64 s[8:9], s[0:1], 48
	s_wait_kmcnt 0x0
	s_bitcmp1_b32 s13, 0
	s_cselect_b32 s3, s7, s3
	s_cselect_b32 s2, s6, s2
	;; [unrolled: 1-line block ×4, first 2 shown]
	s_clause 0x1
	flat_load_b64 v[2:3], v1, s[2:3]
	flat_load_b64 v[4:5], v1, s[4:5]
	s_wait_loadcnt_dscnt 0x101
	v_cmp_eq_f32_e32 vcc_lo, 0, v2
	v_cmp_eq_f32_e64 s2, 0, v3
	s_wait_loadcnt_dscnt 0x0
	v_cmp_eq_f32_e64 s3, 1.0, v4
	v_cmp_eq_f32_e64 s4, 0, v5
	s_and_b32 s2, vcc_lo, s2
	s_and_b32 s3, s3, s4
	s_delay_alu instid0(SALU_CYCLE_1) | instskip(NEXT) | instid1(SALU_CYCLE_1)
	s_and_b32 s2, s2, s3
	s_xor_b32 s2, s2, -1
	s_delay_alu instid0(SALU_CYCLE_1)
	s_and_saveexec_b32 s3, s2
	s_cbranch_execz .LBB102_19
; %bb.1:
	s_load_b64 s[2:3], s[0:1], 0x0
	s_bfe_u32 s4, ttmp6, 0x4000c
	s_and_b32 s5, ttmp6, 15
	s_add_co_i32 s4, s4, 1
	s_getreg_b32 s6, hwreg(HW_REG_IB_STS2, 6, 4)
	s_mul_i32 s4, ttmp9, s4
	v_lshrrev_b32_e32 v1, 5, v0
	s_add_co_i32 s5, s5, s4
	s_cmp_eq_u32 s6, 0
	s_cselect_b32 s4, ttmp9, s5
	s_delay_alu instid0(VALU_DEP_1) | instid1(SALU_CYCLE_1)
	v_lshl_or_b32 v6, s4, 2, v1
	s_wait_kmcnt 0x0
	s_delay_alu instid0(VALU_DEP_1)
	v_cmp_gt_i32_e32 vcc_lo, s2, v6
	s_and_b32 exec_lo, exec_lo, vcc_lo
	s_cbranch_execz .LBB102_19
; %bb.2:
	s_load_b256 s[4:11], s[0:1], 0x10
	v_ashrrev_i32_e32 v7, 31, v6
	s_cmp_lg_u32 s3, 0
	s_wait_kmcnt 0x0
	s_delay_alu instid0(VALU_DEP_1)
	v_lshl_add_u64 v[8:9], v[6:7], 2, s[4:5]
	v_and_b32_e32 v7, 31, v0
	global_load_b64 v[8:9], v[8:9], off
	s_wait_loadcnt 0x0
	v_subrev_nc_u32_e32 v0, s12, v8
	v_subrev_nc_u32_e32 v18, s12, v9
	s_delay_alu instid0(VALU_DEP_2) | instskip(NEXT) | instid1(VALU_DEP_1)
	v_add_nc_u32_e32 v19, v0, v7
	v_cmp_lt_i32_e64 s2, v19, v18
	s_cbranch_scc0 .LBB102_8
; %bb.3:
	v_mov_b32_e32 v9, 0
	s_delay_alu instid0(VALU_DEP_1)
	v_dual_mov_b32 v8, v9 :: v_dual_mov_b32 v1, v9
	v_dual_mov_b32 v0, v9 :: v_dual_mov_b32 v11, v9
	;; [unrolled: 1-line block ×3, first 2 shown]
	v_mov_b32_e32 v12, v9
	s_and_saveexec_b32 s3, s2
	s_cbranch_execz .LBB102_7
; %bb.4:
	v_mad_u32 v16, v19, 28, 24
	v_dual_mov_b32 v15, 0 :: v_dual_mov_b32 v20, v19
	s_mov_b32 s4, 0
	s_delay_alu instid0(VALU_DEP_1)
	v_dual_mov_b32 v0, v15 :: v_dual_mov_b32 v1, v15
	v_dual_mov_b32 v10, v15 :: v_dual_mov_b32 v11, v15
	;; [unrolled: 1-line block ×4, first 2 shown]
.LBB102_5:                              ; =>This Inner Loop Header: Depth=1
	global_load_b32 v21, v20, s[6:7] scale_offset
	v_subrev_nc_u32_e32 v14, 24, v16
	s_wait_xcnt 0x0
	v_dual_mov_b32 v17, v15 :: v_dual_add_nc_u32 v20, 32, v20
	s_delay_alu instid0(VALU_DEP_2) | instskip(SKIP_1) | instid1(VALU_DEP_3)
	v_lshl_add_u64 v[34:35], v[14:15], 3, s[8:9]
	v_subrev_nc_u32_e32 v14, 20, v16
	v_cmp_ge_i32_e32 vcc_lo, v20, v18
	s_delay_alu instid0(VALU_DEP_2)
	v_lshl_add_u64 v[42:43], v[14:15], 3, s[8:9]
	v_add_nc_u32_e32 v14, -16, v16
	v_lshl_add_u64 v[78:79], v[16:17], 3, s[8:9]
	s_clause 0x2
	global_load_b128 v[22:25], v[34:35], off
	global_load_b128 v[26:29], v[34:35], off offset:16
	global_load_b128 v[30:33], v[78:79], off
	v_lshl_add_u64 v[50:51], v[14:15], 3, s[8:9]
	v_add_nc_u32_e32 v14, -12, v16
	s_clause 0x3
	global_load_b128 v[34:37], v[42:43], off offset:16
	global_load_b128 v[38:41], v[42:43], off
	global_load_b128 v[42:45], v[50:51], off offset:16
	global_load_b128 v[46:49], v[50:51], off
	v_lshl_add_u64 v[58:59], v[14:15], 3, s[8:9]
	v_add_nc_u32_e32 v14, -8, v16
	s_or_b32 s4, vcc_lo, s4
	global_load_b128 v[50:53], v[58:59], off offset:16
	v_lshl_add_u64 v[66:67], v[14:15], 3, s[8:9]
	s_wait_loadcnt 0x8
	v_subrev_nc_u32_e32 v14, s12, v21
	s_delay_alu instid0(VALU_DEP_1)
	v_mul_lo_u32 v17, v14, 7
	global_load_b64 v[80:81], v17, s[10:11] scale_offset
	global_load_b128 v[54:57], v[58:59], off
	v_add_nc_u32_e32 v21, 1, v17
	global_load_b64 v[82:83], v21, s[10:11] scale_offset
	global_load_b128 v[58:61], v[66:67], off
	s_wait_xcnt 0x1
	v_add_nc_u32_e32 v21, 2, v17
	global_load_b128 v[62:65], v[66:67], off offset:16
	global_load_b64 v[84:85], v21, s[10:11] scale_offset
	s_wait_xcnt 0x0
	v_dual_add_nc_u32 v14, -4, v16 :: v_dual_add_nc_u32 v21, 4, v17
	s_wait_loadcnt 0xc
	v_xor_b32_e32 v94, 0x80000000, v29
	s_wait_loadcnt 0xb
	v_dual_mov_b32 v95, v28 :: v_dual_mov_b32 v97, v32
	s_wait_loadcnt 0x9
	v_mov_b32_e32 v99, v40
	v_lshl_add_u64 v[74:75], v[14:15], 3, s[8:9]
	v_add_nc_u32_e32 v14, 3, v17
	global_load_b64 v[86:87], v14, s[10:11] scale_offset
	global_load_b128 v[66:69], v[74:75], off
	global_load_b64 v[88:89], v21, s[10:11] scale_offset
	global_load_b128 v[70:73], v[74:75], off offset:16
	s_wait_xcnt 0x3
	v_dual_add_nc_u32 v14, 5, v17 :: v_dual_add_nc_u32 v17, 6, v17
	global_load_b64 v[90:91], v14, s[10:11] scale_offset
	global_load_b128 v[74:77], v[78:79], off offset:16
	global_load_b64 v[92:93], v17, s[10:11] scale_offset
	s_wait_xcnt 0x1
	v_xor_b32_e32 v78, 0x80000000, v25
	v_mov_b32_e32 v79, v24
	v_xor_b32_e32 v98, 0x80000000, v41
	v_xor_b32_e32 v96, 0x80000000, v33
	v_add_nc_u32_e32 v16, 0x380, v16
	s_wait_loadcnt 0xc
	v_pk_fma_f32 v[8:9], v[22:23], v[80:81], v[8:9] op_sel_hi:[1,0,1]
	v_pk_fma_f32 v[12:13], v[24:25], v[80:81], v[12:13] op_sel_hi:[1,0,1]
	;; [unrolled: 1-line block ×4, first 2 shown]
	v_xor_b32_e32 v24, 0x80000000, v49
	v_pk_fma_f32 v[8:9], v[22:23], v[80:81], v[8:9] op_sel:[1,1,0] op_sel_hi:[0,1,1] neg_lo:[1,0,0]
	v_pk_fma_f32 v[12:13], v[78:79], v[80:81], v[12:13] op_sel:[0,1,0]
	v_pk_fma_f32 v[10:11], v[26:27], v[80:81], v[10:11] op_sel:[1,1,0] op_sel_hi:[0,1,1] neg_lo:[1,0,0]
	v_pk_fma_f32 v[0:1], v[94:95], v[80:81], v[0:1] op_sel:[0,1,0]
	v_xor_b32_e32 v22, 0x80000000, v37
	v_dual_mov_b32 v23, v36 :: v_dual_mov_b32 v25, v48
	s_wait_loadcnt 0xa
	v_pk_fma_f32 v[8:9], v[38:39], v[82:83], v[8:9] op_sel_hi:[1,0,1]
	v_pk_fma_f32 v[12:13], v[40:41], v[82:83], v[12:13] op_sel_hi:[1,0,1]
	;; [unrolled: 1-line block ×4, first 2 shown]
	v_xor_b32_e32 v26, 0x80000000, v45
	v_pk_fma_f32 v[8:9], v[38:39], v[82:83], v[8:9] op_sel:[1,1,0] op_sel_hi:[0,1,1] neg_lo:[1,0,0]
	v_pk_fma_f32 v[12:13], v[98:99], v[82:83], v[12:13] op_sel:[0,1,0]
	v_pk_fma_f32 v[10:11], v[34:35], v[82:83], v[10:11] op_sel:[1,1,0] op_sel_hi:[0,1,1] neg_lo:[1,0,0]
	v_pk_fma_f32 v[0:1], v[22:23], v[82:83], v[0:1] op_sel:[0,1,0]
	v_dual_mov_b32 v27, v44 :: v_dual_mov_b32 v29, v56
	s_wait_loadcnt 0x7
	v_pk_fma_f32 v[8:9], v[46:47], v[84:85], v[8:9] op_sel_hi:[1,0,1]
	v_pk_fma_f32 v[12:13], v[48:49], v[84:85], v[12:13] op_sel_hi:[1,0,1]
	;; [unrolled: 1-line block ×4, first 2 shown]
	v_xor_b32_e32 v28, 0x80000000, v57
	v_pk_fma_f32 v[8:9], v[46:47], v[84:85], v[8:9] op_sel:[1,1,0] op_sel_hi:[0,1,1] neg_lo:[1,0,0]
	v_pk_fma_f32 v[12:13], v[24:25], v[84:85], v[12:13] op_sel:[0,1,0]
	v_pk_fma_f32 v[10:11], v[42:43], v[84:85], v[10:11] op_sel:[1,1,0] op_sel_hi:[0,1,1] neg_lo:[1,0,0]
	v_pk_fma_f32 v[0:1], v[26:27], v[84:85], v[0:1] op_sel:[0,1,0]
	v_xor_b32_e32 v78, 0x80000000, v53
	v_dual_mov_b32 v79, v52 :: v_dual_mov_b32 v37, v60
	s_wait_loadcnt 0x6
	v_pk_fma_f32 v[8:9], v[54:55], v[86:87], v[8:9] op_sel_hi:[1,0,1]
	v_pk_fma_f32 v[12:13], v[56:57], v[86:87], v[12:13] op_sel_hi:[1,0,1]
	;; [unrolled: 1-line block ×4, first 2 shown]
	v_xor_b32_e32 v36, 0x80000000, v61
	v_pk_fma_f32 v[8:9], v[54:55], v[86:87], v[8:9] op_sel:[1,1,0] op_sel_hi:[0,1,1] neg_lo:[1,0,0]
	v_pk_fma_f32 v[12:13], v[28:29], v[86:87], v[12:13] op_sel:[0,1,0]
	v_pk_fma_f32 v[10:11], v[50:51], v[86:87], v[10:11] op_sel:[1,1,0] op_sel_hi:[0,1,1] neg_lo:[1,0,0]
	v_pk_fma_f32 v[0:1], v[78:79], v[86:87], v[0:1] op_sel:[0,1,0]
	v_xor_b32_e32 v22, 0x80000000, v65
	s_wait_loadcnt 0x5
	v_dual_mov_b32 v23, v64 :: v_dual_mov_b32 v25, v68
	s_wait_loadcnt 0x4
	v_pk_fma_f32 v[8:9], v[58:59], v[88:89], v[8:9] op_sel_hi:[1,0,1]
	v_pk_fma_f32 v[12:13], v[60:61], v[88:89], v[12:13] op_sel_hi:[1,0,1]
	;; [unrolled: 1-line block ×4, first 2 shown]
	v_xor_b32_e32 v24, 0x80000000, v69
	v_pk_fma_f32 v[8:9], v[58:59], v[88:89], v[8:9] op_sel:[1,1,0] op_sel_hi:[0,1,1] neg_lo:[1,0,0]
	v_pk_fma_f32 v[12:13], v[36:37], v[88:89], v[12:13] op_sel:[0,1,0]
	v_pk_fma_f32 v[10:11], v[62:63], v[88:89], v[10:11] op_sel:[1,1,0] op_sel_hi:[0,1,1] neg_lo:[1,0,0]
	v_pk_fma_f32 v[0:1], v[22:23], v[88:89], v[0:1] op_sel:[0,1,0]
	s_wait_loadcnt 0x3
	v_xor_b32_e32 v26, 0x80000000, v73
	s_wait_loadcnt 0x1
	v_dual_mov_b32 v27, v72 :: v_dual_mov_b32 v23, v76
	v_pk_fma_f32 v[8:9], v[66:67], v[90:91], v[8:9] op_sel_hi:[1,0,1]
	v_pk_fma_f32 v[12:13], v[68:69], v[90:91], v[12:13] op_sel_hi:[1,0,1]
	;; [unrolled: 1-line block ×4, first 2 shown]
	v_xor_b32_e32 v22, 0x80000000, v77
	v_pk_fma_f32 v[8:9], v[66:67], v[90:91], v[8:9] op_sel:[1,1,0] op_sel_hi:[0,1,1] neg_lo:[1,0,0]
	v_pk_fma_f32 v[12:13], v[24:25], v[90:91], v[12:13] op_sel:[0,1,0]
	v_pk_fma_f32 v[10:11], v[70:71], v[90:91], v[10:11] op_sel:[1,1,0] op_sel_hi:[0,1,1] neg_lo:[1,0,0]
	v_pk_fma_f32 v[0:1], v[26:27], v[90:91], v[0:1] op_sel:[0,1,0]
	s_wait_loadcnt 0x0
	v_pk_fma_f32 v[8:9], v[30:31], v[92:93], v[8:9] op_sel_hi:[1,0,1]
	v_pk_fma_f32 v[12:13], v[32:33], v[92:93], v[12:13] op_sel_hi:[1,0,1]
	;; [unrolled: 1-line block ×4, first 2 shown]
	s_delay_alu instid0(VALU_DEP_4) | instskip(NEXT) | instid1(VALU_DEP_4)
	v_pk_fma_f32 v[8:9], v[30:31], v[92:93], v[8:9] op_sel:[1,1,0] op_sel_hi:[0,1,1] neg_lo:[1,0,0]
	v_pk_fma_f32 v[12:13], v[96:97], v[92:93], v[12:13] op_sel:[0,1,0]
	s_delay_alu instid0(VALU_DEP_4) | instskip(NEXT) | instid1(VALU_DEP_4)
	v_pk_fma_f32 v[10:11], v[74:75], v[92:93], v[10:11] op_sel:[1,1,0] op_sel_hi:[0,1,1] neg_lo:[1,0,0]
	v_pk_fma_f32 v[0:1], v[22:23], v[92:93], v[0:1] op_sel:[0,1,0]
	s_and_not1_b32 exec_lo, exec_lo, s4
	s_cbranch_execnz .LBB102_5
; %bb.6:
	s_or_b32 exec_lo, exec_lo, s4
.LBB102_7:
	s_delay_alu instid0(SALU_CYCLE_1)
	s_or_b32 exec_lo, exec_lo, s3
	s_cbranch_execz .LBB102_9
	s_branch .LBB102_14
.LBB102_8:
                                        ; implicit-def: $vgpr9
                                        ; implicit-def: $vgpr1
                                        ; implicit-def: $vgpr11
                                        ; implicit-def: $vgpr13
.LBB102_9:
	v_mov_b32_e32 v9, 0
	s_delay_alu instid0(VALU_DEP_1)
	v_dual_mov_b32 v8, v9 :: v_dual_mov_b32 v1, v9
	v_dual_mov_b32 v0, v9 :: v_dual_mov_b32 v11, v9
	;; [unrolled: 1-line block ×3, first 2 shown]
	v_mov_b32_e32 v12, v9
	s_and_saveexec_b32 s3, s2
	s_cbranch_execz .LBB102_13
; %bb.10:
	v_mad_u32 v16, v19, 28, 27
	v_mov_b32_e32 v15, 0
	s_mov_b32 s2, 0
	s_delay_alu instid0(VALU_DEP_1)
	v_dual_mov_b32 v0, v15 :: v_dual_mov_b32 v1, v15
	v_dual_mov_b32 v10, v15 :: v_dual_mov_b32 v11, v15
	;; [unrolled: 1-line block ×4, first 2 shown]
.LBB102_11:                             ; =>This Inner Loop Header: Depth=1
	global_load_b32 v17, v19, s[6:7] scale_offset
	v_subrev_nc_u32_e32 v14, 27, v16
	v_subrev_nc_u32_e32 v20, 20, v16
	v_dual_add_nc_u32 v21, -13, v16 :: v_dual_add_nc_u32 v22, -6, v16
	v_subrev_nc_u32_e32 v23, 19, v16
	s_delay_alu instid0(VALU_DEP_4)
	v_lshl_add_u64 v[28:29], v[14:15], 3, s[8:9]
	v_dual_add_nc_u32 v24, -12, v16 :: v_dual_add_nc_u32 v25, -5, v16
	v_subrev_nc_u32_e32 v26, 18, v16
	v_dual_add_nc_u32 v27, -11, v16 :: v_dual_add_nc_u32 v60, -4, v16
	v_subrev_nc_u32_e32 v61, 17, v16
	;; [unrolled: 2-line block ×4, first 2 shown]
	v_dual_add_nc_u32 v79, -2, v16 :: v_dual_add_nc_u32 v80, -15, v16
	v_dual_add_nc_u32 v81, -8, v16 :: v_dual_add_nc_u32 v82, -1, v16
	v_subrev_nc_u32_e32 v83, 21, v16
	v_dual_add_nc_u32 v84, -14, v16 :: v_dual_add_nc_u32 v85, -7, v16
	s_clause 0x19
	global_load_b64 v[30:31], v20, s[8:9] scale_offset
	global_load_b64 v[32:33], v21, s[8:9] scale_offset
	;; [unrolled: 1-line block ×15, first 2 shown]
	; meta instruction
	; meta instruction
	;; [unrolled: 1-line block ×15, first 2 shown]
	global_load_b64 v[60:61], v78, s[8:9] scale_offset
	global_load_b64 v[62:63], v79, s[8:9] scale_offset
	;; [unrolled: 1-line block ×9, first 2 shown]
	global_load_b128 v[20:23], v[28:29], off
	global_load_b128 v[24:27], v[28:29], off offset:16
	v_add_nc_u32_e32 v19, 32, v19
	s_wait_xcnt 0x2
	v_add_nc_u32_e32 v16, 0x380, v16
	s_delay_alu instid0(VALU_DEP_2) | instskip(SKIP_3) | instid1(VALU_DEP_1)
	v_cmp_ge_i32_e32 vcc_lo, v19, v18
	s_or_b32 s2, vcc_lo, s2
	s_wait_loadcnt 0x1a
	v_subrev_nc_u32_e32 v14, s12, v17
	v_mul_lo_u32 v14, v14, 7
	global_load_b64 v[28:29], v14, s[10:11] scale_offset
	v_dual_add_nc_u32 v17, 1, v14 :: v_dual_add_nc_u32 v80, 2, v14
	v_add_nc_u32_e32 v81, 3, v14
	global_load_b64 v[78:79], v17, s[10:11] scale_offset
	s_wait_xcnt 0x0
	v_add_nc_u32_e32 v17, 4, v14
	s_wait_loadcnt 0x1
	v_pk_fma_f32 v[12:13], v[30:31], v[28:29], v[12:13] op_sel_hi:[1,0,1]
	v_pk_fma_f32 v[10:11], v[32:33], v[28:29], v[10:11] op_sel_hi:[1,0,1]
	;; [unrolled: 1-line block ×4, first 2 shown]
	s_delay_alu instid0(VALU_DEP_4)
	v_pk_fma_f32 v[12:13], v[30:31], v[28:29], v[12:13] op_sel:[1,1,0] op_sel_hi:[0,1,1] neg_lo:[1,0,0]
	global_load_b64 v[30:31], v80, s[10:11] scale_offset
	v_pk_fma_f32 v[10:11], v[32:33], v[28:29], v[10:11] op_sel:[1,1,0] op_sel_hi:[0,1,1] neg_lo:[1,0,0]
	global_load_b64 v[32:33], v81, s[10:11] scale_offset
	;; [unrolled: 2-line block ×3, first 2 shown]
	s_wait_xcnt 0x2
	v_add_nc_u32_e32 v80, 5, v14
	v_pk_fma_f32 v[8:9], v[20:21], v[28:29], v[8:9] op_sel:[1,1,0] op_sel_hi:[0,1,1] neg_lo:[1,0,0]
	v_mov_b32_e32 v21, v22
	v_xor_b32_e32 v20, 0x80000000, v23
	v_add_nc_u32_e32 v14, 6, v14
	global_load_b64 v[28:29], v80, s[10:11] scale_offset
	s_wait_loadcnt 0x4
	v_pk_fma_f32 v[8:9], v[22:23], v[78:79], v[8:9] op_sel_hi:[1,0,1]
	v_pk_fma_f32 v[12:13], v[36:37], v[78:79], v[12:13] op_sel_hi:[1,0,1]
	;; [unrolled: 1-line block ×4, first 2 shown]
	s_delay_alu instid0(VALU_DEP_4)
	v_pk_fma_f32 v[8:9], v[20:21], v[78:79], v[8:9] op_sel:[0,1,0]
	v_mov_b32_e32 v21, v26
	global_load_b64 v[22:23], v14, s[10:11] scale_offset
	v_pk_fma_f32 v[12:13], v[36:37], v[78:79], v[12:13] op_sel:[1,1,0] op_sel_hi:[0,1,1] neg_lo:[1,0,0]
	v_pk_fma_f32 v[10:11], v[38:39], v[78:79], v[10:11] op_sel:[1,1,0] op_sel_hi:[0,1,1] neg_lo:[1,0,0]
	;; [unrolled: 1-line block ×3, first 2 shown]
	v_xor_b32_e32 v20, 0x80000000, v27
	s_wait_loadcnt 0x4
	v_pk_fma_f32 v[8:9], v[24:25], v[30:31], v[8:9] op_sel_hi:[1,0,1]
	v_pk_fma_f32 v[12:13], v[42:43], v[30:31], v[12:13] op_sel_hi:[1,0,1]
	;; [unrolled: 1-line block ×4, first 2 shown]
	s_delay_alu instid0(VALU_DEP_4) | instskip(NEXT) | instid1(VALU_DEP_4)
	v_pk_fma_f32 v[8:9], v[24:25], v[30:31], v[8:9] op_sel:[1,1,0] op_sel_hi:[0,1,1] neg_lo:[1,0,0]
	v_pk_fma_f32 v[12:13], v[42:43], v[30:31], v[12:13] op_sel:[1,1,0] op_sel_hi:[0,1,1] neg_lo:[1,0,0]
	s_delay_alu instid0(VALU_DEP_4) | instskip(NEXT) | instid1(VALU_DEP_4)
	v_pk_fma_f32 v[10:11], v[44:45], v[30:31], v[10:11] op_sel:[1,1,0] op_sel_hi:[0,1,1] neg_lo:[1,0,0]
	v_pk_fma_f32 v[0:1], v[46:47], v[30:31], v[0:1] op_sel:[1,1,0] op_sel_hi:[0,1,1] neg_lo:[1,0,0]
	s_wait_loadcnt 0x3
	v_pk_fma_f32 v[8:9], v[26:27], v[32:33], v[8:9] op_sel_hi:[1,0,1]
	v_pk_fma_f32 v[12:13], v[50:51], v[32:33], v[12:13] op_sel_hi:[1,0,1]
	;; [unrolled: 1-line block ×4, first 2 shown]
	s_delay_alu instid0(VALU_DEP_4) | instskip(NEXT) | instid1(VALU_DEP_4)
	v_pk_fma_f32 v[8:9], v[20:21], v[32:33], v[8:9] op_sel:[0,1,0]
	v_pk_fma_f32 v[12:13], v[50:51], v[32:33], v[12:13] op_sel:[1,1,0] op_sel_hi:[0,1,1] neg_lo:[1,0,0]
	s_delay_alu instid0(VALU_DEP_4) | instskip(NEXT) | instid1(VALU_DEP_4)
	v_pk_fma_f32 v[10:11], v[52:53], v[32:33], v[10:11] op_sel:[1,1,0] op_sel_hi:[0,1,1] neg_lo:[1,0,0]
	v_pk_fma_f32 v[0:1], v[54:55], v[32:33], v[0:1] op_sel:[1,1,0] op_sel_hi:[0,1,1] neg_lo:[1,0,0]
	s_wait_loadcnt 0x2
	v_pk_fma_f32 v[8:9], v[48:49], v[34:35], v[8:9] op_sel_hi:[1,0,1]
	v_pk_fma_f32 v[12:13], v[58:59], v[34:35], v[12:13] op_sel_hi:[1,0,1]
	v_pk_fma_f32 v[10:11], v[60:61], v[34:35], v[10:11] op_sel_hi:[1,0,1]
	v_pk_fma_f32 v[0:1], v[62:63], v[34:35], v[0:1] op_sel_hi:[1,0,1]
	s_delay_alu instid0(VALU_DEP_4) | instskip(NEXT) | instid1(VALU_DEP_4)
	v_pk_fma_f32 v[8:9], v[48:49], v[34:35], v[8:9] op_sel:[1,1,0] op_sel_hi:[0,1,1] neg_lo:[1,0,0]
	v_pk_fma_f32 v[12:13], v[58:59], v[34:35], v[12:13] op_sel:[1,1,0] op_sel_hi:[0,1,1] neg_lo:[1,0,0]
	s_delay_alu instid0(VALU_DEP_4) | instskip(NEXT) | instid1(VALU_DEP_4)
	v_pk_fma_f32 v[10:11], v[60:61], v[34:35], v[10:11] op_sel:[1,1,0] op_sel_hi:[0,1,1] neg_lo:[1,0,0]
	v_pk_fma_f32 v[0:1], v[62:63], v[34:35], v[0:1] op_sel:[1,1,0] op_sel_hi:[0,1,1] neg_lo:[1,0,0]
	s_wait_loadcnt 0x1
	v_pk_fma_f32 v[8:9], v[56:57], v[28:29], v[8:9] op_sel_hi:[1,0,1]
	v_pk_fma_f32 v[12:13], v[66:67], v[28:29], v[12:13] op_sel_hi:[1,0,1]
	v_pk_fma_f32 v[10:11], v[68:69], v[28:29], v[10:11] op_sel_hi:[1,0,1]
	v_pk_fma_f32 v[0:1], v[70:71], v[28:29], v[0:1] op_sel_hi:[1,0,1]
	s_delay_alu instid0(VALU_DEP_4) | instskip(NEXT) | instid1(VALU_DEP_4)
	v_pk_fma_f32 v[8:9], v[56:57], v[28:29], v[8:9] op_sel:[1,1,0] op_sel_hi:[0,1,1] neg_lo:[1,0,0]
	;; [unrolled: 11-line block ×3, first 2 shown]
	v_pk_fma_f32 v[12:13], v[72:73], v[22:23], v[12:13] op_sel:[1,1,0] op_sel_hi:[0,1,1] neg_lo:[1,0,0]
	s_delay_alu instid0(VALU_DEP_4) | instskip(NEXT) | instid1(VALU_DEP_4)
	v_pk_fma_f32 v[10:11], v[74:75], v[22:23], v[10:11] op_sel:[1,1,0] op_sel_hi:[0,1,1] neg_lo:[1,0,0]
	v_pk_fma_f32 v[0:1], v[76:77], v[22:23], v[0:1] op_sel:[1,1,0] op_sel_hi:[0,1,1] neg_lo:[1,0,0]
	s_and_not1_b32 exec_lo, exec_lo, s2
	s_cbranch_execnz .LBB102_11
; %bb.12:
	s_or_b32 exec_lo, exec_lo, s2
.LBB102_13:
	s_delay_alu instid0(SALU_CYCLE_1)
	s_or_b32 exec_lo, exec_lo, s3
.LBB102_14:
	v_mbcnt_lo_u32_b32 v14, -1, 0
	s_delay_alu instid0(VALU_DEP_1) | instskip(SKIP_1) | instid1(VALU_DEP_1)
	v_xor_b32_e32 v23, 8, v14
	v_xor_b32_e32 v15, 16, v14
	v_cmp_gt_i32_e32 vcc_lo, 32, v15
	v_cndmask_b32_e32 v15, v14, v15, vcc_lo
	s_delay_alu instid0(VALU_DEP_1)
	v_lshlrev_b32_e32 v15, 2, v15
	ds_bpermute_b32 v17, v15, v9
	s_wait_dscnt 0x0
	v_add_f32_e32 v9, v9, v17
	ds_bpermute_b32 v19, v15, v13
	ds_bpermute_b32 v16, v15, v8
	;; [unrolled: 1-line block ×7, first 2 shown]
	s_wait_dscnt 0x6
	v_add_f32_e32 v13, v13, v19
	v_cmp_gt_i32_e32 vcc_lo, 32, v23
	s_wait_dscnt 0x5
	v_add_f32_e32 v8, v8, v16
	s_wait_dscnt 0x2
	v_dual_add_f32 v10, v10, v20 :: v_dual_add_f32 v11, v11, v21
	s_wait_dscnt 0x0
	v_dual_add_f32 v0, v0, v22 :: v_dual_add_f32 v1, v1, v15
	v_dual_cndmask_b32 v23, v14, v23 :: v_dual_add_f32 v12, v12, v18
	s_delay_alu instid0(VALU_DEP_1)
	v_lshlrev_b32_e32 v23, 2, v23
	ds_bpermute_b32 v15, v23, v8
	ds_bpermute_b32 v16, v23, v9
	;; [unrolled: 1-line block ×8, first 2 shown]
	s_wait_dscnt 0x7
	v_dual_add_f32 v8, v8, v15 :: v_dual_bitop2_b32 v23, 4, v14 bitop3:0x14
	s_delay_alu instid0(VALU_DEP_1)
	v_cmp_gt_i32_e32 vcc_lo, 32, v23
	s_wait_dscnt 0x6
	v_add_f32_e32 v9, v9, v16
	s_wait_dscnt 0x3
	v_dual_add_f32 v13, v13, v18 :: v_dual_add_f32 v10, v10, v19
	s_wait_dscnt 0x1
	v_dual_add_f32 v11, v11, v20 :: v_dual_add_f32 v0, v0, v21
	v_dual_cndmask_b32 v23, v14, v23 :: v_dual_add_f32 v12, v12, v17
	s_wait_dscnt 0x0
	s_delay_alu instid0(VALU_DEP_1)
	v_dual_add_f32 v1, v1, v22 :: v_dual_lshlrev_b32 v23, 2, v23
	ds_bpermute_b32 v15, v23, v8
	ds_bpermute_b32 v16, v23, v9
	ds_bpermute_b32 v17, v23, v12
	ds_bpermute_b32 v18, v23, v13
	ds_bpermute_b32 v19, v23, v10
	ds_bpermute_b32 v20, v23, v11
	ds_bpermute_b32 v21, v23, v0
	ds_bpermute_b32 v22, v23, v1
	s_wait_dscnt 0x7
	v_dual_add_f32 v8, v8, v15 :: v_dual_bitop2_b32 v23, 2, v14 bitop3:0x14
	s_delay_alu instid0(VALU_DEP_1)
	v_cmp_gt_i32_e32 vcc_lo, 32, v23
	s_wait_dscnt 0x4
	v_dual_add_f32 v12, v12, v17 :: v_dual_add_f32 v13, v13, v18
	s_wait_dscnt 0x3
	v_dual_add_f32 v9, v9, v16 :: v_dual_add_f32 v15, v10, v19
	s_wait_dscnt 0x2
	v_dual_add_f32 v16, v11, v20 :: v_dual_cndmask_b32 v23, v14, v23
	s_wait_dscnt 0x0
	v_dual_add_f32 v17, v0, v21 :: v_dual_add_f32 v18, v1, v22
	s_delay_alu instid0(VALU_DEP_2)
	v_lshlrev_b32_e32 v23, 2, v23
	ds_bpermute_b32 v0, v23, v8
	ds_bpermute_b32 v1, v23, v9
	;; [unrolled: 1-line block ×8, first 2 shown]
	s_wait_dscnt 0x7
	v_dual_add_f32 v0, v8, v0 :: v_dual_bitop2_b32 v23, 1, v14 bitop3:0x14
	s_delay_alu instid0(VALU_DEP_1)
	v_cmp_gt_i32_e32 vcc_lo, 32, v23
	s_wait_dscnt 0x5
	v_dual_add_f32 v8, v9, v1 :: v_dual_add_f32 v10, v12, v10
	s_wait_dscnt 0x3
	v_add_f32_e32 v12, v15, v19
	v_add_f32_e32 v11, v13, v11
	s_wait_dscnt 0x2
	v_dual_cndmask_b32 v14, v14, v23 :: v_dual_add_f32 v13, v16, v20
	s_wait_dscnt 0x0
	v_dual_add_f32 v1, v17, v21 :: v_dual_add_f32 v9, v18, v22
	v_cmp_eq_u32_e32 vcc_lo, 31, v7
	s_delay_alu instid0(VALU_DEP_3)
	v_lshlrev_b32_e32 v23, 2, v14
	ds_bpermute_b32 v16, v23, v0
	ds_bpermute_b32 v17, v23, v8
	;; [unrolled: 1-line block ×8, first 2 shown]
	s_and_b32 exec_lo, exec_lo, vcc_lo
	s_cbranch_execz .LBB102_19
; %bb.15:
	s_load_b64 s[2:3], s[0:1], 0x38
	v_cmp_eq_f32_e32 vcc_lo, 0, v4
	s_wait_xcnt 0x0
	v_cmp_eq_f32_e64 s0, 0, v5
	s_wait_dscnt 0x7
	v_add_f32_e32 v0, v0, v16
	s_wait_dscnt 0x5
	v_dual_add_f32 v20, v8, v17 :: v_dual_add_f32 v8, v10, v18
	s_wait_dscnt 0x3
	v_dual_add_f32 v18, v11, v19 :: v_dual_add_f32 v10, v12, v21
	s_wait_dscnt 0x2
	v_add_f32_e32 v16, v13, v22
	s_wait_dscnt 0x1
	v_add_f32_e32 v12, v1, v14
	s_wait_dscnt 0x0
	v_add_f32_e32 v14, v9, v15
	s_and_b32 s0, vcc_lo, s0
	s_delay_alu instid0(SALU_CYCLE_1) | instskip(NEXT) | instid1(SALU_CYCLE_1)
	s_and_saveexec_b32 s1, s0
	s_xor_b32 s0, exec_lo, s1
	s_cbranch_execz .LBB102_17
; %bb.16:
	v_xor_b32_e32 v4, 0x80000000, v3
	v_dual_mov_b32 v5, v2 :: v_dual_lshlrev_b32 v6, 2, v6
	s_delay_alu instid0(VALU_DEP_1) | instskip(NEXT) | instid1(VALU_DEP_2)
	v_ashrrev_i32_e32 v7, 31, v6
	v_pk_mul_f32 v[20:21], v[20:21], v[4:5] op_sel_hi:[0,1]
	v_pk_mul_f32 v[18:19], v[18:19], v[4:5] op_sel_hi:[0,1]
	;; [unrolled: 1-line block ×4, first 2 shown]
	s_wait_kmcnt 0x0
	v_lshl_add_u64 v[22:23], v[6:7], 3, s[2:3]
	v_pk_fma_f32 v[4:5], v[2:3], v[0:1], v[20:21] op_sel_hi:[1,0,1]
	v_pk_fma_f32 v[6:7], v[2:3], v[8:9], v[18:19] op_sel_hi:[1,0,1]
	;; [unrolled: 1-line block ×4, first 2 shown]
	s_clause 0x1
	global_store_b128 v[22:23], v[4:7], off
	global_store_b128 v[22:23], v[0:3], off offset:16
                                        ; implicit-def: $vgpr6
                                        ; implicit-def: $vgpr0
                                        ; implicit-def: $vgpr20
                                        ; implicit-def: $vgpr8
                                        ; implicit-def: $vgpr18
                                        ; implicit-def: $vgpr10
                                        ; implicit-def: $vgpr16
                                        ; implicit-def: $vgpr12
                                        ; implicit-def: $vgpr14
                                        ; implicit-def: $vgpr2_vgpr3
                                        ; implicit-def: $vgpr4_vgpr5
.LBB102_17:
	s_wait_xcnt 0x0
	s_and_not1_saveexec_b32 s0, s0
	s_cbranch_execz .LBB102_19
; %bb.18:
	v_lshlrev_b32_e32 v6, 2, v6
	v_xor_b32_e32 v32, 0x80000000, v5
	s_delay_alu instid0(VALU_DEP_2) | instskip(SKIP_1) | instid1(VALU_DEP_1)
	v_dual_mov_b32 v33, v4 :: v_dual_ashrrev_i32 v7, 31, v6
	s_wait_kmcnt 0x0
	v_lshl_add_u64 v[30:31], v[6:7], 3, s[2:3]
	v_xor_b32_e32 v6, 0x80000000, v3
	v_mov_b32_e32 v7, v2
	s_clause 0x1
	global_load_b128 v[22:25], v[30:31], off
	global_load_b128 v[26:29], v[30:31], off offset:16
	v_pk_mul_f32 v[20:21], v[20:21], v[6:7] op_sel_hi:[0,1]
	v_pk_mul_f32 v[18:19], v[18:19], v[6:7] op_sel_hi:[0,1]
	;; [unrolled: 1-line block ×4, first 2 shown]
	s_delay_alu instid0(VALU_DEP_4) | instskip(NEXT) | instid1(VALU_DEP_4)
	v_pk_fma_f32 v[0:1], v[2:3], v[0:1], v[20:21] op_sel_hi:[1,0,1]
	v_pk_fma_f32 v[8:9], v[2:3], v[8:9], v[18:19] op_sel_hi:[1,0,1]
	s_delay_alu instid0(VALU_DEP_4) | instskip(NEXT) | instid1(VALU_DEP_4)
	v_pk_fma_f32 v[10:11], v[2:3], v[10:11], v[16:17] op_sel_hi:[1,0,1]
	v_pk_fma_f32 v[2:3], v[2:3], v[12:13], v[6:7] op_sel_hi:[1,0,1]
	s_wait_loadcnt 0x1
	v_pk_fma_f32 v[0:1], v[4:5], v[22:23], v[0:1] op_sel_hi:[1,0,1]
	v_pk_fma_f32 v[6:7], v[4:5], v[24:25], v[8:9] op_sel_hi:[1,0,1]
	s_wait_loadcnt 0x0
	v_dual_mov_b32 v8, v25 :: v_dual_mov_b32 v14, v29
	v_pk_fma_f32 v[10:11], v[4:5], v[26:27], v[10:11] op_sel_hi:[1,0,1]
	v_pk_fma_f32 v[12:13], v[4:5], v[28:29], v[2:3] op_sel_hi:[1,0,1]
	v_pk_fma_f32 v[0:1], v[32:33], v[22:23], v[0:1] op_sel:[0,1,0]
	s_delay_alu instid0(VALU_DEP_4) | instskip(NEXT) | instid1(VALU_DEP_4)
	v_pk_fma_f32 v[2:3], v[32:33], v[8:9], v[6:7] op_sel_hi:[1,0,1]
	v_pk_fma_f32 v[4:5], v[32:33], v[26:27], v[10:11] op_sel:[0,1,0]
	s_delay_alu instid0(VALU_DEP_4)
	v_pk_fma_f32 v[6:7], v[32:33], v[14:15], v[12:13] op_sel_hi:[1,0,1]
	s_clause 0x1
	global_store_b128 v[30:31], v[0:3], off
	global_store_b128 v[30:31], v[4:7], off offset:16
.LBB102_19:
	s_sendmsg sendmsg(MSG_DEALLOC_VGPRS)
	s_endpgm
	.section	.rodata,"a",@progbits
	.p2align	6, 0x0
	.amdhsa_kernel _ZN9rocsparseL19gebsrmvn_4xn_kernelILj128ELj7ELj32E21rocsparse_complex_numIfEEEvi20rocsparse_direction_NS_24const_host_device_scalarIT2_EEPKiS8_PKS5_SA_S6_PS5_21rocsparse_index_base_b
		.amdhsa_group_segment_fixed_size 0
		.amdhsa_private_segment_fixed_size 0
		.amdhsa_kernarg_size 72
		.amdhsa_user_sgpr_count 2
		.amdhsa_user_sgpr_dispatch_ptr 0
		.amdhsa_user_sgpr_queue_ptr 0
		.amdhsa_user_sgpr_kernarg_segment_ptr 1
		.amdhsa_user_sgpr_dispatch_id 0
		.amdhsa_user_sgpr_kernarg_preload_length 0
		.amdhsa_user_sgpr_kernarg_preload_offset 0
		.amdhsa_user_sgpr_private_segment_size 0
		.amdhsa_wavefront_size32 1
		.amdhsa_uses_dynamic_stack 0
		.amdhsa_enable_private_segment 0
		.amdhsa_system_sgpr_workgroup_id_x 1
		.amdhsa_system_sgpr_workgroup_id_y 0
		.amdhsa_system_sgpr_workgroup_id_z 0
		.amdhsa_system_sgpr_workgroup_info 0
		.amdhsa_system_vgpr_workitem_id 0
		.amdhsa_next_free_vgpr 100
		.amdhsa_next_free_sgpr 14
		.amdhsa_named_barrier_count 0
		.amdhsa_reserve_vcc 1
		.amdhsa_float_round_mode_32 0
		.amdhsa_float_round_mode_16_64 0
		.amdhsa_float_denorm_mode_32 3
		.amdhsa_float_denorm_mode_16_64 3
		.amdhsa_fp16_overflow 0
		.amdhsa_memory_ordered 1
		.amdhsa_forward_progress 1
		.amdhsa_inst_pref_size 33
		.amdhsa_round_robin_scheduling 0
		.amdhsa_exception_fp_ieee_invalid_op 0
		.amdhsa_exception_fp_denorm_src 0
		.amdhsa_exception_fp_ieee_div_zero 0
		.amdhsa_exception_fp_ieee_overflow 0
		.amdhsa_exception_fp_ieee_underflow 0
		.amdhsa_exception_fp_ieee_inexact 0
		.amdhsa_exception_int_div_zero 0
	.end_amdhsa_kernel
	.section	.text._ZN9rocsparseL19gebsrmvn_4xn_kernelILj128ELj7ELj32E21rocsparse_complex_numIfEEEvi20rocsparse_direction_NS_24const_host_device_scalarIT2_EEPKiS8_PKS5_SA_S6_PS5_21rocsparse_index_base_b,"axG",@progbits,_ZN9rocsparseL19gebsrmvn_4xn_kernelILj128ELj7ELj32E21rocsparse_complex_numIfEEEvi20rocsparse_direction_NS_24const_host_device_scalarIT2_EEPKiS8_PKS5_SA_S6_PS5_21rocsparse_index_base_b,comdat
.Lfunc_end102:
	.size	_ZN9rocsparseL19gebsrmvn_4xn_kernelILj128ELj7ELj32E21rocsparse_complex_numIfEEEvi20rocsparse_direction_NS_24const_host_device_scalarIT2_EEPKiS8_PKS5_SA_S6_PS5_21rocsparse_index_base_b, .Lfunc_end102-_ZN9rocsparseL19gebsrmvn_4xn_kernelILj128ELj7ELj32E21rocsparse_complex_numIfEEEvi20rocsparse_direction_NS_24const_host_device_scalarIT2_EEPKiS8_PKS5_SA_S6_PS5_21rocsparse_index_base_b
                                        ; -- End function
	.set _ZN9rocsparseL19gebsrmvn_4xn_kernelILj128ELj7ELj32E21rocsparse_complex_numIfEEEvi20rocsparse_direction_NS_24const_host_device_scalarIT2_EEPKiS8_PKS5_SA_S6_PS5_21rocsparse_index_base_b.num_vgpr, 100
	.set _ZN9rocsparseL19gebsrmvn_4xn_kernelILj128ELj7ELj32E21rocsparse_complex_numIfEEEvi20rocsparse_direction_NS_24const_host_device_scalarIT2_EEPKiS8_PKS5_SA_S6_PS5_21rocsparse_index_base_b.num_agpr, 0
	.set _ZN9rocsparseL19gebsrmvn_4xn_kernelILj128ELj7ELj32E21rocsparse_complex_numIfEEEvi20rocsparse_direction_NS_24const_host_device_scalarIT2_EEPKiS8_PKS5_SA_S6_PS5_21rocsparse_index_base_b.numbered_sgpr, 14
	.set _ZN9rocsparseL19gebsrmvn_4xn_kernelILj128ELj7ELj32E21rocsparse_complex_numIfEEEvi20rocsparse_direction_NS_24const_host_device_scalarIT2_EEPKiS8_PKS5_SA_S6_PS5_21rocsparse_index_base_b.num_named_barrier, 0
	.set _ZN9rocsparseL19gebsrmvn_4xn_kernelILj128ELj7ELj32E21rocsparse_complex_numIfEEEvi20rocsparse_direction_NS_24const_host_device_scalarIT2_EEPKiS8_PKS5_SA_S6_PS5_21rocsparse_index_base_b.private_seg_size, 0
	.set _ZN9rocsparseL19gebsrmvn_4xn_kernelILj128ELj7ELj32E21rocsparse_complex_numIfEEEvi20rocsparse_direction_NS_24const_host_device_scalarIT2_EEPKiS8_PKS5_SA_S6_PS5_21rocsparse_index_base_b.uses_vcc, 1
	.set _ZN9rocsparseL19gebsrmvn_4xn_kernelILj128ELj7ELj32E21rocsparse_complex_numIfEEEvi20rocsparse_direction_NS_24const_host_device_scalarIT2_EEPKiS8_PKS5_SA_S6_PS5_21rocsparse_index_base_b.uses_flat_scratch, 1
	.set _ZN9rocsparseL19gebsrmvn_4xn_kernelILj128ELj7ELj32E21rocsparse_complex_numIfEEEvi20rocsparse_direction_NS_24const_host_device_scalarIT2_EEPKiS8_PKS5_SA_S6_PS5_21rocsparse_index_base_b.has_dyn_sized_stack, 0
	.set _ZN9rocsparseL19gebsrmvn_4xn_kernelILj128ELj7ELj32E21rocsparse_complex_numIfEEEvi20rocsparse_direction_NS_24const_host_device_scalarIT2_EEPKiS8_PKS5_SA_S6_PS5_21rocsparse_index_base_b.has_recursion, 0
	.set _ZN9rocsparseL19gebsrmvn_4xn_kernelILj128ELj7ELj32E21rocsparse_complex_numIfEEEvi20rocsparse_direction_NS_24const_host_device_scalarIT2_EEPKiS8_PKS5_SA_S6_PS5_21rocsparse_index_base_b.has_indirect_call, 0
	.section	.AMDGPU.csdata,"",@progbits
; Kernel info:
; codeLenInByte = 4116
; TotalNumSgprs: 16
; NumVgprs: 100
; ScratchSize: 0
; MemoryBound: 0
; FloatMode: 240
; IeeeMode: 1
; LDSByteSize: 0 bytes/workgroup (compile time only)
; SGPRBlocks: 0
; VGPRBlocks: 6
; NumSGPRsForWavesPerEU: 16
; NumVGPRsForWavesPerEU: 100
; NamedBarCnt: 0
; Occupancy: 9
; WaveLimiterHint : 1
; COMPUTE_PGM_RSRC2:SCRATCH_EN: 0
; COMPUTE_PGM_RSRC2:USER_SGPR: 2
; COMPUTE_PGM_RSRC2:TRAP_HANDLER: 0
; COMPUTE_PGM_RSRC2:TGID_X_EN: 1
; COMPUTE_PGM_RSRC2:TGID_Y_EN: 0
; COMPUTE_PGM_RSRC2:TGID_Z_EN: 0
; COMPUTE_PGM_RSRC2:TIDIG_COMP_CNT: 0
	.section	.text._ZN9rocsparseL19gebsrmvn_4xn_kernelILj128ELj7ELj64E21rocsparse_complex_numIfEEEvi20rocsparse_direction_NS_24const_host_device_scalarIT2_EEPKiS8_PKS5_SA_S6_PS5_21rocsparse_index_base_b,"axG",@progbits,_ZN9rocsparseL19gebsrmvn_4xn_kernelILj128ELj7ELj64E21rocsparse_complex_numIfEEEvi20rocsparse_direction_NS_24const_host_device_scalarIT2_EEPKiS8_PKS5_SA_S6_PS5_21rocsparse_index_base_b,comdat
	.globl	_ZN9rocsparseL19gebsrmvn_4xn_kernelILj128ELj7ELj64E21rocsparse_complex_numIfEEEvi20rocsparse_direction_NS_24const_host_device_scalarIT2_EEPKiS8_PKS5_SA_S6_PS5_21rocsparse_index_base_b ; -- Begin function _ZN9rocsparseL19gebsrmvn_4xn_kernelILj128ELj7ELj64E21rocsparse_complex_numIfEEEvi20rocsparse_direction_NS_24const_host_device_scalarIT2_EEPKiS8_PKS5_SA_S6_PS5_21rocsparse_index_base_b
	.p2align	8
	.type	_ZN9rocsparseL19gebsrmvn_4xn_kernelILj128ELj7ELj64E21rocsparse_complex_numIfEEEvi20rocsparse_direction_NS_24const_host_device_scalarIT2_EEPKiS8_PKS5_SA_S6_PS5_21rocsparse_index_base_b,@function
_ZN9rocsparseL19gebsrmvn_4xn_kernelILj128ELj7ELj64E21rocsparse_complex_numIfEEEvi20rocsparse_direction_NS_24const_host_device_scalarIT2_EEPKiS8_PKS5_SA_S6_PS5_21rocsparse_index_base_b: ; @_ZN9rocsparseL19gebsrmvn_4xn_kernelILj128ELj7ELj64E21rocsparse_complex_numIfEEEvi20rocsparse_direction_NS_24const_host_device_scalarIT2_EEPKiS8_PKS5_SA_S6_PS5_21rocsparse_index_base_b
; %bb.0:
	s_clause 0x2
	s_load_b64 s[12:13], s[0:1], 0x40
	s_load_b64 s[2:3], s[0:1], 0x8
	s_load_b64 s[4:5], s[0:1], 0x30
	v_mov_b32_e32 v1, 0
	s_add_nc_u64 s[6:7], s[0:1], 8
	s_add_nc_u64 s[8:9], s[0:1], 48
	s_wait_kmcnt 0x0
	s_bitcmp1_b32 s13, 0
	s_cselect_b32 s3, s7, s3
	s_cselect_b32 s2, s6, s2
	;; [unrolled: 1-line block ×4, first 2 shown]
	s_clause 0x1
	flat_load_b64 v[2:3], v1, s[2:3]
	flat_load_b64 v[4:5], v1, s[4:5]
	s_wait_loadcnt_dscnt 0x101
	v_cmp_eq_f32_e32 vcc_lo, 0, v2
	v_cmp_eq_f32_e64 s2, 0, v3
	s_wait_loadcnt_dscnt 0x0
	v_cmp_eq_f32_e64 s3, 1.0, v4
	v_cmp_eq_f32_e64 s4, 0, v5
	s_and_b32 s2, vcc_lo, s2
	s_and_b32 s3, s3, s4
	s_delay_alu instid0(SALU_CYCLE_1) | instskip(NEXT) | instid1(SALU_CYCLE_1)
	s_and_b32 s2, s2, s3
	s_xor_b32 s2, s2, -1
	s_delay_alu instid0(SALU_CYCLE_1)
	s_and_saveexec_b32 s3, s2
	s_cbranch_execz .LBB103_19
; %bb.1:
	s_load_b64 s[2:3], s[0:1], 0x0
	s_bfe_u32 s4, ttmp6, 0x4000c
	s_and_b32 s5, ttmp6, 15
	s_add_co_i32 s4, s4, 1
	s_getreg_b32 s6, hwreg(HW_REG_IB_STS2, 6, 4)
	s_mul_i32 s4, ttmp9, s4
	v_lshrrev_b32_e32 v1, 6, v0
	s_add_co_i32 s5, s5, s4
	s_cmp_eq_u32 s6, 0
	s_cselect_b32 s4, ttmp9, s5
	s_delay_alu instid0(VALU_DEP_1) | instid1(SALU_CYCLE_1)
	v_lshl_or_b32 v6, s4, 1, v1
	s_wait_kmcnt 0x0
	s_delay_alu instid0(VALU_DEP_1)
	v_cmp_gt_i32_e32 vcc_lo, s2, v6
	s_and_b32 exec_lo, exec_lo, vcc_lo
	s_cbranch_execz .LBB103_19
; %bb.2:
	s_load_b256 s[4:11], s[0:1], 0x10
	v_ashrrev_i32_e32 v7, 31, v6
	s_cmp_lg_u32 s3, 0
	s_wait_kmcnt 0x0
	s_delay_alu instid0(VALU_DEP_1)
	v_lshl_add_u64 v[8:9], v[6:7], 2, s[4:5]
	v_and_b32_e32 v7, 63, v0
	global_load_b64 v[8:9], v[8:9], off
	s_wait_loadcnt 0x0
	v_subrev_nc_u32_e32 v0, s12, v8
	v_subrev_nc_u32_e32 v18, s12, v9
	s_delay_alu instid0(VALU_DEP_2) | instskip(NEXT) | instid1(VALU_DEP_1)
	v_add_nc_u32_e32 v19, v0, v7
	v_cmp_lt_i32_e64 s2, v19, v18
	s_cbranch_scc0 .LBB103_8
; %bb.3:
	v_mov_b32_e32 v9, 0
	s_delay_alu instid0(VALU_DEP_1)
	v_dual_mov_b32 v8, v9 :: v_dual_mov_b32 v1, v9
	v_dual_mov_b32 v0, v9 :: v_dual_mov_b32 v11, v9
	;; [unrolled: 1-line block ×3, first 2 shown]
	v_mov_b32_e32 v12, v9
	s_and_saveexec_b32 s3, s2
	s_cbranch_execz .LBB103_7
; %bb.4:
	v_mad_u32 v16, v19, 28, 24
	v_dual_mov_b32 v15, 0 :: v_dual_mov_b32 v20, v19
	s_mov_b32 s4, 0
	s_delay_alu instid0(VALU_DEP_1)
	v_dual_mov_b32 v0, v15 :: v_dual_mov_b32 v1, v15
	v_dual_mov_b32 v10, v15 :: v_dual_mov_b32 v11, v15
	;; [unrolled: 1-line block ×4, first 2 shown]
.LBB103_5:                              ; =>This Inner Loop Header: Depth=1
	global_load_b32 v21, v20, s[6:7] scale_offset
	v_subrev_nc_u32_e32 v14, 24, v16
	s_wait_xcnt 0x0
	v_dual_mov_b32 v17, v15 :: v_dual_add_nc_u32 v20, 64, v20
	s_delay_alu instid0(VALU_DEP_2) | instskip(SKIP_1) | instid1(VALU_DEP_3)
	v_lshl_add_u64 v[34:35], v[14:15], 3, s[8:9]
	v_subrev_nc_u32_e32 v14, 20, v16
	v_cmp_ge_i32_e32 vcc_lo, v20, v18
	s_delay_alu instid0(VALU_DEP_2)
	v_lshl_add_u64 v[42:43], v[14:15], 3, s[8:9]
	v_add_nc_u32_e32 v14, -16, v16
	v_lshl_add_u64 v[78:79], v[16:17], 3, s[8:9]
	s_clause 0x2
	global_load_b128 v[22:25], v[34:35], off
	global_load_b128 v[26:29], v[34:35], off offset:16
	global_load_b128 v[30:33], v[78:79], off
	v_lshl_add_u64 v[50:51], v[14:15], 3, s[8:9]
	v_add_nc_u32_e32 v14, -12, v16
	s_clause 0x3
	global_load_b128 v[34:37], v[42:43], off offset:16
	global_load_b128 v[38:41], v[42:43], off
	global_load_b128 v[42:45], v[50:51], off offset:16
	global_load_b128 v[46:49], v[50:51], off
	v_lshl_add_u64 v[58:59], v[14:15], 3, s[8:9]
	v_add_nc_u32_e32 v14, -8, v16
	s_or_b32 s4, vcc_lo, s4
	global_load_b128 v[50:53], v[58:59], off offset:16
	v_lshl_add_u64 v[66:67], v[14:15], 3, s[8:9]
	s_wait_loadcnt 0x8
	v_subrev_nc_u32_e32 v14, s12, v21
	s_delay_alu instid0(VALU_DEP_1)
	v_mul_lo_u32 v17, v14, 7
	global_load_b64 v[80:81], v17, s[10:11] scale_offset
	global_load_b128 v[54:57], v[58:59], off
	v_add_nc_u32_e32 v21, 1, v17
	global_load_b64 v[82:83], v21, s[10:11] scale_offset
	global_load_b128 v[58:61], v[66:67], off
	s_wait_xcnt 0x1
	v_add_nc_u32_e32 v21, 2, v17
	global_load_b128 v[62:65], v[66:67], off offset:16
	global_load_b64 v[84:85], v21, s[10:11] scale_offset
	s_wait_xcnt 0x0
	v_dual_add_nc_u32 v14, -4, v16 :: v_dual_add_nc_u32 v21, 4, v17
	s_wait_loadcnt 0xc
	v_xor_b32_e32 v94, 0x80000000, v29
	s_wait_loadcnt 0xb
	v_dual_mov_b32 v95, v28 :: v_dual_mov_b32 v97, v32
	s_wait_loadcnt 0x9
	v_mov_b32_e32 v99, v40
	v_lshl_add_u64 v[74:75], v[14:15], 3, s[8:9]
	v_add_nc_u32_e32 v14, 3, v17
	global_load_b64 v[86:87], v14, s[10:11] scale_offset
	global_load_b128 v[66:69], v[74:75], off
	global_load_b64 v[88:89], v21, s[10:11] scale_offset
	global_load_b128 v[70:73], v[74:75], off offset:16
	s_wait_xcnt 0x3
	v_dual_add_nc_u32 v14, 5, v17 :: v_dual_add_nc_u32 v17, 6, v17
	global_load_b64 v[90:91], v14, s[10:11] scale_offset
	global_load_b128 v[74:77], v[78:79], off offset:16
	global_load_b64 v[92:93], v17, s[10:11] scale_offset
	s_wait_xcnt 0x1
	v_xor_b32_e32 v78, 0x80000000, v25
	v_mov_b32_e32 v79, v24
	v_xor_b32_e32 v98, 0x80000000, v41
	v_xor_b32_e32 v96, 0x80000000, v33
	v_add_nc_u32_e32 v16, 0x700, v16
	s_wait_loadcnt 0xc
	v_pk_fma_f32 v[8:9], v[22:23], v[80:81], v[8:9] op_sel_hi:[1,0,1]
	v_pk_fma_f32 v[12:13], v[24:25], v[80:81], v[12:13] op_sel_hi:[1,0,1]
	;; [unrolled: 1-line block ×4, first 2 shown]
	v_xor_b32_e32 v24, 0x80000000, v49
	v_pk_fma_f32 v[8:9], v[22:23], v[80:81], v[8:9] op_sel:[1,1,0] op_sel_hi:[0,1,1] neg_lo:[1,0,0]
	v_pk_fma_f32 v[12:13], v[78:79], v[80:81], v[12:13] op_sel:[0,1,0]
	v_pk_fma_f32 v[10:11], v[26:27], v[80:81], v[10:11] op_sel:[1,1,0] op_sel_hi:[0,1,1] neg_lo:[1,0,0]
	v_pk_fma_f32 v[0:1], v[94:95], v[80:81], v[0:1] op_sel:[0,1,0]
	v_xor_b32_e32 v22, 0x80000000, v37
	v_dual_mov_b32 v23, v36 :: v_dual_mov_b32 v25, v48
	s_wait_loadcnt 0xa
	v_pk_fma_f32 v[8:9], v[38:39], v[82:83], v[8:9] op_sel_hi:[1,0,1]
	v_pk_fma_f32 v[12:13], v[40:41], v[82:83], v[12:13] op_sel_hi:[1,0,1]
	;; [unrolled: 1-line block ×4, first 2 shown]
	v_xor_b32_e32 v26, 0x80000000, v45
	v_pk_fma_f32 v[8:9], v[38:39], v[82:83], v[8:9] op_sel:[1,1,0] op_sel_hi:[0,1,1] neg_lo:[1,0,0]
	v_pk_fma_f32 v[12:13], v[98:99], v[82:83], v[12:13] op_sel:[0,1,0]
	v_pk_fma_f32 v[10:11], v[34:35], v[82:83], v[10:11] op_sel:[1,1,0] op_sel_hi:[0,1,1] neg_lo:[1,0,0]
	v_pk_fma_f32 v[0:1], v[22:23], v[82:83], v[0:1] op_sel:[0,1,0]
	v_dual_mov_b32 v27, v44 :: v_dual_mov_b32 v29, v56
	s_wait_loadcnt 0x7
	v_pk_fma_f32 v[8:9], v[46:47], v[84:85], v[8:9] op_sel_hi:[1,0,1]
	v_pk_fma_f32 v[12:13], v[48:49], v[84:85], v[12:13] op_sel_hi:[1,0,1]
	;; [unrolled: 1-line block ×4, first 2 shown]
	v_xor_b32_e32 v28, 0x80000000, v57
	v_pk_fma_f32 v[8:9], v[46:47], v[84:85], v[8:9] op_sel:[1,1,0] op_sel_hi:[0,1,1] neg_lo:[1,0,0]
	v_pk_fma_f32 v[12:13], v[24:25], v[84:85], v[12:13] op_sel:[0,1,0]
	v_pk_fma_f32 v[10:11], v[42:43], v[84:85], v[10:11] op_sel:[1,1,0] op_sel_hi:[0,1,1] neg_lo:[1,0,0]
	v_pk_fma_f32 v[0:1], v[26:27], v[84:85], v[0:1] op_sel:[0,1,0]
	v_xor_b32_e32 v78, 0x80000000, v53
	v_dual_mov_b32 v79, v52 :: v_dual_mov_b32 v37, v60
	s_wait_loadcnt 0x6
	v_pk_fma_f32 v[8:9], v[54:55], v[86:87], v[8:9] op_sel_hi:[1,0,1]
	v_pk_fma_f32 v[12:13], v[56:57], v[86:87], v[12:13] op_sel_hi:[1,0,1]
	;; [unrolled: 1-line block ×4, first 2 shown]
	v_xor_b32_e32 v36, 0x80000000, v61
	v_pk_fma_f32 v[8:9], v[54:55], v[86:87], v[8:9] op_sel:[1,1,0] op_sel_hi:[0,1,1] neg_lo:[1,0,0]
	v_pk_fma_f32 v[12:13], v[28:29], v[86:87], v[12:13] op_sel:[0,1,0]
	v_pk_fma_f32 v[10:11], v[50:51], v[86:87], v[10:11] op_sel:[1,1,0] op_sel_hi:[0,1,1] neg_lo:[1,0,0]
	v_pk_fma_f32 v[0:1], v[78:79], v[86:87], v[0:1] op_sel:[0,1,0]
	v_xor_b32_e32 v22, 0x80000000, v65
	s_wait_loadcnt 0x5
	v_dual_mov_b32 v23, v64 :: v_dual_mov_b32 v25, v68
	s_wait_loadcnt 0x4
	v_pk_fma_f32 v[8:9], v[58:59], v[88:89], v[8:9] op_sel_hi:[1,0,1]
	v_pk_fma_f32 v[12:13], v[60:61], v[88:89], v[12:13] op_sel_hi:[1,0,1]
	;; [unrolled: 1-line block ×4, first 2 shown]
	v_xor_b32_e32 v24, 0x80000000, v69
	v_pk_fma_f32 v[8:9], v[58:59], v[88:89], v[8:9] op_sel:[1,1,0] op_sel_hi:[0,1,1] neg_lo:[1,0,0]
	v_pk_fma_f32 v[12:13], v[36:37], v[88:89], v[12:13] op_sel:[0,1,0]
	v_pk_fma_f32 v[10:11], v[62:63], v[88:89], v[10:11] op_sel:[1,1,0] op_sel_hi:[0,1,1] neg_lo:[1,0,0]
	v_pk_fma_f32 v[0:1], v[22:23], v[88:89], v[0:1] op_sel:[0,1,0]
	s_wait_loadcnt 0x3
	v_xor_b32_e32 v26, 0x80000000, v73
	s_wait_loadcnt 0x1
	v_dual_mov_b32 v27, v72 :: v_dual_mov_b32 v23, v76
	v_pk_fma_f32 v[8:9], v[66:67], v[90:91], v[8:9] op_sel_hi:[1,0,1]
	v_pk_fma_f32 v[12:13], v[68:69], v[90:91], v[12:13] op_sel_hi:[1,0,1]
	;; [unrolled: 1-line block ×4, first 2 shown]
	v_xor_b32_e32 v22, 0x80000000, v77
	v_pk_fma_f32 v[8:9], v[66:67], v[90:91], v[8:9] op_sel:[1,1,0] op_sel_hi:[0,1,1] neg_lo:[1,0,0]
	v_pk_fma_f32 v[12:13], v[24:25], v[90:91], v[12:13] op_sel:[0,1,0]
	v_pk_fma_f32 v[10:11], v[70:71], v[90:91], v[10:11] op_sel:[1,1,0] op_sel_hi:[0,1,1] neg_lo:[1,0,0]
	v_pk_fma_f32 v[0:1], v[26:27], v[90:91], v[0:1] op_sel:[0,1,0]
	s_wait_loadcnt 0x0
	v_pk_fma_f32 v[8:9], v[30:31], v[92:93], v[8:9] op_sel_hi:[1,0,1]
	v_pk_fma_f32 v[12:13], v[32:33], v[92:93], v[12:13] op_sel_hi:[1,0,1]
	;; [unrolled: 1-line block ×4, first 2 shown]
	s_delay_alu instid0(VALU_DEP_4) | instskip(NEXT) | instid1(VALU_DEP_4)
	v_pk_fma_f32 v[8:9], v[30:31], v[92:93], v[8:9] op_sel:[1,1,0] op_sel_hi:[0,1,1] neg_lo:[1,0,0]
	v_pk_fma_f32 v[12:13], v[96:97], v[92:93], v[12:13] op_sel:[0,1,0]
	s_delay_alu instid0(VALU_DEP_4) | instskip(NEXT) | instid1(VALU_DEP_4)
	v_pk_fma_f32 v[10:11], v[74:75], v[92:93], v[10:11] op_sel:[1,1,0] op_sel_hi:[0,1,1] neg_lo:[1,0,0]
	v_pk_fma_f32 v[0:1], v[22:23], v[92:93], v[0:1] op_sel:[0,1,0]
	s_and_not1_b32 exec_lo, exec_lo, s4
	s_cbranch_execnz .LBB103_5
; %bb.6:
	s_or_b32 exec_lo, exec_lo, s4
.LBB103_7:
	s_delay_alu instid0(SALU_CYCLE_1)
	s_or_b32 exec_lo, exec_lo, s3
	s_cbranch_execz .LBB103_9
	s_branch .LBB103_14
.LBB103_8:
                                        ; implicit-def: $vgpr9
                                        ; implicit-def: $vgpr1
                                        ; implicit-def: $vgpr11
                                        ; implicit-def: $vgpr13
.LBB103_9:
	v_mov_b32_e32 v9, 0
	s_delay_alu instid0(VALU_DEP_1)
	v_dual_mov_b32 v8, v9 :: v_dual_mov_b32 v1, v9
	v_dual_mov_b32 v0, v9 :: v_dual_mov_b32 v11, v9
	;; [unrolled: 1-line block ×3, first 2 shown]
	v_mov_b32_e32 v12, v9
	s_and_saveexec_b32 s3, s2
	s_cbranch_execz .LBB103_13
; %bb.10:
	v_mad_u32 v16, v19, 28, 27
	v_mov_b32_e32 v15, 0
	s_mov_b32 s2, 0
	s_delay_alu instid0(VALU_DEP_1)
	v_dual_mov_b32 v0, v15 :: v_dual_mov_b32 v1, v15
	v_dual_mov_b32 v10, v15 :: v_dual_mov_b32 v11, v15
	;; [unrolled: 1-line block ×4, first 2 shown]
.LBB103_11:                             ; =>This Inner Loop Header: Depth=1
	global_load_b32 v17, v19, s[6:7] scale_offset
	v_subrev_nc_u32_e32 v14, 27, v16
	v_subrev_nc_u32_e32 v20, 20, v16
	v_dual_add_nc_u32 v21, -13, v16 :: v_dual_add_nc_u32 v22, -6, v16
	v_subrev_nc_u32_e32 v23, 19, v16
	s_delay_alu instid0(VALU_DEP_4)
	v_lshl_add_u64 v[28:29], v[14:15], 3, s[8:9]
	v_dual_add_nc_u32 v24, -12, v16 :: v_dual_add_nc_u32 v25, -5, v16
	v_subrev_nc_u32_e32 v26, 18, v16
	v_dual_add_nc_u32 v27, -11, v16 :: v_dual_add_nc_u32 v60, -4, v16
	v_subrev_nc_u32_e32 v61, 17, v16
	;; [unrolled: 2-line block ×4, first 2 shown]
	v_dual_add_nc_u32 v79, -2, v16 :: v_dual_add_nc_u32 v80, -15, v16
	v_dual_add_nc_u32 v81, -8, v16 :: v_dual_add_nc_u32 v82, -1, v16
	v_subrev_nc_u32_e32 v83, 21, v16
	v_dual_add_nc_u32 v84, -14, v16 :: v_dual_add_nc_u32 v85, -7, v16
	s_clause 0x19
	global_load_b64 v[30:31], v20, s[8:9] scale_offset
	global_load_b64 v[32:33], v21, s[8:9] scale_offset
	;; [unrolled: 1-line block ×15, first 2 shown]
	; meta instruction
	; meta instruction
	;; [unrolled: 1-line block ×15, first 2 shown]
	global_load_b64 v[60:61], v78, s[8:9] scale_offset
	global_load_b64 v[62:63], v79, s[8:9] scale_offset
	;; [unrolled: 1-line block ×9, first 2 shown]
	global_load_b128 v[20:23], v[28:29], off
	global_load_b128 v[24:27], v[28:29], off offset:16
	v_add_nc_u32_e32 v19, 64, v19
	s_wait_xcnt 0x2
	v_add_nc_u32_e32 v16, 0x700, v16
	s_delay_alu instid0(VALU_DEP_2) | instskip(SKIP_3) | instid1(VALU_DEP_1)
	v_cmp_ge_i32_e32 vcc_lo, v19, v18
	s_or_b32 s2, vcc_lo, s2
	s_wait_loadcnt 0x1a
	v_subrev_nc_u32_e32 v14, s12, v17
	v_mul_lo_u32 v14, v14, 7
	global_load_b64 v[28:29], v14, s[10:11] scale_offset
	v_dual_add_nc_u32 v17, 1, v14 :: v_dual_add_nc_u32 v80, 2, v14
	v_add_nc_u32_e32 v81, 3, v14
	global_load_b64 v[78:79], v17, s[10:11] scale_offset
	s_wait_xcnt 0x0
	v_add_nc_u32_e32 v17, 4, v14
	s_wait_loadcnt 0x1
	v_pk_fma_f32 v[12:13], v[30:31], v[28:29], v[12:13] op_sel_hi:[1,0,1]
	v_pk_fma_f32 v[10:11], v[32:33], v[28:29], v[10:11] op_sel_hi:[1,0,1]
	v_pk_fma_f32 v[0:1], v[34:35], v[28:29], v[0:1] op_sel_hi:[1,0,1]
	v_pk_fma_f32 v[8:9], v[20:21], v[28:29], v[8:9] op_sel_hi:[1,0,1]
	s_delay_alu instid0(VALU_DEP_4)
	v_pk_fma_f32 v[12:13], v[30:31], v[28:29], v[12:13] op_sel:[1,1,0] op_sel_hi:[0,1,1] neg_lo:[1,0,0]
	global_load_b64 v[30:31], v80, s[10:11] scale_offset
	v_pk_fma_f32 v[10:11], v[32:33], v[28:29], v[10:11] op_sel:[1,1,0] op_sel_hi:[0,1,1] neg_lo:[1,0,0]
	global_load_b64 v[32:33], v81, s[10:11] scale_offset
	;; [unrolled: 2-line block ×3, first 2 shown]
	s_wait_xcnt 0x2
	v_add_nc_u32_e32 v80, 5, v14
	v_pk_fma_f32 v[8:9], v[20:21], v[28:29], v[8:9] op_sel:[1,1,0] op_sel_hi:[0,1,1] neg_lo:[1,0,0]
	v_mov_b32_e32 v21, v22
	v_xor_b32_e32 v20, 0x80000000, v23
	v_add_nc_u32_e32 v14, 6, v14
	global_load_b64 v[28:29], v80, s[10:11] scale_offset
	s_wait_loadcnt 0x4
	v_pk_fma_f32 v[8:9], v[22:23], v[78:79], v[8:9] op_sel_hi:[1,0,1]
	v_pk_fma_f32 v[12:13], v[36:37], v[78:79], v[12:13] op_sel_hi:[1,0,1]
	;; [unrolled: 1-line block ×4, first 2 shown]
	s_delay_alu instid0(VALU_DEP_4)
	v_pk_fma_f32 v[8:9], v[20:21], v[78:79], v[8:9] op_sel:[0,1,0]
	v_mov_b32_e32 v21, v26
	global_load_b64 v[22:23], v14, s[10:11] scale_offset
	v_pk_fma_f32 v[12:13], v[36:37], v[78:79], v[12:13] op_sel:[1,1,0] op_sel_hi:[0,1,1] neg_lo:[1,0,0]
	v_pk_fma_f32 v[10:11], v[38:39], v[78:79], v[10:11] op_sel:[1,1,0] op_sel_hi:[0,1,1] neg_lo:[1,0,0]
	;; [unrolled: 1-line block ×3, first 2 shown]
	v_xor_b32_e32 v20, 0x80000000, v27
	s_wait_loadcnt 0x4
	v_pk_fma_f32 v[8:9], v[24:25], v[30:31], v[8:9] op_sel_hi:[1,0,1]
	v_pk_fma_f32 v[12:13], v[42:43], v[30:31], v[12:13] op_sel_hi:[1,0,1]
	;; [unrolled: 1-line block ×4, first 2 shown]
	s_delay_alu instid0(VALU_DEP_4) | instskip(NEXT) | instid1(VALU_DEP_4)
	v_pk_fma_f32 v[8:9], v[24:25], v[30:31], v[8:9] op_sel:[1,1,0] op_sel_hi:[0,1,1] neg_lo:[1,0,0]
	v_pk_fma_f32 v[12:13], v[42:43], v[30:31], v[12:13] op_sel:[1,1,0] op_sel_hi:[0,1,1] neg_lo:[1,0,0]
	s_delay_alu instid0(VALU_DEP_4) | instskip(NEXT) | instid1(VALU_DEP_4)
	v_pk_fma_f32 v[10:11], v[44:45], v[30:31], v[10:11] op_sel:[1,1,0] op_sel_hi:[0,1,1] neg_lo:[1,0,0]
	v_pk_fma_f32 v[0:1], v[46:47], v[30:31], v[0:1] op_sel:[1,1,0] op_sel_hi:[0,1,1] neg_lo:[1,0,0]
	s_wait_loadcnt 0x3
	v_pk_fma_f32 v[8:9], v[26:27], v[32:33], v[8:9] op_sel_hi:[1,0,1]
	v_pk_fma_f32 v[12:13], v[50:51], v[32:33], v[12:13] op_sel_hi:[1,0,1]
	v_pk_fma_f32 v[10:11], v[52:53], v[32:33], v[10:11] op_sel_hi:[1,0,1]
	v_pk_fma_f32 v[0:1], v[54:55], v[32:33], v[0:1] op_sel_hi:[1,0,1]
	s_delay_alu instid0(VALU_DEP_4) | instskip(NEXT) | instid1(VALU_DEP_4)
	v_pk_fma_f32 v[8:9], v[20:21], v[32:33], v[8:9] op_sel:[0,1,0]
	v_pk_fma_f32 v[12:13], v[50:51], v[32:33], v[12:13] op_sel:[1,1,0] op_sel_hi:[0,1,1] neg_lo:[1,0,0]
	s_delay_alu instid0(VALU_DEP_4) | instskip(NEXT) | instid1(VALU_DEP_4)
	v_pk_fma_f32 v[10:11], v[52:53], v[32:33], v[10:11] op_sel:[1,1,0] op_sel_hi:[0,1,1] neg_lo:[1,0,0]
	v_pk_fma_f32 v[0:1], v[54:55], v[32:33], v[0:1] op_sel:[1,1,0] op_sel_hi:[0,1,1] neg_lo:[1,0,0]
	s_wait_loadcnt 0x2
	v_pk_fma_f32 v[8:9], v[48:49], v[34:35], v[8:9] op_sel_hi:[1,0,1]
	v_pk_fma_f32 v[12:13], v[58:59], v[34:35], v[12:13] op_sel_hi:[1,0,1]
	v_pk_fma_f32 v[10:11], v[60:61], v[34:35], v[10:11] op_sel_hi:[1,0,1]
	v_pk_fma_f32 v[0:1], v[62:63], v[34:35], v[0:1] op_sel_hi:[1,0,1]
	s_delay_alu instid0(VALU_DEP_4) | instskip(NEXT) | instid1(VALU_DEP_4)
	v_pk_fma_f32 v[8:9], v[48:49], v[34:35], v[8:9] op_sel:[1,1,0] op_sel_hi:[0,1,1] neg_lo:[1,0,0]
	v_pk_fma_f32 v[12:13], v[58:59], v[34:35], v[12:13] op_sel:[1,1,0] op_sel_hi:[0,1,1] neg_lo:[1,0,0]
	s_delay_alu instid0(VALU_DEP_4) | instskip(NEXT) | instid1(VALU_DEP_4)
	v_pk_fma_f32 v[10:11], v[60:61], v[34:35], v[10:11] op_sel:[1,1,0] op_sel_hi:[0,1,1] neg_lo:[1,0,0]
	v_pk_fma_f32 v[0:1], v[62:63], v[34:35], v[0:1] op_sel:[1,1,0] op_sel_hi:[0,1,1] neg_lo:[1,0,0]
	s_wait_loadcnt 0x1
	v_pk_fma_f32 v[8:9], v[56:57], v[28:29], v[8:9] op_sel_hi:[1,0,1]
	v_pk_fma_f32 v[12:13], v[66:67], v[28:29], v[12:13] op_sel_hi:[1,0,1]
	v_pk_fma_f32 v[10:11], v[68:69], v[28:29], v[10:11] op_sel_hi:[1,0,1]
	v_pk_fma_f32 v[0:1], v[70:71], v[28:29], v[0:1] op_sel_hi:[1,0,1]
	s_delay_alu instid0(VALU_DEP_4) | instskip(NEXT) | instid1(VALU_DEP_4)
	v_pk_fma_f32 v[8:9], v[56:57], v[28:29], v[8:9] op_sel:[1,1,0] op_sel_hi:[0,1,1] neg_lo:[1,0,0]
	;; [unrolled: 11-line block ×3, first 2 shown]
	v_pk_fma_f32 v[12:13], v[72:73], v[22:23], v[12:13] op_sel:[1,1,0] op_sel_hi:[0,1,1] neg_lo:[1,0,0]
	s_delay_alu instid0(VALU_DEP_4) | instskip(NEXT) | instid1(VALU_DEP_4)
	v_pk_fma_f32 v[10:11], v[74:75], v[22:23], v[10:11] op_sel:[1,1,0] op_sel_hi:[0,1,1] neg_lo:[1,0,0]
	v_pk_fma_f32 v[0:1], v[76:77], v[22:23], v[0:1] op_sel:[1,1,0] op_sel_hi:[0,1,1] neg_lo:[1,0,0]
	s_and_not1_b32 exec_lo, exec_lo, s2
	s_cbranch_execnz .LBB103_11
; %bb.12:
	s_or_b32 exec_lo, exec_lo, s2
.LBB103_13:
	s_delay_alu instid0(SALU_CYCLE_1)
	s_or_b32 exec_lo, exec_lo, s3
.LBB103_14:
	v_mbcnt_lo_u32_b32 v14, -1, 0
	s_delay_alu instid0(VALU_DEP_1) | instskip(SKIP_1) | instid1(VALU_DEP_1)
	v_xor_b32_e32 v23, 16, v14
	v_or_b32_e32 v15, 32, v14
	v_cmp_gt_i32_e32 vcc_lo, 32, v15
	v_cndmask_b32_e32 v15, v14, v15, vcc_lo
	s_delay_alu instid0(VALU_DEP_1)
	v_lshlrev_b32_e32 v15, 2, v15
	ds_bpermute_b32 v17, v15, v9
	s_wait_dscnt 0x0
	v_add_f32_e32 v9, v9, v17
	ds_bpermute_b32 v19, v15, v13
	ds_bpermute_b32 v16, v15, v8
	ds_bpermute_b32 v18, v15, v12
	ds_bpermute_b32 v20, v15, v10
	ds_bpermute_b32 v21, v15, v11
	ds_bpermute_b32 v22, v15, v0
	ds_bpermute_b32 v15, v15, v1
	s_wait_dscnt 0x6
	v_add_f32_e32 v13, v13, v19
	v_cmp_gt_i32_e32 vcc_lo, 32, v23
	s_wait_dscnt 0x5
	v_add_f32_e32 v8, v8, v16
	s_wait_dscnt 0x2
	v_dual_add_f32 v10, v10, v20 :: v_dual_add_f32 v11, v11, v21
	s_wait_dscnt 0x0
	v_dual_add_f32 v0, v0, v22 :: v_dual_add_f32 v1, v1, v15
	v_dual_cndmask_b32 v23, v14, v23 :: v_dual_add_f32 v12, v12, v18
	s_delay_alu instid0(VALU_DEP_1)
	v_lshlrev_b32_e32 v23, 2, v23
	ds_bpermute_b32 v15, v23, v8
	ds_bpermute_b32 v16, v23, v9
	;; [unrolled: 1-line block ×8, first 2 shown]
	s_wait_dscnt 0x7
	v_dual_add_f32 v8, v8, v15 :: v_dual_bitop2_b32 v23, 8, v14 bitop3:0x14
	s_delay_alu instid0(VALU_DEP_1)
	v_cmp_gt_i32_e32 vcc_lo, 32, v23
	s_wait_dscnt 0x6
	v_add_f32_e32 v9, v9, v16
	s_wait_dscnt 0x3
	v_dual_add_f32 v13, v13, v18 :: v_dual_add_f32 v10, v10, v19
	s_wait_dscnt 0x1
	v_dual_add_f32 v11, v11, v20 :: v_dual_add_f32 v0, v0, v21
	v_dual_cndmask_b32 v23, v14, v23 :: v_dual_add_f32 v12, v12, v17
	s_wait_dscnt 0x0
	s_delay_alu instid0(VALU_DEP_1)
	v_dual_add_f32 v1, v1, v22 :: v_dual_lshlrev_b32 v23, 2, v23
	ds_bpermute_b32 v15, v23, v8
	ds_bpermute_b32 v16, v23, v9
	;; [unrolled: 1-line block ×8, first 2 shown]
	s_wait_dscnt 0x7
	v_dual_add_f32 v8, v8, v15 :: v_dual_bitop2_b32 v23, 4, v14 bitop3:0x14
	s_delay_alu instid0(VALU_DEP_1)
	v_cmp_gt_i32_e32 vcc_lo, 32, v23
	s_wait_dscnt 0x4
	v_dual_add_f32 v12, v12, v17 :: v_dual_add_f32 v13, v13, v18
	s_wait_dscnt 0x3
	v_dual_add_f32 v9, v9, v16 :: v_dual_add_f32 v10, v10, v19
	s_wait_dscnt 0x2
	v_dual_add_f32 v11, v11, v20 :: v_dual_cndmask_b32 v23, v14, v23, vcc_lo
	s_wait_dscnt 0x0
	v_dual_add_f32 v0, v0, v21 :: v_dual_add_f32 v1, v1, v22
	s_delay_alu instid0(VALU_DEP_2)
	v_lshlrev_b32_e32 v23, 2, v23
	ds_bpermute_b32 v15, v23, v8
	ds_bpermute_b32 v16, v23, v9
	;; [unrolled: 1-line block ×8, first 2 shown]
	s_wait_dscnt 0x7
	v_dual_add_f32 v8, v8, v15 :: v_dual_bitop2_b32 v23, 2, v14 bitop3:0x14
	s_delay_alu instid0(VALU_DEP_1)
	v_cmp_gt_i32_e32 vcc_lo, 32, v23
	s_wait_dscnt 0x5
	v_dual_add_f32 v9, v9, v16 :: v_dual_add_f32 v12, v12, v17
	s_wait_dscnt 0x3
	v_dual_add_f32 v13, v13, v18 :: v_dual_add_f32 v15, v10, v19
	s_wait_dscnt 0x2
	v_dual_cndmask_b32 v23, v14, v23 :: v_dual_add_f32 v16, v11, v20
	s_wait_dscnt 0x0
	v_dual_add_f32 v17, v0, v21 :: v_dual_add_f32 v18, v1, v22
	s_delay_alu instid0(VALU_DEP_2)
	v_lshlrev_b32_e32 v23, 2, v23
	ds_bpermute_b32 v0, v23, v8
	ds_bpermute_b32 v1, v23, v9
	;; [unrolled: 1-line block ×8, first 2 shown]
	s_wait_dscnt 0x7
	v_dual_add_f32 v0, v8, v0 :: v_dual_bitop2_b32 v23, 1, v14 bitop3:0x14
	s_delay_alu instid0(VALU_DEP_1)
	v_cmp_gt_i32_e32 vcc_lo, 32, v23
	s_wait_dscnt 0x5
	v_dual_add_f32 v8, v9, v1 :: v_dual_add_f32 v10, v12, v10
	s_wait_dscnt 0x4
	v_add_f32_e32 v11, v13, v11
	s_wait_dscnt 0x2
	v_dual_add_f32 v12, v15, v19 :: v_dual_add_f32 v13, v16, v20
	s_wait_dscnt 0x1
	v_dual_cndmask_b32 v14, v14, v23 :: v_dual_add_f32 v1, v17, v21
	s_wait_dscnt 0x0
	v_add_f32_e32 v9, v18, v22
	v_cmp_eq_u32_e32 vcc_lo, 63, v7
	s_delay_alu instid0(VALU_DEP_3)
	v_lshlrev_b32_e32 v23, 2, v14
	ds_bpermute_b32 v16, v23, v0
	ds_bpermute_b32 v17, v23, v8
	;; [unrolled: 1-line block ×8, first 2 shown]
	s_and_b32 exec_lo, exec_lo, vcc_lo
	s_cbranch_execz .LBB103_19
; %bb.15:
	s_load_b64 s[2:3], s[0:1], 0x38
	v_cmp_eq_f32_e32 vcc_lo, 0, v4
	s_wait_xcnt 0x0
	v_cmp_eq_f32_e64 s0, 0, v5
	s_wait_dscnt 0x7
	v_add_f32_e32 v0, v0, v16
	s_wait_dscnt 0x5
	v_dual_add_f32 v20, v8, v17 :: v_dual_add_f32 v8, v10, v18
	s_wait_dscnt 0x3
	v_dual_add_f32 v18, v11, v19 :: v_dual_add_f32 v10, v12, v21
	s_wait_dscnt 0x2
	v_add_f32_e32 v16, v13, v22
	s_wait_dscnt 0x1
	v_add_f32_e32 v12, v1, v14
	s_wait_dscnt 0x0
	v_add_f32_e32 v14, v9, v15
	s_and_b32 s0, vcc_lo, s0
	s_delay_alu instid0(SALU_CYCLE_1) | instskip(NEXT) | instid1(SALU_CYCLE_1)
	s_and_saveexec_b32 s1, s0
	s_xor_b32 s0, exec_lo, s1
	s_cbranch_execz .LBB103_17
; %bb.16:
	v_xor_b32_e32 v4, 0x80000000, v3
	v_dual_mov_b32 v5, v2 :: v_dual_lshlrev_b32 v6, 2, v6
	s_delay_alu instid0(VALU_DEP_1) | instskip(NEXT) | instid1(VALU_DEP_2)
	v_ashrrev_i32_e32 v7, 31, v6
	v_pk_mul_f32 v[20:21], v[20:21], v[4:5] op_sel_hi:[0,1]
	v_pk_mul_f32 v[18:19], v[18:19], v[4:5] op_sel_hi:[0,1]
	;; [unrolled: 1-line block ×4, first 2 shown]
	s_wait_kmcnt 0x0
	v_lshl_add_u64 v[22:23], v[6:7], 3, s[2:3]
	v_pk_fma_f32 v[4:5], v[2:3], v[0:1], v[20:21] op_sel_hi:[1,0,1]
	v_pk_fma_f32 v[6:7], v[2:3], v[8:9], v[18:19] op_sel_hi:[1,0,1]
	;; [unrolled: 1-line block ×4, first 2 shown]
	s_clause 0x1
	global_store_b128 v[22:23], v[4:7], off
	global_store_b128 v[22:23], v[0:3], off offset:16
                                        ; implicit-def: $vgpr6
                                        ; implicit-def: $vgpr0
                                        ; implicit-def: $vgpr20
                                        ; implicit-def: $vgpr8
                                        ; implicit-def: $vgpr18
                                        ; implicit-def: $vgpr10
                                        ; implicit-def: $vgpr16
                                        ; implicit-def: $vgpr12
                                        ; implicit-def: $vgpr14
                                        ; implicit-def: $vgpr2_vgpr3
                                        ; implicit-def: $vgpr4_vgpr5
.LBB103_17:
	s_wait_xcnt 0x0
	s_and_not1_saveexec_b32 s0, s0
	s_cbranch_execz .LBB103_19
; %bb.18:
	v_lshlrev_b32_e32 v6, 2, v6
	v_xor_b32_e32 v32, 0x80000000, v5
	s_delay_alu instid0(VALU_DEP_2) | instskip(SKIP_1) | instid1(VALU_DEP_1)
	v_dual_mov_b32 v33, v4 :: v_dual_ashrrev_i32 v7, 31, v6
	s_wait_kmcnt 0x0
	v_lshl_add_u64 v[30:31], v[6:7], 3, s[2:3]
	v_xor_b32_e32 v6, 0x80000000, v3
	v_mov_b32_e32 v7, v2
	s_clause 0x1
	global_load_b128 v[22:25], v[30:31], off
	global_load_b128 v[26:29], v[30:31], off offset:16
	v_pk_mul_f32 v[20:21], v[20:21], v[6:7] op_sel_hi:[0,1]
	v_pk_mul_f32 v[18:19], v[18:19], v[6:7] op_sel_hi:[0,1]
	v_pk_mul_f32 v[16:17], v[16:17], v[6:7] op_sel_hi:[0,1]
	v_pk_mul_f32 v[6:7], v[14:15], v[6:7] op_sel_hi:[0,1]
	s_delay_alu instid0(VALU_DEP_4) | instskip(NEXT) | instid1(VALU_DEP_4)
	v_pk_fma_f32 v[0:1], v[2:3], v[0:1], v[20:21] op_sel_hi:[1,0,1]
	v_pk_fma_f32 v[8:9], v[2:3], v[8:9], v[18:19] op_sel_hi:[1,0,1]
	s_delay_alu instid0(VALU_DEP_4) | instskip(NEXT) | instid1(VALU_DEP_4)
	v_pk_fma_f32 v[10:11], v[2:3], v[10:11], v[16:17] op_sel_hi:[1,0,1]
	v_pk_fma_f32 v[2:3], v[2:3], v[12:13], v[6:7] op_sel_hi:[1,0,1]
	s_wait_loadcnt 0x1
	v_pk_fma_f32 v[0:1], v[4:5], v[22:23], v[0:1] op_sel_hi:[1,0,1]
	v_pk_fma_f32 v[6:7], v[4:5], v[24:25], v[8:9] op_sel_hi:[1,0,1]
	s_wait_loadcnt 0x0
	v_dual_mov_b32 v8, v25 :: v_dual_mov_b32 v14, v29
	v_pk_fma_f32 v[10:11], v[4:5], v[26:27], v[10:11] op_sel_hi:[1,0,1]
	v_pk_fma_f32 v[12:13], v[4:5], v[28:29], v[2:3] op_sel_hi:[1,0,1]
	v_pk_fma_f32 v[0:1], v[32:33], v[22:23], v[0:1] op_sel:[0,1,0]
	s_delay_alu instid0(VALU_DEP_4) | instskip(NEXT) | instid1(VALU_DEP_4)
	v_pk_fma_f32 v[2:3], v[32:33], v[8:9], v[6:7] op_sel_hi:[1,0,1]
	v_pk_fma_f32 v[4:5], v[32:33], v[26:27], v[10:11] op_sel:[0,1,0]
	s_delay_alu instid0(VALU_DEP_4)
	v_pk_fma_f32 v[6:7], v[32:33], v[14:15], v[12:13] op_sel_hi:[1,0,1]
	s_clause 0x1
	global_store_b128 v[30:31], v[0:3], off
	global_store_b128 v[30:31], v[4:7], off offset:16
.LBB103_19:
	s_sendmsg sendmsg(MSG_DEALLOC_VGPRS)
	s_endpgm
	.section	.rodata,"a",@progbits
	.p2align	6, 0x0
	.amdhsa_kernel _ZN9rocsparseL19gebsrmvn_4xn_kernelILj128ELj7ELj64E21rocsparse_complex_numIfEEEvi20rocsparse_direction_NS_24const_host_device_scalarIT2_EEPKiS8_PKS5_SA_S6_PS5_21rocsparse_index_base_b
		.amdhsa_group_segment_fixed_size 0
		.amdhsa_private_segment_fixed_size 0
		.amdhsa_kernarg_size 72
		.amdhsa_user_sgpr_count 2
		.amdhsa_user_sgpr_dispatch_ptr 0
		.amdhsa_user_sgpr_queue_ptr 0
		.amdhsa_user_sgpr_kernarg_segment_ptr 1
		.amdhsa_user_sgpr_dispatch_id 0
		.amdhsa_user_sgpr_kernarg_preload_length 0
		.amdhsa_user_sgpr_kernarg_preload_offset 0
		.amdhsa_user_sgpr_private_segment_size 0
		.amdhsa_wavefront_size32 1
		.amdhsa_uses_dynamic_stack 0
		.amdhsa_enable_private_segment 0
		.amdhsa_system_sgpr_workgroup_id_x 1
		.amdhsa_system_sgpr_workgroup_id_y 0
		.amdhsa_system_sgpr_workgroup_id_z 0
		.amdhsa_system_sgpr_workgroup_info 0
		.amdhsa_system_vgpr_workitem_id 0
		.amdhsa_next_free_vgpr 100
		.amdhsa_next_free_sgpr 14
		.amdhsa_named_barrier_count 0
		.amdhsa_reserve_vcc 1
		.amdhsa_float_round_mode_32 0
		.amdhsa_float_round_mode_16_64 0
		.amdhsa_float_denorm_mode_32 3
		.amdhsa_float_denorm_mode_16_64 3
		.amdhsa_fp16_overflow 0
		.amdhsa_memory_ordered 1
		.amdhsa_forward_progress 1
		.amdhsa_inst_pref_size 34
		.amdhsa_round_robin_scheduling 0
		.amdhsa_exception_fp_ieee_invalid_op 0
		.amdhsa_exception_fp_denorm_src 0
		.amdhsa_exception_fp_ieee_div_zero 0
		.amdhsa_exception_fp_ieee_overflow 0
		.amdhsa_exception_fp_ieee_underflow 0
		.amdhsa_exception_fp_ieee_inexact 0
		.amdhsa_exception_int_div_zero 0
	.end_amdhsa_kernel
	.section	.text._ZN9rocsparseL19gebsrmvn_4xn_kernelILj128ELj7ELj64E21rocsparse_complex_numIfEEEvi20rocsparse_direction_NS_24const_host_device_scalarIT2_EEPKiS8_PKS5_SA_S6_PS5_21rocsparse_index_base_b,"axG",@progbits,_ZN9rocsparseL19gebsrmvn_4xn_kernelILj128ELj7ELj64E21rocsparse_complex_numIfEEEvi20rocsparse_direction_NS_24const_host_device_scalarIT2_EEPKiS8_PKS5_SA_S6_PS5_21rocsparse_index_base_b,comdat
.Lfunc_end103:
	.size	_ZN9rocsparseL19gebsrmvn_4xn_kernelILj128ELj7ELj64E21rocsparse_complex_numIfEEEvi20rocsparse_direction_NS_24const_host_device_scalarIT2_EEPKiS8_PKS5_SA_S6_PS5_21rocsparse_index_base_b, .Lfunc_end103-_ZN9rocsparseL19gebsrmvn_4xn_kernelILj128ELj7ELj64E21rocsparse_complex_numIfEEEvi20rocsparse_direction_NS_24const_host_device_scalarIT2_EEPKiS8_PKS5_SA_S6_PS5_21rocsparse_index_base_b
                                        ; -- End function
	.set _ZN9rocsparseL19gebsrmvn_4xn_kernelILj128ELj7ELj64E21rocsparse_complex_numIfEEEvi20rocsparse_direction_NS_24const_host_device_scalarIT2_EEPKiS8_PKS5_SA_S6_PS5_21rocsparse_index_base_b.num_vgpr, 100
	.set _ZN9rocsparseL19gebsrmvn_4xn_kernelILj128ELj7ELj64E21rocsparse_complex_numIfEEEvi20rocsparse_direction_NS_24const_host_device_scalarIT2_EEPKiS8_PKS5_SA_S6_PS5_21rocsparse_index_base_b.num_agpr, 0
	.set _ZN9rocsparseL19gebsrmvn_4xn_kernelILj128ELj7ELj64E21rocsparse_complex_numIfEEEvi20rocsparse_direction_NS_24const_host_device_scalarIT2_EEPKiS8_PKS5_SA_S6_PS5_21rocsparse_index_base_b.numbered_sgpr, 14
	.set _ZN9rocsparseL19gebsrmvn_4xn_kernelILj128ELj7ELj64E21rocsparse_complex_numIfEEEvi20rocsparse_direction_NS_24const_host_device_scalarIT2_EEPKiS8_PKS5_SA_S6_PS5_21rocsparse_index_base_b.num_named_barrier, 0
	.set _ZN9rocsparseL19gebsrmvn_4xn_kernelILj128ELj7ELj64E21rocsparse_complex_numIfEEEvi20rocsparse_direction_NS_24const_host_device_scalarIT2_EEPKiS8_PKS5_SA_S6_PS5_21rocsparse_index_base_b.private_seg_size, 0
	.set _ZN9rocsparseL19gebsrmvn_4xn_kernelILj128ELj7ELj64E21rocsparse_complex_numIfEEEvi20rocsparse_direction_NS_24const_host_device_scalarIT2_EEPKiS8_PKS5_SA_S6_PS5_21rocsparse_index_base_b.uses_vcc, 1
	.set _ZN9rocsparseL19gebsrmvn_4xn_kernelILj128ELj7ELj64E21rocsparse_complex_numIfEEEvi20rocsparse_direction_NS_24const_host_device_scalarIT2_EEPKiS8_PKS5_SA_S6_PS5_21rocsparse_index_base_b.uses_flat_scratch, 1
	.set _ZN9rocsparseL19gebsrmvn_4xn_kernelILj128ELj7ELj64E21rocsparse_complex_numIfEEEvi20rocsparse_direction_NS_24const_host_device_scalarIT2_EEPKiS8_PKS5_SA_S6_PS5_21rocsparse_index_base_b.has_dyn_sized_stack, 0
	.set _ZN9rocsparseL19gebsrmvn_4xn_kernelILj128ELj7ELj64E21rocsparse_complex_numIfEEEvi20rocsparse_direction_NS_24const_host_device_scalarIT2_EEPKiS8_PKS5_SA_S6_PS5_21rocsparse_index_base_b.has_recursion, 0
	.set _ZN9rocsparseL19gebsrmvn_4xn_kernelILj128ELj7ELj64E21rocsparse_complex_numIfEEEvi20rocsparse_direction_NS_24const_host_device_scalarIT2_EEPKiS8_PKS5_SA_S6_PS5_21rocsparse_index_base_b.has_indirect_call, 0
	.section	.AMDGPU.csdata,"",@progbits
; Kernel info:
; codeLenInByte = 4264
; TotalNumSgprs: 16
; NumVgprs: 100
; ScratchSize: 0
; MemoryBound: 0
; FloatMode: 240
; IeeeMode: 1
; LDSByteSize: 0 bytes/workgroup (compile time only)
; SGPRBlocks: 0
; VGPRBlocks: 6
; NumSGPRsForWavesPerEU: 16
; NumVGPRsForWavesPerEU: 100
; NamedBarCnt: 0
; Occupancy: 9
; WaveLimiterHint : 1
; COMPUTE_PGM_RSRC2:SCRATCH_EN: 0
; COMPUTE_PGM_RSRC2:USER_SGPR: 2
; COMPUTE_PGM_RSRC2:TRAP_HANDLER: 0
; COMPUTE_PGM_RSRC2:TGID_X_EN: 1
; COMPUTE_PGM_RSRC2:TGID_Y_EN: 0
; COMPUTE_PGM_RSRC2:TGID_Z_EN: 0
; COMPUTE_PGM_RSRC2:TIDIG_COMP_CNT: 0
	.section	.text._ZN9rocsparseL19gebsrmvn_4xn_kernelILj128ELj8ELj4E21rocsparse_complex_numIfEEEvi20rocsparse_direction_NS_24const_host_device_scalarIT2_EEPKiS8_PKS5_SA_S6_PS5_21rocsparse_index_base_b,"axG",@progbits,_ZN9rocsparseL19gebsrmvn_4xn_kernelILj128ELj8ELj4E21rocsparse_complex_numIfEEEvi20rocsparse_direction_NS_24const_host_device_scalarIT2_EEPKiS8_PKS5_SA_S6_PS5_21rocsparse_index_base_b,comdat
	.globl	_ZN9rocsparseL19gebsrmvn_4xn_kernelILj128ELj8ELj4E21rocsparse_complex_numIfEEEvi20rocsparse_direction_NS_24const_host_device_scalarIT2_EEPKiS8_PKS5_SA_S6_PS5_21rocsparse_index_base_b ; -- Begin function _ZN9rocsparseL19gebsrmvn_4xn_kernelILj128ELj8ELj4E21rocsparse_complex_numIfEEEvi20rocsparse_direction_NS_24const_host_device_scalarIT2_EEPKiS8_PKS5_SA_S6_PS5_21rocsparse_index_base_b
	.p2align	8
	.type	_ZN9rocsparseL19gebsrmvn_4xn_kernelILj128ELj8ELj4E21rocsparse_complex_numIfEEEvi20rocsparse_direction_NS_24const_host_device_scalarIT2_EEPKiS8_PKS5_SA_S6_PS5_21rocsparse_index_base_b,@function
_ZN9rocsparseL19gebsrmvn_4xn_kernelILj128ELj8ELj4E21rocsparse_complex_numIfEEEvi20rocsparse_direction_NS_24const_host_device_scalarIT2_EEPKiS8_PKS5_SA_S6_PS5_21rocsparse_index_base_b: ; @_ZN9rocsparseL19gebsrmvn_4xn_kernelILj128ELj8ELj4E21rocsparse_complex_numIfEEEvi20rocsparse_direction_NS_24const_host_device_scalarIT2_EEPKiS8_PKS5_SA_S6_PS5_21rocsparse_index_base_b
; %bb.0:
	s_clause 0x2
	s_load_b64 s[12:13], s[0:1], 0x40
	s_load_b64 s[2:3], s[0:1], 0x8
	;; [unrolled: 1-line block ×3, first 2 shown]
	v_mov_b32_e32 v1, 0
	s_add_nc_u64 s[6:7], s[0:1], 8
	s_add_nc_u64 s[8:9], s[0:1], 48
	s_wait_kmcnt 0x0
	s_bitcmp1_b32 s13, 0
	s_cselect_b32 s3, s7, s3
	s_cselect_b32 s2, s6, s2
	;; [unrolled: 1-line block ×4, first 2 shown]
	s_clause 0x1
	flat_load_b64 v[2:3], v1, s[2:3]
	flat_load_b64 v[4:5], v1, s[4:5]
	s_wait_loadcnt_dscnt 0x101
	v_cmp_eq_f32_e32 vcc_lo, 0, v2
	v_cmp_eq_f32_e64 s2, 0, v3
	s_wait_loadcnt_dscnt 0x0
	v_cmp_eq_f32_e64 s3, 1.0, v4
	v_cmp_eq_f32_e64 s4, 0, v5
	s_and_b32 s2, vcc_lo, s2
	s_and_b32 s3, s3, s4
	s_delay_alu instid0(SALU_CYCLE_1) | instskip(NEXT) | instid1(SALU_CYCLE_1)
	s_and_b32 s2, s2, s3
	s_xor_b32 s2, s2, -1
	s_delay_alu instid0(SALU_CYCLE_1)
	s_and_saveexec_b32 s3, s2
	s_cbranch_execz .LBB104_19
; %bb.1:
	s_load_b64 s[2:3], s[0:1], 0x0
	s_bfe_u32 s4, ttmp6, 0x4000c
	s_and_b32 s5, ttmp6, 15
	s_add_co_i32 s4, s4, 1
	s_getreg_b32 s6, hwreg(HW_REG_IB_STS2, 6, 4)
	s_mul_i32 s4, ttmp9, s4
	v_lshrrev_b32_e32 v1, 2, v0
	s_add_co_i32 s5, s5, s4
	s_cmp_eq_u32 s6, 0
	s_cselect_b32 s4, ttmp9, s5
	s_delay_alu instid0(VALU_DEP_1) | instid1(SALU_CYCLE_1)
	v_lshl_or_b32 v6, s4, 5, v1
	s_wait_kmcnt 0x0
	s_delay_alu instid0(VALU_DEP_1)
	v_cmp_gt_i32_e32 vcc_lo, s2, v6
	s_and_b32 exec_lo, exec_lo, vcc_lo
	s_cbranch_execz .LBB104_19
; %bb.2:
	s_load_b256 s[4:11], s[0:1], 0x10
	v_ashrrev_i32_e32 v7, 31, v6
	s_cmp_lg_u32 s3, 0
	s_wait_kmcnt 0x0
	s_delay_alu instid0(VALU_DEP_1)
	v_lshl_add_u64 v[8:9], v[6:7], 2, s[4:5]
	v_and_b32_e32 v7, 3, v0
	global_load_b64 v[8:9], v[8:9], off
	s_wait_loadcnt 0x0
	v_subrev_nc_u32_e32 v0, s12, v8
	v_subrev_nc_u32_e32 v16, s12, v9
	s_delay_alu instid0(VALU_DEP_2) | instskip(NEXT) | instid1(VALU_DEP_1)
	v_add_nc_u32_e32 v17, v0, v7
	v_cmp_lt_i32_e64 s2, v17, v16
	s_cbranch_scc0 .LBB104_8
; %bb.3:
	v_mov_b32_e32 v11, 0
	s_delay_alu instid0(VALU_DEP_1)
	v_dual_mov_b32 v10, v11 :: v_dual_mov_b32 v1, v11
	v_dual_mov_b32 v0, v11 :: v_dual_mov_b32 v9, v11
	v_dual_mov_b32 v8, v11 :: v_dual_mov_b32 v13, v11
	v_mov_b32_e32 v12, v11
	s_and_saveexec_b32 s3, s2
	s_cbranch_execz .LBB104_7
; %bb.4:
	v_dual_mov_b32 v15, 0 :: v_dual_lshlrev_b32 v14, 5, v17
	v_mov_b32_e32 v18, v17
	s_mov_b32 s4, 0
	s_delay_alu instid0(VALU_DEP_2)
	v_dual_mov_b32 v0, v15 :: v_dual_mov_b32 v1, v15
	v_dual_mov_b32 v8, v15 :: v_dual_mov_b32 v9, v15
	;; [unrolled: 1-line block ×4, first 2 shown]
.LBB104_5:                              ; =>This Inner Loop Header: Depth=1
	global_load_b32 v19, v18, s[6:7] scale_offset
	v_lshl_add_u64 v[96:97], v[14:15], 3, s[8:9]
	s_clause 0x5
	global_load_b128 v[20:23], v[96:97], off offset:48
	global_load_b128 v[24:27], v[96:97], off offset:32
	global_load_b128 v[28:31], v[96:97], off
	global_load_b128 v[32:35], v[96:97], off offset:16
	global_load_b128 v[36:39], v[96:97], off offset:80
	global_load_b128 v[40:43], v[96:97], off offset:64
	v_add_nc_u32_e32 v14, 0x80, v14
	s_wait_xcnt 0x6
	v_add_nc_u32_e32 v18, 4, v18
	s_delay_alu instid0(VALU_DEP_1)
	v_cmp_ge_i32_e32 vcc_lo, v18, v16
	s_or_b32 s4, vcc_lo, s4
	s_wait_loadcnt 0x6
	v_subrev_nc_u32_e32 v19, s12, v19
	v_mov_b32_e32 v45, v15
	s_wait_loadcnt 0x3
	v_xor_b32_e32 v98, 0x80000000, v31
	s_delay_alu instid0(VALU_DEP_3) | instskip(NEXT) | instid1(VALU_DEP_1)
	v_dual_mov_b32 v99, v30 :: v_dual_lshlrev_b32 v44, 3, v19
	v_lshl_add_u64 v[92:93], v[44:45], 3, s[10:11]
	global_load_b128 v[44:47], v[92:93], off
	s_clause 0x5
	global_load_b128 v[48:51], v[96:97], off offset:96
	global_load_b128 v[52:55], v[96:97], off offset:128
	;; [unrolled: 1-line block ×7, first 2 shown]
	s_clause 0x1
	global_load_b128 v[76:79], v[96:97], off offset:144
	global_load_b128 v[80:83], v[96:97], off offset:176
	;; [unrolled: 1-line block ×5, first 2 shown]
	s_wait_loadcnt 0xc
	v_pk_fma_f32 v[10:11], v[28:29], v[44:45], v[10:11] op_sel_hi:[1,0,1]
	v_pk_fma_f32 v[12:13], v[30:31], v[44:45], v[12:13] op_sel_hi:[1,0,1]
	;; [unrolled: 1-line block ×4, first 2 shown]
	s_delay_alu instid0(VALU_DEP_4)
	v_pk_fma_f32 v[10:11], v[28:29], v[44:45], v[10:11] op_sel:[1,1,0] op_sel_hi:[0,1,1] neg_lo:[1,0,0]
	global_load_b128 v[28:31], v[96:97], off offset:240
	s_wait_xcnt 0x0
	v_xor_b32_e32 v96, 0x80000000, v35
	v_mov_b32_e32 v97, v34
	v_pk_fma_f32 v[8:9], v[32:33], v[44:45], v[8:9] op_sel:[1,1,0] op_sel_hi:[0,1,1] neg_lo:[1,0,0]
	v_pk_fma_f32 v[12:13], v[98:99], v[44:45], v[12:13] op_sel:[0,1,0]
	v_xor_b32_e32 v32, 0x80000000, v27
	v_dual_mov_b32 v33, v26 :: v_dual_mov_b32 v35, v22
	v_pk_fma_f32 v[0:1], v[96:97], v[44:45], v[0:1] op_sel:[0,1,0]
	v_xor_b32_e32 v34, 0x80000000, v23
	v_pk_fma_f32 v[10:11], v[24:25], v[46:47], v[10:11] op_sel_hi:[1,0,1]
	v_pk_fma_f32 v[12:13], v[26:27], v[46:47], v[12:13] op_sel_hi:[1,0,1]
	;; [unrolled: 1-line block ×4, first 2 shown]
	s_wait_loadcnt 0xc
	v_dual_mov_b32 v22, v47 :: v_dual_mov_b32 v27, v50
	v_xor_b32_e32 v98, 0x80000000, v43
	v_dual_mov_b32 v99, v42 :: v_dual_mov_b32 v45, v38
	s_delay_alu instid0(VALU_DEP_3)
	v_pk_fma_f32 v[10:11], v[24:25], v[22:23], v[10:11] op_sel:[1,0,0] op_sel_hi:[0,0,1] neg_lo:[1,0,0]
	v_pk_fma_f32 v[8:9], v[20:21], v[22:23], v[8:9] op_sel:[1,0,0] op_sel_hi:[0,0,1] neg_lo:[1,0,0]
	v_pk_fma_f32 v[12:13], v[32:33], v[22:23], v[12:13] op_sel_hi:[1,0,1]
	v_pk_fma_f32 v[0:1], v[34:35], v[22:23], v[0:1] op_sel_hi:[1,0,1]
	v_xor_b32_e32 v44, 0x80000000, v39
	s_wait_loadcnt 0x6
	v_pk_fma_f32 v[10:11], v[40:41], v[72:73], v[10:11] op_sel_hi:[1,0,1]
	v_pk_fma_f32 v[8:9], v[36:37], v[72:73], v[8:9] op_sel_hi:[1,0,1]
	;; [unrolled: 1-line block ×4, first 2 shown]
	v_xor_b32_e32 v26, 0x80000000, v51
	v_pk_fma_f32 v[10:11], v[40:41], v[72:73], v[10:11] op_sel:[1,1,0] op_sel_hi:[0,1,1] neg_lo:[1,0,0]
	v_pk_fma_f32 v[8:9], v[36:37], v[72:73], v[8:9] op_sel:[1,1,0] op_sel_hi:[0,1,1] neg_lo:[1,0,0]
	v_pk_fma_f32 v[12:13], v[98:99], v[72:73], v[12:13] op_sel:[0,1,0]
	v_pk_fma_f32 v[0:1], v[44:45], v[72:73], v[0:1] op_sel:[0,1,0]
	v_dual_mov_b32 v21, v62 :: v_dual_mov_b32 v97, v66
	v_xor_b32_e32 v96, 0x80000000, v67
	s_wait_loadcnt 0x4
	v_dual_mov_b32 v34, v75 :: v_dual_mov_b32 v37, v82
	v_pk_fma_f32 v[10:11], v[48:49], v[74:75], v[10:11] op_sel_hi:[1,0,1]
	v_pk_fma_f32 v[12:13], v[50:51], v[74:75], v[12:13] op_sel_hi:[1,0,1]
	;; [unrolled: 1-line block ×4, first 2 shown]
	v_xor_b32_e32 v24, 0x80000000, v55
	v_pk_fma_f32 v[10:11], v[48:49], v[34:35], v[10:11] op_sel:[1,0,0] op_sel_hi:[0,0,1] neg_lo:[1,0,0]
	v_pk_fma_f32 v[12:13], v[26:27], v[34:35], v[12:13] op_sel_hi:[1,0,1]
	v_pk_fma_f32 v[8:9], v[64:65], v[34:35], v[8:9] op_sel:[1,0,0] op_sel_hi:[0,0,1] neg_lo:[1,0,0]
	v_pk_fma_f32 v[0:1], v[96:97], v[34:35], v[0:1] op_sel_hi:[1,0,1]
	v_dual_mov_b32 v25, v54 :: v_dual_mov_b32 v47, v58
	v_dual_mov_b32 v33, v70 :: v_dual_mov_b32 v23, v78
	v_xor_b32_e32 v22, 0x80000000, v79
	s_wait_loadcnt 0x3
	v_pk_fma_f32 v[10:11], v[52:53], v[84:85], v[10:11] op_sel_hi:[1,0,1]
	v_pk_fma_f32 v[12:13], v[54:55], v[84:85], v[12:13] op_sel_hi:[1,0,1]
	;; [unrolled: 1-line block ×4, first 2 shown]
	v_xor_b32_e32 v46, 0x80000000, v59
	v_pk_fma_f32 v[10:11], v[52:53], v[84:85], v[10:11] op_sel:[1,1,0] op_sel_hi:[0,1,1] neg_lo:[1,0,0]
	v_pk_fma_f32 v[12:13], v[24:25], v[84:85], v[12:13] op_sel:[0,1,0]
	v_pk_fma_f32 v[8:9], v[76:77], v[84:85], v[8:9] op_sel:[1,1,0] op_sel_hi:[0,1,1] neg_lo:[1,0,0]
	v_pk_fma_f32 v[0:1], v[22:23], v[84:85], v[0:1] op_sel:[0,1,0]
	v_xor_b32_e32 v36, 0x80000000, v83
	s_wait_loadcnt 0x2
	v_dual_mov_b32 v22, v87 :: v_dual_mov_b32 v27, v90
	v_pk_fma_f32 v[10:11], v[56:57], v[86:87], v[10:11] op_sel_hi:[1,0,1]
	v_pk_fma_f32 v[12:13], v[58:59], v[86:87], v[12:13] op_sel_hi:[1,0,1]
	;; [unrolled: 1-line block ×4, first 2 shown]
	v_xor_b32_e32 v20, 0x80000000, v63
	v_pk_fma_f32 v[10:11], v[56:57], v[22:23], v[10:11] op_sel:[1,0,0] op_sel_hi:[0,0,1] neg_lo:[1,0,0]
	v_pk_fma_f32 v[12:13], v[46:47], v[22:23], v[12:13] op_sel_hi:[1,0,1]
	v_pk_fma_f32 v[8:9], v[80:81], v[22:23], v[8:9] op_sel:[1,0,0] op_sel_hi:[0,0,1] neg_lo:[1,0,0]
	v_pk_fma_f32 v[0:1], v[36:37], v[22:23], v[0:1] op_sel_hi:[1,0,1]
	v_xor_b32_e32 v26, 0x80000000, v91
	s_wait_loadcnt 0x1
	v_pk_fma_f32 v[10:11], v[60:61], v[92:93], v[10:11] op_sel_hi:[1,0,1]
	v_pk_fma_f32 v[12:13], v[62:63], v[92:93], v[12:13] op_sel_hi:[1,0,1]
	;; [unrolled: 1-line block ×4, first 2 shown]
	v_xor_b32_e32 v32, 0x80000000, v71
	v_pk_fma_f32 v[10:11], v[60:61], v[92:93], v[10:11] op_sel:[1,1,0] op_sel_hi:[0,1,1] neg_lo:[1,0,0]
	v_pk_fma_f32 v[12:13], v[20:21], v[92:93], v[12:13] op_sel:[0,1,0]
	v_pk_fma_f32 v[8:9], v[88:89], v[92:93], v[8:9] op_sel:[1,1,0] op_sel_hi:[0,1,1] neg_lo:[1,0,0]
	v_pk_fma_f32 v[0:1], v[26:27], v[92:93], v[0:1] op_sel:[0,1,0]
	v_mov_b32_e32 v20, v95
	v_pk_fma_f32 v[10:11], v[68:69], v[94:95], v[10:11] op_sel_hi:[1,0,1]
	v_pk_fma_f32 v[12:13], v[70:71], v[94:95], v[12:13] op_sel_hi:[1,0,1]
	s_delay_alu instid0(VALU_DEP_2) | instskip(NEXT) | instid1(VALU_DEP_2)
	v_pk_fma_f32 v[10:11], v[68:69], v[20:21], v[10:11] op_sel:[1,0,0] op_sel_hi:[0,0,1] neg_lo:[1,0,0]
	v_pk_fma_f32 v[12:13], v[32:33], v[20:21], v[12:13] op_sel_hi:[1,0,1]
	s_wait_loadcnt 0x0
	v_xor_b32_e32 v22, 0x80000000, v31
	v_mov_b32_e32 v23, v30
	v_pk_fma_f32 v[8:9], v[28:29], v[94:95], v[8:9] op_sel_hi:[1,0,1]
	v_pk_fma_f32 v[0:1], v[30:31], v[94:95], v[0:1] op_sel_hi:[1,0,1]
	s_delay_alu instid0(VALU_DEP_2) | instskip(NEXT) | instid1(VALU_DEP_2)
	v_pk_fma_f32 v[8:9], v[28:29], v[20:21], v[8:9] op_sel:[1,0,0] op_sel_hi:[0,0,1] neg_lo:[1,0,0]
	v_pk_fma_f32 v[0:1], v[22:23], v[20:21], v[0:1] op_sel_hi:[1,0,1]
	s_and_not1_b32 exec_lo, exec_lo, s4
	s_cbranch_execnz .LBB104_5
; %bb.6:
	s_or_b32 exec_lo, exec_lo, s4
.LBB104_7:
	s_delay_alu instid0(SALU_CYCLE_1)
	s_or_b32 exec_lo, exec_lo, s3
	s_cbranch_execz .LBB104_9
	s_branch .LBB104_14
.LBB104_8:
                                        ; implicit-def: $vgpr11
                                        ; implicit-def: $vgpr1
                                        ; implicit-def: $vgpr9
                                        ; implicit-def: $vgpr13
.LBB104_9:
	v_mov_b32_e32 v11, 0
	s_delay_alu instid0(VALU_DEP_1)
	v_dual_mov_b32 v10, v11 :: v_dual_mov_b32 v1, v11
	v_dual_mov_b32 v0, v11 :: v_dual_mov_b32 v9, v11
	;; [unrolled: 1-line block ×3, first 2 shown]
	v_mov_b32_e32 v12, v11
	s_and_saveexec_b32 s3, s2
	s_cbranch_execz .LBB104_13
; %bb.10:
	v_dual_mov_b32 v15, 0 :: v_dual_lshlrev_b32 v14, 5, v17
	s_mov_b32 s2, 0
	s_delay_alu instid0(VALU_DEP_1)
	v_dual_mov_b32 v0, v15 :: v_dual_mov_b32 v1, v15
	v_dual_mov_b32 v8, v15 :: v_dual_mov_b32 v9, v15
	;; [unrolled: 1-line block ×4, first 2 shown]
.LBB104_11:                             ; =>This Inner Loop Header: Depth=1
	global_load_b32 v66, v17, s[6:7] scale_offset
	v_lshl_add_u64 v[74:75], v[14:15], 3, s[8:9]
	s_clause 0xb
	global_load_b128 v[18:21], v[74:75], off
	global_load_b128 v[22:25], v[74:75], off offset:16
	global_load_b128 v[26:29], v[74:75], off offset:80
	;; [unrolled: 1-line block ×11, first 2 shown]
	v_add_nc_u32_e32 v14, 0x80, v14
	s_wait_xcnt 0xc
	v_add_nc_u32_e32 v17, 4, v17
	s_delay_alu instid0(VALU_DEP_1)
	v_cmp_ge_i32_e32 vcc_lo, v17, v16
	s_or_b32 s2, vcc_lo, s2
	s_wait_loadcnt 0xb
	v_mov_b32_e32 v77, v20
	v_xor_b32_e32 v76, 0x80000000, v21
	s_wait_loadcnt 0x8
	v_xor_b32_e32 v82, 0x80000000, v33
	v_mov_b32_e32 v83, v32
	v_subrev_nc_u32_e32 v66, s12, v66
	v_mov_b32_e32 v67, v15
	s_wait_loadcnt 0x6
	v_xor_b32_e32 v84, 0x80000000, v41
	s_wait_loadcnt 0x4
	v_dual_mov_b32 v85, v40 :: v_dual_mov_b32 v89, v48
	v_lshlrev_b32_e32 v66, 3, v66
	v_xor_b32_e32 v88, 0x80000000, v49
	s_delay_alu instid0(VALU_DEP_2)
	v_lshl_add_u64 v[78:79], v[66:67], 3, s[10:11]
	s_clause 0x1
	global_load_b128 v[66:69], v[78:79], off
	global_load_b128 v[70:73], v[78:79], off offset:16
	s_wait_loadcnt 0x1
	v_pk_fma_f32 v[10:11], v[18:19], v[66:67], v[10:11] op_sel_hi:[1,0,1]
	v_pk_fma_f32 v[8:9], v[38:39], v[66:67], v[8:9] op_sel_hi:[1,0,1]
	;; [unrolled: 1-line block ×3, first 2 shown]
	v_mov_b32_e32 v90, v69
	s_delay_alu instid0(VALU_DEP_4) | instskip(NEXT) | instid1(VALU_DEP_4)
	v_pk_fma_f32 v[10:11], v[18:19], v[66:67], v[10:11] op_sel:[1,1,0] op_sel_hi:[0,1,1] neg_lo:[1,0,0]
	v_pk_fma_f32 v[8:9], v[38:39], v[66:67], v[8:9] op_sel:[1,1,0] op_sel_hi:[0,1,1] neg_lo:[1,0,0]
	s_delay_alu instid0(VALU_DEP_4) | instskip(NEXT) | instid1(VALU_DEP_3)
	v_pk_fma_f32 v[0:1], v[46:47], v[66:67], v[0:1] op_sel:[1,1,0] op_sel_hi:[0,1,1] neg_lo:[1,0,0]
	v_pk_fma_f32 v[80:81], v[20:21], v[68:69], v[10:11] op_sel_hi:[1,0,1]
	v_pk_fma_f32 v[10:11], v[30:31], v[66:67], v[12:13] op_sel_hi:[1,0,1]
	s_delay_alu instid0(VALU_DEP_4)
	v_pk_fma_f32 v[86:87], v[40:41], v[68:69], v[8:9] op_sel_hi:[1,0,1]
	global_load_b128 v[18:21], v[74:75], off offset:176
	v_pk_fma_f32 v[0:1], v[48:49], v[68:69], v[0:1] op_sel_hi:[1,0,1]
	global_load_b128 v[46:49], v[78:79], off offset:32
	v_pk_fma_f32 v[10:11], v[30:31], v[66:67], v[10:11] op_sel:[1,1,0] op_sel_hi:[0,1,1] neg_lo:[1,0,0]
	global_load_b128 v[38:41], v[74:75], off offset:224
	v_pk_fma_f32 v[0:1], v[88:89], v[90:91], v[0:1] op_sel_hi:[1,0,1]
	v_pk_fma_f32 v[12:13], v[32:33], v[68:69], v[10:11] op_sel_hi:[1,0,1]
	s_clause 0x1
	global_load_b128 v[30:33], v[74:75], off offset:240
	global_load_b128 v[8:11], v[74:75], off offset:160
	;; [unrolled: 1-line block ×3, first 2 shown]
	s_wait_xcnt 0x1
	v_pk_fma_f32 v[74:75], v[76:77], v[90:91], v[80:81] op_sel_hi:[1,0,1]
	v_pk_fma_f32 v[12:13], v[82:83], v[90:91], v[12:13] op_sel_hi:[1,0,1]
	;; [unrolled: 1-line block ×3, first 2 shown]
	s_wait_loadcnt 0x6
	v_pk_fma_f32 v[0:1], v[42:43], v[70:71], v[0:1] op_sel_hi:[1,0,1]
	s_wait_xcnt 0x0
	v_xor_b32_e32 v78, 0x80000000, v25
	v_pk_fma_f32 v[74:75], v[22:23], v[70:71], v[74:75] op_sel_hi:[1,0,1]
	v_pk_fma_f32 v[12:13], v[26:27], v[70:71], v[12:13] op_sel_hi:[1,0,1]
	;; [unrolled: 1-line block ×3, first 2 shown]
	v_pk_fma_f32 v[0:1], v[42:43], v[70:71], v[0:1] op_sel:[1,1,0] op_sel_hi:[0,1,1] neg_lo:[1,0,0]
	v_mov_b32_e32 v79, v24
	v_pk_fma_f32 v[22:23], v[22:23], v[70:71], v[74:75] op_sel:[1,1,0] op_sel_hi:[0,1,1] neg_lo:[1,0,0]
	v_pk_fma_f32 v[12:13], v[26:27], v[70:71], v[12:13] op_sel:[1,1,0] op_sel_hi:[0,1,1] neg_lo:[1,0,0]
	v_pk_fma_f32 v[34:35], v[34:35], v[70:71], v[76:77] op_sel:[1,1,0] op_sel_hi:[0,1,1] neg_lo:[1,0,0]
	v_xor_b32_e32 v80, 0x80000000, v29
	v_mov_b32_e32 v81, v28
	v_pk_fma_f32 v[22:23], v[24:25], v[72:73], v[22:23] op_sel_hi:[1,0,1]
	v_xor_b32_e32 v24, 0x80000000, v37
	v_mov_b32_e32 v25, v36
	v_xor_b32_e32 v74, 0x80000000, v45
	v_dual_mov_b32 v75, v44 :: v_dual_mov_b32 v27, v56
	v_pk_fma_f32 v[12:13], v[28:29], v[72:73], v[12:13] op_sel_hi:[1,0,1]
	v_pk_fma_f32 v[34:35], v[36:37], v[72:73], v[34:35] op_sel_hi:[1,0,1]
	;; [unrolled: 1-line block ×3, first 2 shown]
	v_mov_b32_e32 v44, v73
	v_xor_b32_e32 v26, 0x80000000, v57
	v_dual_mov_b32 v29, v52 :: v_dual_mov_b32 v37, v64
	v_xor_b32_e32 v36, 0x80000000, v65
	s_delay_alu instid0(VALU_DEP_4)
	v_pk_fma_f32 v[24:25], v[24:25], v[44:45], v[34:35] op_sel_hi:[1,0,1]
	v_mov_b32_e32 v77, v60
	v_xor_b32_e32 v28, 0x80000000, v53
	v_xor_b32_e32 v76, 0x80000000, v61
	s_wait_loadcnt 0x5
	v_xor_b32_e32 v70, 0x80000000, v21
	s_wait_loadcnt 0x3
	v_dual_mov_b32 v71, v20 :: v_dual_mov_b32 v35, v40
	v_pk_fma_f32 v[22:23], v[78:79], v[44:45], v[22:23] op_sel_hi:[1,0,1]
	v_pk_fma_f32 v[12:13], v[80:81], v[44:45], v[12:13] op_sel_hi:[1,0,1]
	;; [unrolled: 1-line block ×3, first 2 shown]
	v_xor_b32_e32 v34, 0x80000000, v41
	s_delay_alu instid0(VALU_DEP_4) | instskip(NEXT) | instid1(VALU_DEP_4)
	v_pk_fma_f32 v[22:23], v[54:55], v[46:47], v[22:23] op_sel_hi:[1,0,1]
	v_pk_fma_f32 v[12:13], v[62:63], v[46:47], v[12:13] op_sel_hi:[1,0,1]
	s_wait_loadcnt 0x1
	v_pk_fma_f32 v[24:25], v[8:9], v[46:47], v[24:25] op_sel_hi:[1,0,1]
	v_pk_fma_f32 v[0:1], v[38:39], v[46:47], v[0:1] op_sel_hi:[1,0,1]
	v_xor_b32_e32 v42, 0x80000000, v11
	v_mov_b32_e32 v43, v10
	v_pk_fma_f32 v[22:23], v[54:55], v[46:47], v[22:23] op_sel:[1,1,0] op_sel_hi:[0,1,1] neg_lo:[1,0,0]
	v_pk_fma_f32 v[12:13], v[62:63], v[46:47], v[12:13] op_sel:[1,1,0] op_sel_hi:[0,1,1] neg_lo:[1,0,0]
	;; [unrolled: 1-line block ×4, first 2 shown]
	v_mov_b32_e32 v24, v49
	v_pk_fma_f32 v[22:23], v[56:57], v[48:49], v[22:23] op_sel_hi:[1,0,1]
	v_pk_fma_f32 v[12:13], v[64:65], v[48:49], v[12:13] op_sel_hi:[1,0,1]
	v_pk_fma_f32 v[8:9], v[10:11], v[48:49], v[8:9] op_sel_hi:[1,0,1]
	v_pk_fma_f32 v[0:1], v[40:41], v[48:49], v[0:1] op_sel_hi:[1,0,1]
	s_delay_alu instid0(VALU_DEP_4) | instskip(NEXT) | instid1(VALU_DEP_4)
	v_pk_fma_f32 v[10:11], v[26:27], v[24:25], v[22:23] op_sel_hi:[1,0,1]
	v_pk_fma_f32 v[12:13], v[36:37], v[24:25], v[12:13] op_sel_hi:[1,0,1]
	s_delay_alu instid0(VALU_DEP_4) | instskip(NEXT) | instid1(VALU_DEP_4)
	v_pk_fma_f32 v[8:9], v[42:43], v[24:25], v[8:9] op_sel_hi:[1,0,1]
	v_pk_fma_f32 v[0:1], v[34:35], v[24:25], v[0:1] op_sel_hi:[1,0,1]
	v_xor_b32_e32 v22, 0x80000000, v33
	v_mov_b32_e32 v23, v32
	s_wait_loadcnt 0x0
	v_pk_fma_f32 v[10:11], v[50:51], v[66:67], v[10:11] op_sel_hi:[1,0,1]
	v_pk_fma_f32 v[12:13], v[58:59], v[66:67], v[12:13] op_sel_hi:[1,0,1]
	v_pk_fma_f32 v[8:9], v[18:19], v[66:67], v[8:9] op_sel_hi:[1,0,1]
	v_pk_fma_f32 v[0:1], v[30:31], v[66:67], v[0:1] op_sel_hi:[1,0,1]
	s_delay_alu instid0(VALU_DEP_4) | instskip(NEXT) | instid1(VALU_DEP_4)
	v_pk_fma_f32 v[10:11], v[50:51], v[66:67], v[10:11] op_sel:[1,1,0] op_sel_hi:[0,1,1] neg_lo:[1,0,0]
	v_pk_fma_f32 v[12:13], v[58:59], v[66:67], v[12:13] op_sel:[1,1,0] op_sel_hi:[0,1,1] neg_lo:[1,0,0]
	s_delay_alu instid0(VALU_DEP_4) | instskip(NEXT) | instid1(VALU_DEP_4)
	v_pk_fma_f32 v[8:9], v[18:19], v[66:67], v[8:9] op_sel:[1,1,0] op_sel_hi:[0,1,1] neg_lo:[1,0,0]
	v_pk_fma_f32 v[0:1], v[30:31], v[66:67], v[0:1] op_sel:[1,1,0] op_sel_hi:[0,1,1] neg_lo:[1,0,0]
	v_mov_b32_e32 v18, v69
	v_pk_fma_f32 v[10:11], v[52:53], v[68:69], v[10:11] op_sel_hi:[1,0,1]
	v_pk_fma_f32 v[12:13], v[60:61], v[68:69], v[12:13] op_sel_hi:[1,0,1]
	;; [unrolled: 1-line block ×4, first 2 shown]
	s_delay_alu instid0(VALU_DEP_4) | instskip(NEXT) | instid1(VALU_DEP_4)
	v_pk_fma_f32 v[10:11], v[28:29], v[18:19], v[10:11] op_sel_hi:[1,0,1]
	v_pk_fma_f32 v[12:13], v[76:77], v[18:19], v[12:13] op_sel_hi:[1,0,1]
	s_delay_alu instid0(VALU_DEP_4) | instskip(NEXT) | instid1(VALU_DEP_4)
	v_pk_fma_f32 v[8:9], v[70:71], v[18:19], v[8:9] op_sel_hi:[1,0,1]
	v_pk_fma_f32 v[0:1], v[22:23], v[18:19], v[0:1] op_sel_hi:[1,0,1]
	s_and_not1_b32 exec_lo, exec_lo, s2
	s_cbranch_execnz .LBB104_11
; %bb.12:
	s_or_b32 exec_lo, exec_lo, s2
.LBB104_13:
	s_delay_alu instid0(SALU_CYCLE_1)
	s_or_b32 exec_lo, exec_lo, s3
.LBB104_14:
	v_mbcnt_lo_u32_b32 v14, -1, 0
	s_delay_alu instid0(VALU_DEP_1) | instskip(NEXT) | instid1(VALU_DEP_1)
	v_xor_b32_e32 v15, 2, v14
	v_cmp_gt_i32_e32 vcc_lo, 32, v15
	v_cndmask_b32_e32 v15, v14, v15, vcc_lo
	s_delay_alu instid0(VALU_DEP_1)
	v_lshlrev_b32_e32 v15, 2, v15
	ds_bpermute_b32 v16, v15, v10
	s_wait_dscnt 0x0
	v_add_f32_e32 v10, v10, v16
	ds_bpermute_b32 v19, v15, v13
	ds_bpermute_b32 v17, v15, v11
	;; [unrolled: 1-line block ×7, first 2 shown]
	s_wait_dscnt 0x6
	v_dual_add_f32 v13, v13, v19 :: v_dual_bitop2_b32 v15, 1, v14 bitop3:0x14
	s_delay_alu instid0(VALU_DEP_1)
	v_cmp_gt_i32_e32 vcc_lo, 32, v15
	s_wait_dscnt 0x4
	v_dual_add_f32 v11, v11, v17 :: v_dual_add_f32 v12, v12, v18
	v_cndmask_b32_e32 v14, v14, v15, vcc_lo
	v_cmp_eq_u32_e32 vcc_lo, 3, v7
	s_wait_dscnt 0x1
	v_dual_add_f32 v15, v9, v21 :: v_dual_add_f32 v9, v0, v22
	s_wait_dscnt 0x0
	v_dual_add_f32 v1, v1, v23 :: v_dual_lshlrev_b32 v24, 2, v14
	v_add_f32_e32 v14, v8, v20
	ds_bpermute_b32 v0, v24, v10
	ds_bpermute_b32 v8, v24, v11
	;; [unrolled: 1-line block ×8, first 2 shown]
	s_and_b32 exec_lo, exec_lo, vcc_lo
	s_cbranch_execz .LBB104_19
; %bb.15:
	s_load_b64 s[2:3], s[0:1], 0x38
	v_cmp_eq_f32_e32 vcc_lo, 0, v4
	s_wait_xcnt 0x0
	v_cmp_eq_f32_e64 s0, 0, v5
	s_wait_dscnt 0x4
	v_dual_add_f32 v0, v10, v0 :: v_dual_add_f32 v18, v13, v18
	s_wait_dscnt 0x3
	v_dual_add_f32 v20, v11, v8 :: v_dual_add_f32 v10, v14, v21
	;; [unrolled: 2-line block ×3, first 2 shown]
	s_wait_dscnt 0x1
	v_add_f32_e32 v12, v9, v17
	s_wait_dscnt 0x0
	v_add_f32_e32 v14, v1, v19
	s_and_b32 s0, vcc_lo, s0
	s_delay_alu instid0(SALU_CYCLE_1) | instskip(NEXT) | instid1(SALU_CYCLE_1)
	s_and_saveexec_b32 s1, s0
	s_xor_b32 s0, exec_lo, s1
	s_cbranch_execz .LBB104_17
; %bb.16:
	v_xor_b32_e32 v4, 0x80000000, v3
	v_dual_mov_b32 v5, v2 :: v_dual_lshlrev_b32 v6, 2, v6
	s_delay_alu instid0(VALU_DEP_1) | instskip(NEXT) | instid1(VALU_DEP_2)
	v_ashrrev_i32_e32 v7, 31, v6
	v_pk_mul_f32 v[20:21], v[20:21], v[4:5] op_sel_hi:[0,1]
	v_pk_mul_f32 v[18:19], v[18:19], v[4:5] op_sel_hi:[0,1]
	;; [unrolled: 1-line block ×4, first 2 shown]
	s_wait_kmcnt 0x0
	v_lshl_add_u64 v[22:23], v[6:7], 3, s[2:3]
	v_pk_fma_f32 v[4:5], v[2:3], v[0:1], v[20:21] op_sel_hi:[1,0,1]
	v_pk_fma_f32 v[6:7], v[2:3], v[8:9], v[18:19] op_sel_hi:[1,0,1]
	;; [unrolled: 1-line block ×4, first 2 shown]
	s_clause 0x1
	global_store_b128 v[22:23], v[4:7], off
	global_store_b128 v[22:23], v[0:3], off offset:16
                                        ; implicit-def: $vgpr6
                                        ; implicit-def: $vgpr0
                                        ; implicit-def: $vgpr20
                                        ; implicit-def: $vgpr8
                                        ; implicit-def: $vgpr18
                                        ; implicit-def: $vgpr10
                                        ; implicit-def: $vgpr16
                                        ; implicit-def: $vgpr12
                                        ; implicit-def: $vgpr14
                                        ; implicit-def: $vgpr2_vgpr3
                                        ; implicit-def: $vgpr4_vgpr5
.LBB104_17:
	s_wait_xcnt 0x0
	s_and_not1_saveexec_b32 s0, s0
	s_cbranch_execz .LBB104_19
; %bb.18:
	v_lshlrev_b32_e32 v6, 2, v6
	v_xor_b32_e32 v32, 0x80000000, v5
	s_delay_alu instid0(VALU_DEP_2) | instskip(SKIP_1) | instid1(VALU_DEP_1)
	v_dual_mov_b32 v33, v4 :: v_dual_ashrrev_i32 v7, 31, v6
	s_wait_kmcnt 0x0
	v_lshl_add_u64 v[30:31], v[6:7], 3, s[2:3]
	v_xor_b32_e32 v6, 0x80000000, v3
	v_mov_b32_e32 v7, v2
	s_clause 0x1
	global_load_b128 v[22:25], v[30:31], off
	global_load_b128 v[26:29], v[30:31], off offset:16
	v_pk_mul_f32 v[20:21], v[20:21], v[6:7] op_sel_hi:[0,1]
	v_pk_mul_f32 v[18:19], v[18:19], v[6:7] op_sel_hi:[0,1]
	;; [unrolled: 1-line block ×4, first 2 shown]
	s_delay_alu instid0(VALU_DEP_4) | instskip(NEXT) | instid1(VALU_DEP_4)
	v_pk_fma_f32 v[0:1], v[2:3], v[0:1], v[20:21] op_sel_hi:[1,0,1]
	v_pk_fma_f32 v[8:9], v[2:3], v[8:9], v[18:19] op_sel_hi:[1,0,1]
	s_delay_alu instid0(VALU_DEP_4) | instskip(NEXT) | instid1(VALU_DEP_4)
	v_pk_fma_f32 v[10:11], v[2:3], v[10:11], v[16:17] op_sel_hi:[1,0,1]
	v_pk_fma_f32 v[2:3], v[2:3], v[12:13], v[6:7] op_sel_hi:[1,0,1]
	s_wait_loadcnt 0x1
	v_pk_fma_f32 v[0:1], v[4:5], v[22:23], v[0:1] op_sel_hi:[1,0,1]
	v_pk_fma_f32 v[6:7], v[4:5], v[24:25], v[8:9] op_sel_hi:[1,0,1]
	s_wait_loadcnt 0x0
	v_dual_mov_b32 v8, v25 :: v_dual_mov_b32 v14, v29
	v_pk_fma_f32 v[10:11], v[4:5], v[26:27], v[10:11] op_sel_hi:[1,0,1]
	v_pk_fma_f32 v[12:13], v[4:5], v[28:29], v[2:3] op_sel_hi:[1,0,1]
	v_pk_fma_f32 v[0:1], v[32:33], v[22:23], v[0:1] op_sel:[0,1,0]
	s_delay_alu instid0(VALU_DEP_4) | instskip(NEXT) | instid1(VALU_DEP_4)
	v_pk_fma_f32 v[2:3], v[32:33], v[8:9], v[6:7] op_sel_hi:[1,0,1]
	v_pk_fma_f32 v[4:5], v[32:33], v[26:27], v[10:11] op_sel:[0,1,0]
	s_delay_alu instid0(VALU_DEP_4)
	v_pk_fma_f32 v[6:7], v[32:33], v[14:15], v[12:13] op_sel_hi:[1,0,1]
	s_clause 0x1
	global_store_b128 v[30:31], v[0:3], off
	global_store_b128 v[30:31], v[4:7], off offset:16
.LBB104_19:
	s_sendmsg sendmsg(MSG_DEALLOC_VGPRS)
	s_endpgm
	.section	.rodata,"a",@progbits
	.p2align	6, 0x0
	.amdhsa_kernel _ZN9rocsparseL19gebsrmvn_4xn_kernelILj128ELj8ELj4E21rocsparse_complex_numIfEEEvi20rocsparse_direction_NS_24const_host_device_scalarIT2_EEPKiS8_PKS5_SA_S6_PS5_21rocsparse_index_base_b
		.amdhsa_group_segment_fixed_size 0
		.amdhsa_private_segment_fixed_size 0
		.amdhsa_kernarg_size 72
		.amdhsa_user_sgpr_count 2
		.amdhsa_user_sgpr_dispatch_ptr 0
		.amdhsa_user_sgpr_queue_ptr 0
		.amdhsa_user_sgpr_kernarg_segment_ptr 1
		.amdhsa_user_sgpr_dispatch_id 0
		.amdhsa_user_sgpr_kernarg_preload_length 0
		.amdhsa_user_sgpr_kernarg_preload_offset 0
		.amdhsa_user_sgpr_private_segment_size 0
		.amdhsa_wavefront_size32 1
		.amdhsa_uses_dynamic_stack 0
		.amdhsa_enable_private_segment 0
		.amdhsa_system_sgpr_workgroup_id_x 1
		.amdhsa_system_sgpr_workgroup_id_y 0
		.amdhsa_system_sgpr_workgroup_id_z 0
		.amdhsa_system_sgpr_workgroup_info 0
		.amdhsa_system_vgpr_workitem_id 0
		.amdhsa_next_free_vgpr 100
		.amdhsa_next_free_sgpr 14
		.amdhsa_named_barrier_count 0
		.amdhsa_reserve_vcc 1
		.amdhsa_float_round_mode_32 0
		.amdhsa_float_round_mode_16_64 0
		.amdhsa_float_denorm_mode_32 3
		.amdhsa_float_denorm_mode_16_64 3
		.amdhsa_fp16_overflow 0
		.amdhsa_memory_ordered 1
		.amdhsa_forward_progress 1
		.amdhsa_inst_pref_size 29
		.amdhsa_round_robin_scheduling 0
		.amdhsa_exception_fp_ieee_invalid_op 0
		.amdhsa_exception_fp_denorm_src 0
		.amdhsa_exception_fp_ieee_div_zero 0
		.amdhsa_exception_fp_ieee_overflow 0
		.amdhsa_exception_fp_ieee_underflow 0
		.amdhsa_exception_fp_ieee_inexact 0
		.amdhsa_exception_int_div_zero 0
	.end_amdhsa_kernel
	.section	.text._ZN9rocsparseL19gebsrmvn_4xn_kernelILj128ELj8ELj4E21rocsparse_complex_numIfEEEvi20rocsparse_direction_NS_24const_host_device_scalarIT2_EEPKiS8_PKS5_SA_S6_PS5_21rocsparse_index_base_b,"axG",@progbits,_ZN9rocsparseL19gebsrmvn_4xn_kernelILj128ELj8ELj4E21rocsparse_complex_numIfEEEvi20rocsparse_direction_NS_24const_host_device_scalarIT2_EEPKiS8_PKS5_SA_S6_PS5_21rocsparse_index_base_b,comdat
.Lfunc_end104:
	.size	_ZN9rocsparseL19gebsrmvn_4xn_kernelILj128ELj8ELj4E21rocsparse_complex_numIfEEEvi20rocsparse_direction_NS_24const_host_device_scalarIT2_EEPKiS8_PKS5_SA_S6_PS5_21rocsparse_index_base_b, .Lfunc_end104-_ZN9rocsparseL19gebsrmvn_4xn_kernelILj128ELj8ELj4E21rocsparse_complex_numIfEEEvi20rocsparse_direction_NS_24const_host_device_scalarIT2_EEPKiS8_PKS5_SA_S6_PS5_21rocsparse_index_base_b
                                        ; -- End function
	.set _ZN9rocsparseL19gebsrmvn_4xn_kernelILj128ELj8ELj4E21rocsparse_complex_numIfEEEvi20rocsparse_direction_NS_24const_host_device_scalarIT2_EEPKiS8_PKS5_SA_S6_PS5_21rocsparse_index_base_b.num_vgpr, 100
	.set _ZN9rocsparseL19gebsrmvn_4xn_kernelILj128ELj8ELj4E21rocsparse_complex_numIfEEEvi20rocsparse_direction_NS_24const_host_device_scalarIT2_EEPKiS8_PKS5_SA_S6_PS5_21rocsparse_index_base_b.num_agpr, 0
	.set _ZN9rocsparseL19gebsrmvn_4xn_kernelILj128ELj8ELj4E21rocsparse_complex_numIfEEEvi20rocsparse_direction_NS_24const_host_device_scalarIT2_EEPKiS8_PKS5_SA_S6_PS5_21rocsparse_index_base_b.numbered_sgpr, 14
	.set _ZN9rocsparseL19gebsrmvn_4xn_kernelILj128ELj8ELj4E21rocsparse_complex_numIfEEEvi20rocsparse_direction_NS_24const_host_device_scalarIT2_EEPKiS8_PKS5_SA_S6_PS5_21rocsparse_index_base_b.num_named_barrier, 0
	.set _ZN9rocsparseL19gebsrmvn_4xn_kernelILj128ELj8ELj4E21rocsparse_complex_numIfEEEvi20rocsparse_direction_NS_24const_host_device_scalarIT2_EEPKiS8_PKS5_SA_S6_PS5_21rocsparse_index_base_b.private_seg_size, 0
	.set _ZN9rocsparseL19gebsrmvn_4xn_kernelILj128ELj8ELj4E21rocsparse_complex_numIfEEEvi20rocsparse_direction_NS_24const_host_device_scalarIT2_EEPKiS8_PKS5_SA_S6_PS5_21rocsparse_index_base_b.uses_vcc, 1
	.set _ZN9rocsparseL19gebsrmvn_4xn_kernelILj128ELj8ELj4E21rocsparse_complex_numIfEEEvi20rocsparse_direction_NS_24const_host_device_scalarIT2_EEPKiS8_PKS5_SA_S6_PS5_21rocsparse_index_base_b.uses_flat_scratch, 1
	.set _ZN9rocsparseL19gebsrmvn_4xn_kernelILj128ELj8ELj4E21rocsparse_complex_numIfEEEvi20rocsparse_direction_NS_24const_host_device_scalarIT2_EEPKiS8_PKS5_SA_S6_PS5_21rocsparse_index_base_b.has_dyn_sized_stack, 0
	.set _ZN9rocsparseL19gebsrmvn_4xn_kernelILj128ELj8ELj4E21rocsparse_complex_numIfEEEvi20rocsparse_direction_NS_24const_host_device_scalarIT2_EEPKiS8_PKS5_SA_S6_PS5_21rocsparse_index_base_b.has_recursion, 0
	.set _ZN9rocsparseL19gebsrmvn_4xn_kernelILj128ELj8ELj4E21rocsparse_complex_numIfEEEvi20rocsparse_direction_NS_24const_host_device_scalarIT2_EEPKiS8_PKS5_SA_S6_PS5_21rocsparse_index_base_b.has_indirect_call, 0
	.section	.AMDGPU.csdata,"",@progbits
; Kernel info:
; codeLenInByte = 3612
; TotalNumSgprs: 16
; NumVgprs: 100
; ScratchSize: 0
; MemoryBound: 0
; FloatMode: 240
; IeeeMode: 1
; LDSByteSize: 0 bytes/workgroup (compile time only)
; SGPRBlocks: 0
; VGPRBlocks: 6
; NumSGPRsForWavesPerEU: 16
; NumVGPRsForWavesPerEU: 100
; NamedBarCnt: 0
; Occupancy: 9
; WaveLimiterHint : 1
; COMPUTE_PGM_RSRC2:SCRATCH_EN: 0
; COMPUTE_PGM_RSRC2:USER_SGPR: 2
; COMPUTE_PGM_RSRC2:TRAP_HANDLER: 0
; COMPUTE_PGM_RSRC2:TGID_X_EN: 1
; COMPUTE_PGM_RSRC2:TGID_Y_EN: 0
; COMPUTE_PGM_RSRC2:TGID_Z_EN: 0
; COMPUTE_PGM_RSRC2:TIDIG_COMP_CNT: 0
	.section	.text._ZN9rocsparseL19gebsrmvn_4xn_kernelILj128ELj8ELj8E21rocsparse_complex_numIfEEEvi20rocsparse_direction_NS_24const_host_device_scalarIT2_EEPKiS8_PKS5_SA_S6_PS5_21rocsparse_index_base_b,"axG",@progbits,_ZN9rocsparseL19gebsrmvn_4xn_kernelILj128ELj8ELj8E21rocsparse_complex_numIfEEEvi20rocsparse_direction_NS_24const_host_device_scalarIT2_EEPKiS8_PKS5_SA_S6_PS5_21rocsparse_index_base_b,comdat
	.globl	_ZN9rocsparseL19gebsrmvn_4xn_kernelILj128ELj8ELj8E21rocsparse_complex_numIfEEEvi20rocsparse_direction_NS_24const_host_device_scalarIT2_EEPKiS8_PKS5_SA_S6_PS5_21rocsparse_index_base_b ; -- Begin function _ZN9rocsparseL19gebsrmvn_4xn_kernelILj128ELj8ELj8E21rocsparse_complex_numIfEEEvi20rocsparse_direction_NS_24const_host_device_scalarIT2_EEPKiS8_PKS5_SA_S6_PS5_21rocsparse_index_base_b
	.p2align	8
	.type	_ZN9rocsparseL19gebsrmvn_4xn_kernelILj128ELj8ELj8E21rocsparse_complex_numIfEEEvi20rocsparse_direction_NS_24const_host_device_scalarIT2_EEPKiS8_PKS5_SA_S6_PS5_21rocsparse_index_base_b,@function
_ZN9rocsparseL19gebsrmvn_4xn_kernelILj128ELj8ELj8E21rocsparse_complex_numIfEEEvi20rocsparse_direction_NS_24const_host_device_scalarIT2_EEPKiS8_PKS5_SA_S6_PS5_21rocsparse_index_base_b: ; @_ZN9rocsparseL19gebsrmvn_4xn_kernelILj128ELj8ELj8E21rocsparse_complex_numIfEEEvi20rocsparse_direction_NS_24const_host_device_scalarIT2_EEPKiS8_PKS5_SA_S6_PS5_21rocsparse_index_base_b
; %bb.0:
	s_clause 0x2
	s_load_b64 s[12:13], s[0:1], 0x40
	s_load_b64 s[2:3], s[0:1], 0x8
	s_load_b64 s[4:5], s[0:1], 0x30
	v_mov_b32_e32 v1, 0
	s_add_nc_u64 s[6:7], s[0:1], 8
	s_add_nc_u64 s[8:9], s[0:1], 48
	s_wait_kmcnt 0x0
	s_bitcmp1_b32 s13, 0
	s_cselect_b32 s3, s7, s3
	s_cselect_b32 s2, s6, s2
	;; [unrolled: 1-line block ×4, first 2 shown]
	s_clause 0x1
	flat_load_b64 v[2:3], v1, s[2:3]
	flat_load_b64 v[4:5], v1, s[4:5]
	s_wait_loadcnt_dscnt 0x101
	v_cmp_eq_f32_e32 vcc_lo, 0, v2
	v_cmp_eq_f32_e64 s2, 0, v3
	s_wait_loadcnt_dscnt 0x0
	v_cmp_eq_f32_e64 s3, 1.0, v4
	v_cmp_eq_f32_e64 s4, 0, v5
	s_and_b32 s2, vcc_lo, s2
	s_and_b32 s3, s3, s4
	s_delay_alu instid0(SALU_CYCLE_1) | instskip(NEXT) | instid1(SALU_CYCLE_1)
	s_and_b32 s2, s2, s3
	s_xor_b32 s2, s2, -1
	s_delay_alu instid0(SALU_CYCLE_1)
	s_and_saveexec_b32 s3, s2
	s_cbranch_execz .LBB105_19
; %bb.1:
	s_load_b64 s[2:3], s[0:1], 0x0
	s_bfe_u32 s4, ttmp6, 0x4000c
	s_and_b32 s5, ttmp6, 15
	s_add_co_i32 s4, s4, 1
	s_getreg_b32 s6, hwreg(HW_REG_IB_STS2, 6, 4)
	s_mul_i32 s4, ttmp9, s4
	v_lshrrev_b32_e32 v1, 3, v0
	s_add_co_i32 s5, s5, s4
	s_cmp_eq_u32 s6, 0
	s_cselect_b32 s4, ttmp9, s5
	s_delay_alu instid0(VALU_DEP_1) | instid1(SALU_CYCLE_1)
	v_lshl_or_b32 v6, s4, 4, v1
	s_wait_kmcnt 0x0
	s_delay_alu instid0(VALU_DEP_1)
	v_cmp_gt_i32_e32 vcc_lo, s2, v6
	s_and_b32 exec_lo, exec_lo, vcc_lo
	s_cbranch_execz .LBB105_19
; %bb.2:
	s_load_b256 s[4:11], s[0:1], 0x10
	v_ashrrev_i32_e32 v7, 31, v6
	s_cmp_lg_u32 s3, 0
	s_wait_kmcnt 0x0
	s_delay_alu instid0(VALU_DEP_1)
	v_lshl_add_u64 v[8:9], v[6:7], 2, s[4:5]
	v_and_b32_e32 v7, 7, v0
	global_load_b64 v[8:9], v[8:9], off
	s_wait_loadcnt 0x0
	v_subrev_nc_u32_e32 v0, s12, v8
	v_subrev_nc_u32_e32 v16, s12, v9
	s_delay_alu instid0(VALU_DEP_2) | instskip(NEXT) | instid1(VALU_DEP_1)
	v_add_nc_u32_e32 v17, v0, v7
	v_cmp_lt_i32_e64 s2, v17, v16
	s_cbranch_scc0 .LBB105_8
; %bb.3:
	v_mov_b32_e32 v11, 0
	s_delay_alu instid0(VALU_DEP_1)
	v_dual_mov_b32 v10, v11 :: v_dual_mov_b32 v1, v11
	v_dual_mov_b32 v0, v11 :: v_dual_mov_b32 v9, v11
	;; [unrolled: 1-line block ×3, first 2 shown]
	v_mov_b32_e32 v12, v11
	s_and_saveexec_b32 s3, s2
	s_cbranch_execz .LBB105_7
; %bb.4:
	v_dual_mov_b32 v15, 0 :: v_dual_lshlrev_b32 v14, 5, v17
	v_mov_b32_e32 v18, v17
	s_mov_b32 s4, 0
	s_delay_alu instid0(VALU_DEP_2)
	v_dual_mov_b32 v0, v15 :: v_dual_mov_b32 v1, v15
	v_dual_mov_b32 v8, v15 :: v_dual_mov_b32 v9, v15
	;; [unrolled: 1-line block ×4, first 2 shown]
.LBB105_5:                              ; =>This Inner Loop Header: Depth=1
	global_load_b32 v19, v18, s[6:7] scale_offset
	v_lshl_add_u64 v[96:97], v[14:15], 3, s[8:9]
	s_clause 0x5
	global_load_b128 v[20:23], v[96:97], off offset:48
	global_load_b128 v[24:27], v[96:97], off offset:32
	global_load_b128 v[28:31], v[96:97], off
	global_load_b128 v[32:35], v[96:97], off offset:16
	global_load_b128 v[36:39], v[96:97], off offset:80
	;; [unrolled: 1-line block ×3, first 2 shown]
	v_add_nc_u32_e32 v14, 0x100, v14
	s_wait_xcnt 0x6
	v_add_nc_u32_e32 v18, 8, v18
	s_delay_alu instid0(VALU_DEP_1)
	v_cmp_ge_i32_e32 vcc_lo, v18, v16
	s_or_b32 s4, vcc_lo, s4
	s_wait_loadcnt 0x6
	v_subrev_nc_u32_e32 v19, s12, v19
	v_mov_b32_e32 v45, v15
	s_wait_loadcnt 0x3
	v_xor_b32_e32 v98, 0x80000000, v31
	s_delay_alu instid0(VALU_DEP_3) | instskip(NEXT) | instid1(VALU_DEP_1)
	v_dual_mov_b32 v99, v30 :: v_dual_lshlrev_b32 v44, 3, v19
	v_lshl_add_u64 v[92:93], v[44:45], 3, s[10:11]
	global_load_b128 v[44:47], v[92:93], off
	s_clause 0x5
	global_load_b128 v[48:51], v[96:97], off offset:96
	global_load_b128 v[52:55], v[96:97], off offset:128
	;; [unrolled: 1-line block ×7, first 2 shown]
	s_clause 0x1
	global_load_b128 v[76:79], v[96:97], off offset:144
	global_load_b128 v[80:83], v[96:97], off offset:176
	;; [unrolled: 1-line block ×5, first 2 shown]
	s_wait_loadcnt 0xc
	v_pk_fma_f32 v[10:11], v[28:29], v[44:45], v[10:11] op_sel_hi:[1,0,1]
	v_pk_fma_f32 v[12:13], v[30:31], v[44:45], v[12:13] op_sel_hi:[1,0,1]
	;; [unrolled: 1-line block ×4, first 2 shown]
	s_delay_alu instid0(VALU_DEP_4)
	v_pk_fma_f32 v[10:11], v[28:29], v[44:45], v[10:11] op_sel:[1,1,0] op_sel_hi:[0,1,1] neg_lo:[1,0,0]
	global_load_b128 v[28:31], v[96:97], off offset:240
	s_wait_xcnt 0x0
	v_xor_b32_e32 v96, 0x80000000, v35
	v_mov_b32_e32 v97, v34
	v_pk_fma_f32 v[8:9], v[32:33], v[44:45], v[8:9] op_sel:[1,1,0] op_sel_hi:[0,1,1] neg_lo:[1,0,0]
	v_pk_fma_f32 v[12:13], v[98:99], v[44:45], v[12:13] op_sel:[0,1,0]
	v_xor_b32_e32 v32, 0x80000000, v27
	v_dual_mov_b32 v33, v26 :: v_dual_mov_b32 v35, v22
	v_pk_fma_f32 v[0:1], v[96:97], v[44:45], v[0:1] op_sel:[0,1,0]
	v_xor_b32_e32 v34, 0x80000000, v23
	v_pk_fma_f32 v[10:11], v[24:25], v[46:47], v[10:11] op_sel_hi:[1,0,1]
	v_pk_fma_f32 v[12:13], v[26:27], v[46:47], v[12:13] op_sel_hi:[1,0,1]
	;; [unrolled: 1-line block ×4, first 2 shown]
	s_wait_loadcnt 0xc
	v_dual_mov_b32 v22, v47 :: v_dual_mov_b32 v27, v50
	v_xor_b32_e32 v98, 0x80000000, v43
	v_dual_mov_b32 v99, v42 :: v_dual_mov_b32 v45, v38
	s_delay_alu instid0(VALU_DEP_3)
	v_pk_fma_f32 v[10:11], v[24:25], v[22:23], v[10:11] op_sel:[1,0,0] op_sel_hi:[0,0,1] neg_lo:[1,0,0]
	v_pk_fma_f32 v[8:9], v[20:21], v[22:23], v[8:9] op_sel:[1,0,0] op_sel_hi:[0,0,1] neg_lo:[1,0,0]
	v_pk_fma_f32 v[12:13], v[32:33], v[22:23], v[12:13] op_sel_hi:[1,0,1]
	v_pk_fma_f32 v[0:1], v[34:35], v[22:23], v[0:1] op_sel_hi:[1,0,1]
	v_xor_b32_e32 v44, 0x80000000, v39
	s_wait_loadcnt 0x6
	v_pk_fma_f32 v[10:11], v[40:41], v[72:73], v[10:11] op_sel_hi:[1,0,1]
	v_pk_fma_f32 v[8:9], v[36:37], v[72:73], v[8:9] op_sel_hi:[1,0,1]
	;; [unrolled: 1-line block ×4, first 2 shown]
	v_xor_b32_e32 v26, 0x80000000, v51
	v_pk_fma_f32 v[10:11], v[40:41], v[72:73], v[10:11] op_sel:[1,1,0] op_sel_hi:[0,1,1] neg_lo:[1,0,0]
	v_pk_fma_f32 v[8:9], v[36:37], v[72:73], v[8:9] op_sel:[1,1,0] op_sel_hi:[0,1,1] neg_lo:[1,0,0]
	v_pk_fma_f32 v[12:13], v[98:99], v[72:73], v[12:13] op_sel:[0,1,0]
	v_pk_fma_f32 v[0:1], v[44:45], v[72:73], v[0:1] op_sel:[0,1,0]
	v_dual_mov_b32 v21, v62 :: v_dual_mov_b32 v97, v66
	v_xor_b32_e32 v96, 0x80000000, v67
	s_wait_loadcnt 0x4
	v_dual_mov_b32 v34, v75 :: v_dual_mov_b32 v37, v82
	v_pk_fma_f32 v[10:11], v[48:49], v[74:75], v[10:11] op_sel_hi:[1,0,1]
	v_pk_fma_f32 v[12:13], v[50:51], v[74:75], v[12:13] op_sel_hi:[1,0,1]
	;; [unrolled: 1-line block ×4, first 2 shown]
	v_xor_b32_e32 v24, 0x80000000, v55
	v_pk_fma_f32 v[10:11], v[48:49], v[34:35], v[10:11] op_sel:[1,0,0] op_sel_hi:[0,0,1] neg_lo:[1,0,0]
	v_pk_fma_f32 v[12:13], v[26:27], v[34:35], v[12:13] op_sel_hi:[1,0,1]
	v_pk_fma_f32 v[8:9], v[64:65], v[34:35], v[8:9] op_sel:[1,0,0] op_sel_hi:[0,0,1] neg_lo:[1,0,0]
	v_pk_fma_f32 v[0:1], v[96:97], v[34:35], v[0:1] op_sel_hi:[1,0,1]
	v_dual_mov_b32 v25, v54 :: v_dual_mov_b32 v47, v58
	v_dual_mov_b32 v33, v70 :: v_dual_mov_b32 v23, v78
	v_xor_b32_e32 v22, 0x80000000, v79
	s_wait_loadcnt 0x3
	v_pk_fma_f32 v[10:11], v[52:53], v[84:85], v[10:11] op_sel_hi:[1,0,1]
	v_pk_fma_f32 v[12:13], v[54:55], v[84:85], v[12:13] op_sel_hi:[1,0,1]
	;; [unrolled: 1-line block ×4, first 2 shown]
	v_xor_b32_e32 v46, 0x80000000, v59
	v_pk_fma_f32 v[10:11], v[52:53], v[84:85], v[10:11] op_sel:[1,1,0] op_sel_hi:[0,1,1] neg_lo:[1,0,0]
	v_pk_fma_f32 v[12:13], v[24:25], v[84:85], v[12:13] op_sel:[0,1,0]
	v_pk_fma_f32 v[8:9], v[76:77], v[84:85], v[8:9] op_sel:[1,1,0] op_sel_hi:[0,1,1] neg_lo:[1,0,0]
	v_pk_fma_f32 v[0:1], v[22:23], v[84:85], v[0:1] op_sel:[0,1,0]
	v_xor_b32_e32 v36, 0x80000000, v83
	s_wait_loadcnt 0x2
	v_dual_mov_b32 v22, v87 :: v_dual_mov_b32 v27, v90
	v_pk_fma_f32 v[10:11], v[56:57], v[86:87], v[10:11] op_sel_hi:[1,0,1]
	v_pk_fma_f32 v[12:13], v[58:59], v[86:87], v[12:13] op_sel_hi:[1,0,1]
	;; [unrolled: 1-line block ×4, first 2 shown]
	v_xor_b32_e32 v20, 0x80000000, v63
	v_pk_fma_f32 v[10:11], v[56:57], v[22:23], v[10:11] op_sel:[1,0,0] op_sel_hi:[0,0,1] neg_lo:[1,0,0]
	v_pk_fma_f32 v[12:13], v[46:47], v[22:23], v[12:13] op_sel_hi:[1,0,1]
	v_pk_fma_f32 v[8:9], v[80:81], v[22:23], v[8:9] op_sel:[1,0,0] op_sel_hi:[0,0,1] neg_lo:[1,0,0]
	v_pk_fma_f32 v[0:1], v[36:37], v[22:23], v[0:1] op_sel_hi:[1,0,1]
	v_xor_b32_e32 v26, 0x80000000, v91
	s_wait_loadcnt 0x1
	v_pk_fma_f32 v[10:11], v[60:61], v[92:93], v[10:11] op_sel_hi:[1,0,1]
	v_pk_fma_f32 v[12:13], v[62:63], v[92:93], v[12:13] op_sel_hi:[1,0,1]
	v_pk_fma_f32 v[8:9], v[88:89], v[92:93], v[8:9] op_sel_hi:[1,0,1]
	v_pk_fma_f32 v[0:1], v[90:91], v[92:93], v[0:1] op_sel_hi:[1,0,1]
	v_xor_b32_e32 v32, 0x80000000, v71
	v_pk_fma_f32 v[10:11], v[60:61], v[92:93], v[10:11] op_sel:[1,1,0] op_sel_hi:[0,1,1] neg_lo:[1,0,0]
	v_pk_fma_f32 v[12:13], v[20:21], v[92:93], v[12:13] op_sel:[0,1,0]
	v_pk_fma_f32 v[8:9], v[88:89], v[92:93], v[8:9] op_sel:[1,1,0] op_sel_hi:[0,1,1] neg_lo:[1,0,0]
	v_pk_fma_f32 v[0:1], v[26:27], v[92:93], v[0:1] op_sel:[0,1,0]
	v_mov_b32_e32 v20, v95
	v_pk_fma_f32 v[10:11], v[68:69], v[94:95], v[10:11] op_sel_hi:[1,0,1]
	v_pk_fma_f32 v[12:13], v[70:71], v[94:95], v[12:13] op_sel_hi:[1,0,1]
	s_delay_alu instid0(VALU_DEP_2) | instskip(NEXT) | instid1(VALU_DEP_2)
	v_pk_fma_f32 v[10:11], v[68:69], v[20:21], v[10:11] op_sel:[1,0,0] op_sel_hi:[0,0,1] neg_lo:[1,0,0]
	v_pk_fma_f32 v[12:13], v[32:33], v[20:21], v[12:13] op_sel_hi:[1,0,1]
	s_wait_loadcnt 0x0
	v_xor_b32_e32 v22, 0x80000000, v31
	v_mov_b32_e32 v23, v30
	v_pk_fma_f32 v[8:9], v[28:29], v[94:95], v[8:9] op_sel_hi:[1,0,1]
	v_pk_fma_f32 v[0:1], v[30:31], v[94:95], v[0:1] op_sel_hi:[1,0,1]
	s_delay_alu instid0(VALU_DEP_2) | instskip(NEXT) | instid1(VALU_DEP_2)
	v_pk_fma_f32 v[8:9], v[28:29], v[20:21], v[8:9] op_sel:[1,0,0] op_sel_hi:[0,0,1] neg_lo:[1,0,0]
	v_pk_fma_f32 v[0:1], v[22:23], v[20:21], v[0:1] op_sel_hi:[1,0,1]
	s_and_not1_b32 exec_lo, exec_lo, s4
	s_cbranch_execnz .LBB105_5
; %bb.6:
	s_or_b32 exec_lo, exec_lo, s4
.LBB105_7:
	s_delay_alu instid0(SALU_CYCLE_1)
	s_or_b32 exec_lo, exec_lo, s3
	s_cbranch_execz .LBB105_9
	s_branch .LBB105_14
.LBB105_8:
                                        ; implicit-def: $vgpr11
                                        ; implicit-def: $vgpr1
                                        ; implicit-def: $vgpr9
                                        ; implicit-def: $vgpr13
.LBB105_9:
	v_mov_b32_e32 v11, 0
	s_delay_alu instid0(VALU_DEP_1)
	v_dual_mov_b32 v10, v11 :: v_dual_mov_b32 v1, v11
	v_dual_mov_b32 v0, v11 :: v_dual_mov_b32 v9, v11
	;; [unrolled: 1-line block ×3, first 2 shown]
	v_mov_b32_e32 v12, v11
	s_and_saveexec_b32 s3, s2
	s_cbranch_execz .LBB105_13
; %bb.10:
	v_dual_mov_b32 v15, 0 :: v_dual_lshlrev_b32 v14, 5, v17
	s_mov_b32 s2, 0
	s_delay_alu instid0(VALU_DEP_1)
	v_dual_mov_b32 v0, v15 :: v_dual_mov_b32 v1, v15
	v_dual_mov_b32 v8, v15 :: v_dual_mov_b32 v9, v15
	v_dual_mov_b32 v12, v15 :: v_dual_mov_b32 v13, v15
	v_dual_mov_b32 v10, v15 :: v_dual_mov_b32 v11, v15
.LBB105_11:                             ; =>This Inner Loop Header: Depth=1
	global_load_b32 v66, v17, s[6:7] scale_offset
	v_lshl_add_u64 v[74:75], v[14:15], 3, s[8:9]
	s_clause 0xb
	global_load_b128 v[18:21], v[74:75], off
	global_load_b128 v[22:25], v[74:75], off offset:16
	global_load_b128 v[26:29], v[74:75], off offset:80
	;; [unrolled: 1-line block ×11, first 2 shown]
	v_add_nc_u32_e32 v14, 0x100, v14
	s_wait_xcnt 0xc
	v_add_nc_u32_e32 v17, 8, v17
	s_delay_alu instid0(VALU_DEP_1)
	v_cmp_ge_i32_e32 vcc_lo, v17, v16
	s_or_b32 s2, vcc_lo, s2
	s_wait_loadcnt 0xb
	v_mov_b32_e32 v77, v20
	v_xor_b32_e32 v76, 0x80000000, v21
	s_wait_loadcnt 0x8
	v_xor_b32_e32 v82, 0x80000000, v33
	v_mov_b32_e32 v83, v32
	v_subrev_nc_u32_e32 v66, s12, v66
	v_mov_b32_e32 v67, v15
	s_wait_loadcnt 0x6
	v_xor_b32_e32 v84, 0x80000000, v41
	s_wait_loadcnt 0x4
	v_dual_mov_b32 v85, v40 :: v_dual_mov_b32 v89, v48
	v_lshlrev_b32_e32 v66, 3, v66
	v_xor_b32_e32 v88, 0x80000000, v49
	s_delay_alu instid0(VALU_DEP_2)
	v_lshl_add_u64 v[78:79], v[66:67], 3, s[10:11]
	s_clause 0x1
	global_load_b128 v[66:69], v[78:79], off
	global_load_b128 v[70:73], v[78:79], off offset:16
	s_wait_loadcnt 0x1
	v_pk_fma_f32 v[10:11], v[18:19], v[66:67], v[10:11] op_sel_hi:[1,0,1]
	v_pk_fma_f32 v[8:9], v[38:39], v[66:67], v[8:9] op_sel_hi:[1,0,1]
	;; [unrolled: 1-line block ×3, first 2 shown]
	v_mov_b32_e32 v90, v69
	s_delay_alu instid0(VALU_DEP_4) | instskip(NEXT) | instid1(VALU_DEP_4)
	v_pk_fma_f32 v[10:11], v[18:19], v[66:67], v[10:11] op_sel:[1,1,0] op_sel_hi:[0,1,1] neg_lo:[1,0,0]
	v_pk_fma_f32 v[8:9], v[38:39], v[66:67], v[8:9] op_sel:[1,1,0] op_sel_hi:[0,1,1] neg_lo:[1,0,0]
	s_delay_alu instid0(VALU_DEP_4) | instskip(NEXT) | instid1(VALU_DEP_3)
	v_pk_fma_f32 v[0:1], v[46:47], v[66:67], v[0:1] op_sel:[1,1,0] op_sel_hi:[0,1,1] neg_lo:[1,0,0]
	v_pk_fma_f32 v[80:81], v[20:21], v[68:69], v[10:11] op_sel_hi:[1,0,1]
	v_pk_fma_f32 v[10:11], v[30:31], v[66:67], v[12:13] op_sel_hi:[1,0,1]
	s_delay_alu instid0(VALU_DEP_4)
	v_pk_fma_f32 v[86:87], v[40:41], v[68:69], v[8:9] op_sel_hi:[1,0,1]
	global_load_b128 v[18:21], v[74:75], off offset:176
	v_pk_fma_f32 v[0:1], v[48:49], v[68:69], v[0:1] op_sel_hi:[1,0,1]
	global_load_b128 v[46:49], v[78:79], off offset:32
	v_pk_fma_f32 v[10:11], v[30:31], v[66:67], v[10:11] op_sel:[1,1,0] op_sel_hi:[0,1,1] neg_lo:[1,0,0]
	global_load_b128 v[38:41], v[74:75], off offset:224
	v_pk_fma_f32 v[0:1], v[88:89], v[90:91], v[0:1] op_sel_hi:[1,0,1]
	v_pk_fma_f32 v[12:13], v[32:33], v[68:69], v[10:11] op_sel_hi:[1,0,1]
	s_clause 0x1
	global_load_b128 v[30:33], v[74:75], off offset:240
	global_load_b128 v[8:11], v[74:75], off offset:160
	;; [unrolled: 1-line block ×3, first 2 shown]
	s_wait_xcnt 0x1
	v_pk_fma_f32 v[74:75], v[76:77], v[90:91], v[80:81] op_sel_hi:[1,0,1]
	v_pk_fma_f32 v[12:13], v[82:83], v[90:91], v[12:13] op_sel_hi:[1,0,1]
	;; [unrolled: 1-line block ×3, first 2 shown]
	s_wait_loadcnt 0x6
	v_pk_fma_f32 v[0:1], v[42:43], v[70:71], v[0:1] op_sel_hi:[1,0,1]
	s_wait_xcnt 0x0
	v_xor_b32_e32 v78, 0x80000000, v25
	v_pk_fma_f32 v[74:75], v[22:23], v[70:71], v[74:75] op_sel_hi:[1,0,1]
	v_pk_fma_f32 v[12:13], v[26:27], v[70:71], v[12:13] op_sel_hi:[1,0,1]
	;; [unrolled: 1-line block ×3, first 2 shown]
	v_pk_fma_f32 v[0:1], v[42:43], v[70:71], v[0:1] op_sel:[1,1,0] op_sel_hi:[0,1,1] neg_lo:[1,0,0]
	v_mov_b32_e32 v79, v24
	v_pk_fma_f32 v[22:23], v[22:23], v[70:71], v[74:75] op_sel:[1,1,0] op_sel_hi:[0,1,1] neg_lo:[1,0,0]
	v_pk_fma_f32 v[12:13], v[26:27], v[70:71], v[12:13] op_sel:[1,1,0] op_sel_hi:[0,1,1] neg_lo:[1,0,0]
	;; [unrolled: 1-line block ×3, first 2 shown]
	v_xor_b32_e32 v80, 0x80000000, v29
	v_mov_b32_e32 v81, v28
	v_pk_fma_f32 v[22:23], v[24:25], v[72:73], v[22:23] op_sel_hi:[1,0,1]
	v_xor_b32_e32 v24, 0x80000000, v37
	v_mov_b32_e32 v25, v36
	v_xor_b32_e32 v74, 0x80000000, v45
	v_dual_mov_b32 v75, v44 :: v_dual_mov_b32 v27, v56
	v_pk_fma_f32 v[12:13], v[28:29], v[72:73], v[12:13] op_sel_hi:[1,0,1]
	v_pk_fma_f32 v[34:35], v[36:37], v[72:73], v[34:35] op_sel_hi:[1,0,1]
	;; [unrolled: 1-line block ×3, first 2 shown]
	v_mov_b32_e32 v44, v73
	v_xor_b32_e32 v26, 0x80000000, v57
	v_dual_mov_b32 v29, v52 :: v_dual_mov_b32 v37, v64
	v_xor_b32_e32 v36, 0x80000000, v65
	s_delay_alu instid0(VALU_DEP_4)
	v_pk_fma_f32 v[24:25], v[24:25], v[44:45], v[34:35] op_sel_hi:[1,0,1]
	v_mov_b32_e32 v77, v60
	v_xor_b32_e32 v28, 0x80000000, v53
	v_xor_b32_e32 v76, 0x80000000, v61
	s_wait_loadcnt 0x5
	v_xor_b32_e32 v70, 0x80000000, v21
	s_wait_loadcnt 0x3
	v_dual_mov_b32 v71, v20 :: v_dual_mov_b32 v35, v40
	v_pk_fma_f32 v[22:23], v[78:79], v[44:45], v[22:23] op_sel_hi:[1,0,1]
	v_pk_fma_f32 v[12:13], v[80:81], v[44:45], v[12:13] op_sel_hi:[1,0,1]
	;; [unrolled: 1-line block ×3, first 2 shown]
	v_xor_b32_e32 v34, 0x80000000, v41
	s_delay_alu instid0(VALU_DEP_4) | instskip(NEXT) | instid1(VALU_DEP_4)
	v_pk_fma_f32 v[22:23], v[54:55], v[46:47], v[22:23] op_sel_hi:[1,0,1]
	v_pk_fma_f32 v[12:13], v[62:63], v[46:47], v[12:13] op_sel_hi:[1,0,1]
	s_wait_loadcnt 0x1
	v_pk_fma_f32 v[24:25], v[8:9], v[46:47], v[24:25] op_sel_hi:[1,0,1]
	v_pk_fma_f32 v[0:1], v[38:39], v[46:47], v[0:1] op_sel_hi:[1,0,1]
	v_xor_b32_e32 v42, 0x80000000, v11
	v_mov_b32_e32 v43, v10
	v_pk_fma_f32 v[22:23], v[54:55], v[46:47], v[22:23] op_sel:[1,1,0] op_sel_hi:[0,1,1] neg_lo:[1,0,0]
	v_pk_fma_f32 v[12:13], v[62:63], v[46:47], v[12:13] op_sel:[1,1,0] op_sel_hi:[0,1,1] neg_lo:[1,0,0]
	;; [unrolled: 1-line block ×4, first 2 shown]
	v_mov_b32_e32 v24, v49
	v_pk_fma_f32 v[22:23], v[56:57], v[48:49], v[22:23] op_sel_hi:[1,0,1]
	v_pk_fma_f32 v[12:13], v[64:65], v[48:49], v[12:13] op_sel_hi:[1,0,1]
	;; [unrolled: 1-line block ×4, first 2 shown]
	s_delay_alu instid0(VALU_DEP_4) | instskip(NEXT) | instid1(VALU_DEP_4)
	v_pk_fma_f32 v[10:11], v[26:27], v[24:25], v[22:23] op_sel_hi:[1,0,1]
	v_pk_fma_f32 v[12:13], v[36:37], v[24:25], v[12:13] op_sel_hi:[1,0,1]
	s_delay_alu instid0(VALU_DEP_4) | instskip(NEXT) | instid1(VALU_DEP_4)
	v_pk_fma_f32 v[8:9], v[42:43], v[24:25], v[8:9] op_sel_hi:[1,0,1]
	v_pk_fma_f32 v[0:1], v[34:35], v[24:25], v[0:1] op_sel_hi:[1,0,1]
	v_xor_b32_e32 v22, 0x80000000, v33
	v_mov_b32_e32 v23, v32
	s_wait_loadcnt 0x0
	v_pk_fma_f32 v[10:11], v[50:51], v[66:67], v[10:11] op_sel_hi:[1,0,1]
	v_pk_fma_f32 v[12:13], v[58:59], v[66:67], v[12:13] op_sel_hi:[1,0,1]
	;; [unrolled: 1-line block ×4, first 2 shown]
	s_delay_alu instid0(VALU_DEP_4) | instskip(NEXT) | instid1(VALU_DEP_4)
	v_pk_fma_f32 v[10:11], v[50:51], v[66:67], v[10:11] op_sel:[1,1,0] op_sel_hi:[0,1,1] neg_lo:[1,0,0]
	v_pk_fma_f32 v[12:13], v[58:59], v[66:67], v[12:13] op_sel:[1,1,0] op_sel_hi:[0,1,1] neg_lo:[1,0,0]
	s_delay_alu instid0(VALU_DEP_4) | instskip(NEXT) | instid1(VALU_DEP_4)
	v_pk_fma_f32 v[8:9], v[18:19], v[66:67], v[8:9] op_sel:[1,1,0] op_sel_hi:[0,1,1] neg_lo:[1,0,0]
	v_pk_fma_f32 v[0:1], v[30:31], v[66:67], v[0:1] op_sel:[1,1,0] op_sel_hi:[0,1,1] neg_lo:[1,0,0]
	v_mov_b32_e32 v18, v69
	v_pk_fma_f32 v[10:11], v[52:53], v[68:69], v[10:11] op_sel_hi:[1,0,1]
	v_pk_fma_f32 v[12:13], v[60:61], v[68:69], v[12:13] op_sel_hi:[1,0,1]
	;; [unrolled: 1-line block ×4, first 2 shown]
	s_delay_alu instid0(VALU_DEP_4) | instskip(NEXT) | instid1(VALU_DEP_4)
	v_pk_fma_f32 v[10:11], v[28:29], v[18:19], v[10:11] op_sel_hi:[1,0,1]
	v_pk_fma_f32 v[12:13], v[76:77], v[18:19], v[12:13] op_sel_hi:[1,0,1]
	s_delay_alu instid0(VALU_DEP_4) | instskip(NEXT) | instid1(VALU_DEP_4)
	v_pk_fma_f32 v[8:9], v[70:71], v[18:19], v[8:9] op_sel_hi:[1,0,1]
	v_pk_fma_f32 v[0:1], v[22:23], v[18:19], v[0:1] op_sel_hi:[1,0,1]
	s_and_not1_b32 exec_lo, exec_lo, s2
	s_cbranch_execnz .LBB105_11
; %bb.12:
	s_or_b32 exec_lo, exec_lo, s2
.LBB105_13:
	s_delay_alu instid0(SALU_CYCLE_1)
	s_or_b32 exec_lo, exec_lo, s3
.LBB105_14:
	v_mbcnt_lo_u32_b32 v14, -1, 0
	s_delay_alu instid0(VALU_DEP_1) | instskip(SKIP_1) | instid1(VALU_DEP_1)
	v_xor_b32_e32 v23, 2, v14
	v_xor_b32_e32 v15, 4, v14
	v_cmp_gt_i32_e32 vcc_lo, 32, v15
	v_cndmask_b32_e32 v15, v14, v15, vcc_lo
	s_delay_alu instid0(VALU_DEP_1)
	v_lshlrev_b32_e32 v15, 2, v15
	ds_bpermute_b32 v16, v15, v10
	s_wait_dscnt 0x0
	v_add_f32_e32 v10, v10, v16
	ds_bpermute_b32 v19, v15, v13
	ds_bpermute_b32 v17, v15, v11
	;; [unrolled: 1-line block ×7, first 2 shown]
	s_wait_dscnt 0x6
	v_add_f32_e32 v13, v13, v19
	v_cmp_gt_i32_e32 vcc_lo, 32, v23
	s_wait_dscnt 0x3
	v_dual_add_f32 v11, v11, v17 :: v_dual_add_f32 v17, v0, v22
	s_wait_dscnt 0x1
	v_dual_add_f32 v16, v8, v20 :: v_dual_add_f32 v9, v9, v21
	v_cndmask_b32_e32 v23, v14, v23, vcc_lo
	s_wait_dscnt 0x0
	v_dual_add_f32 v15, v1, v15 :: v_dual_add_f32 v12, v12, v18
	s_delay_alu instid0(VALU_DEP_2)
	v_lshlrev_b32_e32 v23, 2, v23
	ds_bpermute_b32 v0, v23, v10
	ds_bpermute_b32 v1, v23, v11
	;; [unrolled: 1-line block ×8, first 2 shown]
	s_wait_dscnt 0x7
	v_dual_add_f32 v0, v10, v0 :: v_dual_bitop2_b32 v8, 1, v14 bitop3:0x14
	s_delay_alu instid0(VALU_DEP_1)
	v_cmp_gt_i32_e32 vcc_lo, 32, v8
	s_wait_dscnt 0x5
	v_add_f32_e32 v10, v12, v18
	s_wait_dscnt 0x3
	v_add_f32_e32 v12, v16, v20
	v_cndmask_b32_e32 v8, v14, v8, vcc_lo
	v_cmp_eq_u32_e32 vcc_lo, 7, v7
	s_delay_alu instid0(VALU_DEP_2)
	v_dual_lshlrev_b32 v24, 2, v8 :: v_dual_add_f32 v8, v11, v1
	v_add_f32_e32 v11, v13, v19
	s_wait_dscnt 0x0
	v_dual_add_f32 v13, v9, v21 :: v_dual_add_f32 v9, v15, v23
	v_add_f32_e32 v1, v17, v22
	ds_bpermute_b32 v16, v24, v0
	ds_bpermute_b32 v17, v24, v8
	;; [unrolled: 1-line block ×8, first 2 shown]
	s_and_b32 exec_lo, exec_lo, vcc_lo
	s_cbranch_execz .LBB105_19
; %bb.15:
	s_load_b64 s[2:3], s[0:1], 0x38
	v_cmp_eq_f32_e32 vcc_lo, 0, v4
	s_wait_xcnt 0x0
	v_cmp_eq_f32_e64 s0, 0, v5
	s_wait_dscnt 0x7
	v_add_f32_e32 v0, v0, v16
	s_wait_dscnt 0x5
	v_dual_add_f32 v20, v8, v17 :: v_dual_add_f32 v8, v10, v18
	s_wait_dscnt 0x3
	v_dual_add_f32 v18, v11, v19 :: v_dual_add_f32 v10, v12, v21
	s_wait_dscnt 0x2
	v_add_f32_e32 v16, v13, v22
	s_wait_dscnt 0x1
	v_add_f32_e32 v12, v1, v14
	;; [unrolled: 2-line block ×3, first 2 shown]
	s_and_b32 s0, vcc_lo, s0
	s_delay_alu instid0(SALU_CYCLE_1) | instskip(NEXT) | instid1(SALU_CYCLE_1)
	s_and_saveexec_b32 s1, s0
	s_xor_b32 s0, exec_lo, s1
	s_cbranch_execz .LBB105_17
; %bb.16:
	v_xor_b32_e32 v4, 0x80000000, v3
	v_dual_mov_b32 v5, v2 :: v_dual_lshlrev_b32 v6, 2, v6
	s_delay_alu instid0(VALU_DEP_1) | instskip(NEXT) | instid1(VALU_DEP_2)
	v_ashrrev_i32_e32 v7, 31, v6
	v_pk_mul_f32 v[20:21], v[20:21], v[4:5] op_sel_hi:[0,1]
	v_pk_mul_f32 v[18:19], v[18:19], v[4:5] op_sel_hi:[0,1]
	;; [unrolled: 1-line block ×4, first 2 shown]
	s_wait_kmcnt 0x0
	v_lshl_add_u64 v[22:23], v[6:7], 3, s[2:3]
	v_pk_fma_f32 v[4:5], v[2:3], v[0:1], v[20:21] op_sel_hi:[1,0,1]
	v_pk_fma_f32 v[6:7], v[2:3], v[8:9], v[18:19] op_sel_hi:[1,0,1]
	;; [unrolled: 1-line block ×4, first 2 shown]
	s_clause 0x1
	global_store_b128 v[22:23], v[4:7], off
	global_store_b128 v[22:23], v[0:3], off offset:16
                                        ; implicit-def: $vgpr6
                                        ; implicit-def: $vgpr0
                                        ; implicit-def: $vgpr20
                                        ; implicit-def: $vgpr8
                                        ; implicit-def: $vgpr18
                                        ; implicit-def: $vgpr10
                                        ; implicit-def: $vgpr16
                                        ; implicit-def: $vgpr12
                                        ; implicit-def: $vgpr14
                                        ; implicit-def: $vgpr2_vgpr3
                                        ; implicit-def: $vgpr4_vgpr5
.LBB105_17:
	s_wait_xcnt 0x0
	s_and_not1_saveexec_b32 s0, s0
	s_cbranch_execz .LBB105_19
; %bb.18:
	v_lshlrev_b32_e32 v6, 2, v6
	v_xor_b32_e32 v32, 0x80000000, v5
	s_delay_alu instid0(VALU_DEP_2) | instskip(SKIP_1) | instid1(VALU_DEP_1)
	v_dual_mov_b32 v33, v4 :: v_dual_ashrrev_i32 v7, 31, v6
	s_wait_kmcnt 0x0
	v_lshl_add_u64 v[30:31], v[6:7], 3, s[2:3]
	v_xor_b32_e32 v6, 0x80000000, v3
	v_mov_b32_e32 v7, v2
	s_clause 0x1
	global_load_b128 v[22:25], v[30:31], off
	global_load_b128 v[26:29], v[30:31], off offset:16
	v_pk_mul_f32 v[20:21], v[20:21], v[6:7] op_sel_hi:[0,1]
	v_pk_mul_f32 v[18:19], v[18:19], v[6:7] op_sel_hi:[0,1]
	;; [unrolled: 1-line block ×4, first 2 shown]
	s_delay_alu instid0(VALU_DEP_4) | instskip(NEXT) | instid1(VALU_DEP_4)
	v_pk_fma_f32 v[0:1], v[2:3], v[0:1], v[20:21] op_sel_hi:[1,0,1]
	v_pk_fma_f32 v[8:9], v[2:3], v[8:9], v[18:19] op_sel_hi:[1,0,1]
	s_delay_alu instid0(VALU_DEP_4) | instskip(NEXT) | instid1(VALU_DEP_4)
	v_pk_fma_f32 v[10:11], v[2:3], v[10:11], v[16:17] op_sel_hi:[1,0,1]
	v_pk_fma_f32 v[2:3], v[2:3], v[12:13], v[6:7] op_sel_hi:[1,0,1]
	s_wait_loadcnt 0x1
	v_pk_fma_f32 v[0:1], v[4:5], v[22:23], v[0:1] op_sel_hi:[1,0,1]
	v_pk_fma_f32 v[6:7], v[4:5], v[24:25], v[8:9] op_sel_hi:[1,0,1]
	s_wait_loadcnt 0x0
	v_dual_mov_b32 v8, v25 :: v_dual_mov_b32 v14, v29
	v_pk_fma_f32 v[10:11], v[4:5], v[26:27], v[10:11] op_sel_hi:[1,0,1]
	v_pk_fma_f32 v[12:13], v[4:5], v[28:29], v[2:3] op_sel_hi:[1,0,1]
	v_pk_fma_f32 v[0:1], v[32:33], v[22:23], v[0:1] op_sel:[0,1,0]
	s_delay_alu instid0(VALU_DEP_4) | instskip(NEXT) | instid1(VALU_DEP_4)
	v_pk_fma_f32 v[2:3], v[32:33], v[8:9], v[6:7] op_sel_hi:[1,0,1]
	v_pk_fma_f32 v[4:5], v[32:33], v[26:27], v[10:11] op_sel:[0,1,0]
	s_delay_alu instid0(VALU_DEP_4)
	v_pk_fma_f32 v[6:7], v[32:33], v[14:15], v[12:13] op_sel_hi:[1,0,1]
	s_clause 0x1
	global_store_b128 v[30:31], v[0:3], off
	global_store_b128 v[30:31], v[4:7], off offset:16
.LBB105_19:
	s_sendmsg sendmsg(MSG_DEALLOC_VGPRS)
	s_endpgm
	.section	.rodata,"a",@progbits
	.p2align	6, 0x0
	.amdhsa_kernel _ZN9rocsparseL19gebsrmvn_4xn_kernelILj128ELj8ELj8E21rocsparse_complex_numIfEEEvi20rocsparse_direction_NS_24const_host_device_scalarIT2_EEPKiS8_PKS5_SA_S6_PS5_21rocsparse_index_base_b
		.amdhsa_group_segment_fixed_size 0
		.amdhsa_private_segment_fixed_size 0
		.amdhsa_kernarg_size 72
		.amdhsa_user_sgpr_count 2
		.amdhsa_user_sgpr_dispatch_ptr 0
		.amdhsa_user_sgpr_queue_ptr 0
		.amdhsa_user_sgpr_kernarg_segment_ptr 1
		.amdhsa_user_sgpr_dispatch_id 0
		.amdhsa_user_sgpr_kernarg_preload_length 0
		.amdhsa_user_sgpr_kernarg_preload_offset 0
		.amdhsa_user_sgpr_private_segment_size 0
		.amdhsa_wavefront_size32 1
		.amdhsa_uses_dynamic_stack 0
		.amdhsa_enable_private_segment 0
		.amdhsa_system_sgpr_workgroup_id_x 1
		.amdhsa_system_sgpr_workgroup_id_y 0
		.amdhsa_system_sgpr_workgroup_id_z 0
		.amdhsa_system_sgpr_workgroup_info 0
		.amdhsa_system_vgpr_workitem_id 0
		.amdhsa_next_free_vgpr 100
		.amdhsa_next_free_sgpr 14
		.amdhsa_named_barrier_count 0
		.amdhsa_reserve_vcc 1
		.amdhsa_float_round_mode_32 0
		.amdhsa_float_round_mode_16_64 0
		.amdhsa_float_denorm_mode_32 3
		.amdhsa_float_denorm_mode_16_64 3
		.amdhsa_fp16_overflow 0
		.amdhsa_memory_ordered 1
		.amdhsa_forward_progress 1
		.amdhsa_inst_pref_size 30
		.amdhsa_round_robin_scheduling 0
		.amdhsa_exception_fp_ieee_invalid_op 0
		.amdhsa_exception_fp_denorm_src 0
		.amdhsa_exception_fp_ieee_div_zero 0
		.amdhsa_exception_fp_ieee_overflow 0
		.amdhsa_exception_fp_ieee_underflow 0
		.amdhsa_exception_fp_ieee_inexact 0
		.amdhsa_exception_int_div_zero 0
	.end_amdhsa_kernel
	.section	.text._ZN9rocsparseL19gebsrmvn_4xn_kernelILj128ELj8ELj8E21rocsparse_complex_numIfEEEvi20rocsparse_direction_NS_24const_host_device_scalarIT2_EEPKiS8_PKS5_SA_S6_PS5_21rocsparse_index_base_b,"axG",@progbits,_ZN9rocsparseL19gebsrmvn_4xn_kernelILj128ELj8ELj8E21rocsparse_complex_numIfEEEvi20rocsparse_direction_NS_24const_host_device_scalarIT2_EEPKiS8_PKS5_SA_S6_PS5_21rocsparse_index_base_b,comdat
.Lfunc_end105:
	.size	_ZN9rocsparseL19gebsrmvn_4xn_kernelILj128ELj8ELj8E21rocsparse_complex_numIfEEEvi20rocsparse_direction_NS_24const_host_device_scalarIT2_EEPKiS8_PKS5_SA_S6_PS5_21rocsparse_index_base_b, .Lfunc_end105-_ZN9rocsparseL19gebsrmvn_4xn_kernelILj128ELj8ELj8E21rocsparse_complex_numIfEEEvi20rocsparse_direction_NS_24const_host_device_scalarIT2_EEPKiS8_PKS5_SA_S6_PS5_21rocsparse_index_base_b
                                        ; -- End function
	.set _ZN9rocsparseL19gebsrmvn_4xn_kernelILj128ELj8ELj8E21rocsparse_complex_numIfEEEvi20rocsparse_direction_NS_24const_host_device_scalarIT2_EEPKiS8_PKS5_SA_S6_PS5_21rocsparse_index_base_b.num_vgpr, 100
	.set _ZN9rocsparseL19gebsrmvn_4xn_kernelILj128ELj8ELj8E21rocsparse_complex_numIfEEEvi20rocsparse_direction_NS_24const_host_device_scalarIT2_EEPKiS8_PKS5_SA_S6_PS5_21rocsparse_index_base_b.num_agpr, 0
	.set _ZN9rocsparseL19gebsrmvn_4xn_kernelILj128ELj8ELj8E21rocsparse_complex_numIfEEEvi20rocsparse_direction_NS_24const_host_device_scalarIT2_EEPKiS8_PKS5_SA_S6_PS5_21rocsparse_index_base_b.numbered_sgpr, 14
	.set _ZN9rocsparseL19gebsrmvn_4xn_kernelILj128ELj8ELj8E21rocsparse_complex_numIfEEEvi20rocsparse_direction_NS_24const_host_device_scalarIT2_EEPKiS8_PKS5_SA_S6_PS5_21rocsparse_index_base_b.num_named_barrier, 0
	.set _ZN9rocsparseL19gebsrmvn_4xn_kernelILj128ELj8ELj8E21rocsparse_complex_numIfEEEvi20rocsparse_direction_NS_24const_host_device_scalarIT2_EEPKiS8_PKS5_SA_S6_PS5_21rocsparse_index_base_b.private_seg_size, 0
	.set _ZN9rocsparseL19gebsrmvn_4xn_kernelILj128ELj8ELj8E21rocsparse_complex_numIfEEEvi20rocsparse_direction_NS_24const_host_device_scalarIT2_EEPKiS8_PKS5_SA_S6_PS5_21rocsparse_index_base_b.uses_vcc, 1
	.set _ZN9rocsparseL19gebsrmvn_4xn_kernelILj128ELj8ELj8E21rocsparse_complex_numIfEEEvi20rocsparse_direction_NS_24const_host_device_scalarIT2_EEPKiS8_PKS5_SA_S6_PS5_21rocsparse_index_base_b.uses_flat_scratch, 1
	.set _ZN9rocsparseL19gebsrmvn_4xn_kernelILj128ELj8ELj8E21rocsparse_complex_numIfEEEvi20rocsparse_direction_NS_24const_host_device_scalarIT2_EEPKiS8_PKS5_SA_S6_PS5_21rocsparse_index_base_b.has_dyn_sized_stack, 0
	.set _ZN9rocsparseL19gebsrmvn_4xn_kernelILj128ELj8ELj8E21rocsparse_complex_numIfEEEvi20rocsparse_direction_NS_24const_host_device_scalarIT2_EEPKiS8_PKS5_SA_S6_PS5_21rocsparse_index_base_b.has_recursion, 0
	.set _ZN9rocsparseL19gebsrmvn_4xn_kernelILj128ELj8ELj8E21rocsparse_complex_numIfEEEvi20rocsparse_direction_NS_24const_host_device_scalarIT2_EEPKiS8_PKS5_SA_S6_PS5_21rocsparse_index_base_b.has_indirect_call, 0
	.section	.AMDGPU.csdata,"",@progbits
; Kernel info:
; codeLenInByte = 3756
; TotalNumSgprs: 16
; NumVgprs: 100
; ScratchSize: 0
; MemoryBound: 0
; FloatMode: 240
; IeeeMode: 1
; LDSByteSize: 0 bytes/workgroup (compile time only)
; SGPRBlocks: 0
; VGPRBlocks: 6
; NumSGPRsForWavesPerEU: 16
; NumVGPRsForWavesPerEU: 100
; NamedBarCnt: 0
; Occupancy: 9
; WaveLimiterHint : 1
; COMPUTE_PGM_RSRC2:SCRATCH_EN: 0
; COMPUTE_PGM_RSRC2:USER_SGPR: 2
; COMPUTE_PGM_RSRC2:TRAP_HANDLER: 0
; COMPUTE_PGM_RSRC2:TGID_X_EN: 1
; COMPUTE_PGM_RSRC2:TGID_Y_EN: 0
; COMPUTE_PGM_RSRC2:TGID_Z_EN: 0
; COMPUTE_PGM_RSRC2:TIDIG_COMP_CNT: 0
	.section	.text._ZN9rocsparseL19gebsrmvn_4xn_kernelILj128ELj8ELj16E21rocsparse_complex_numIfEEEvi20rocsparse_direction_NS_24const_host_device_scalarIT2_EEPKiS8_PKS5_SA_S6_PS5_21rocsparse_index_base_b,"axG",@progbits,_ZN9rocsparseL19gebsrmvn_4xn_kernelILj128ELj8ELj16E21rocsparse_complex_numIfEEEvi20rocsparse_direction_NS_24const_host_device_scalarIT2_EEPKiS8_PKS5_SA_S6_PS5_21rocsparse_index_base_b,comdat
	.globl	_ZN9rocsparseL19gebsrmvn_4xn_kernelILj128ELj8ELj16E21rocsparse_complex_numIfEEEvi20rocsparse_direction_NS_24const_host_device_scalarIT2_EEPKiS8_PKS5_SA_S6_PS5_21rocsparse_index_base_b ; -- Begin function _ZN9rocsparseL19gebsrmvn_4xn_kernelILj128ELj8ELj16E21rocsparse_complex_numIfEEEvi20rocsparse_direction_NS_24const_host_device_scalarIT2_EEPKiS8_PKS5_SA_S6_PS5_21rocsparse_index_base_b
	.p2align	8
	.type	_ZN9rocsparseL19gebsrmvn_4xn_kernelILj128ELj8ELj16E21rocsparse_complex_numIfEEEvi20rocsparse_direction_NS_24const_host_device_scalarIT2_EEPKiS8_PKS5_SA_S6_PS5_21rocsparse_index_base_b,@function
_ZN9rocsparseL19gebsrmvn_4xn_kernelILj128ELj8ELj16E21rocsparse_complex_numIfEEEvi20rocsparse_direction_NS_24const_host_device_scalarIT2_EEPKiS8_PKS5_SA_S6_PS5_21rocsparse_index_base_b: ; @_ZN9rocsparseL19gebsrmvn_4xn_kernelILj128ELj8ELj16E21rocsparse_complex_numIfEEEvi20rocsparse_direction_NS_24const_host_device_scalarIT2_EEPKiS8_PKS5_SA_S6_PS5_21rocsparse_index_base_b
; %bb.0:
	s_clause 0x2
	s_load_b64 s[12:13], s[0:1], 0x40
	s_load_b64 s[2:3], s[0:1], 0x8
	s_load_b64 s[4:5], s[0:1], 0x30
	v_mov_b32_e32 v1, 0
	s_add_nc_u64 s[6:7], s[0:1], 8
	s_add_nc_u64 s[8:9], s[0:1], 48
	s_wait_kmcnt 0x0
	s_bitcmp1_b32 s13, 0
	s_cselect_b32 s3, s7, s3
	s_cselect_b32 s2, s6, s2
	;; [unrolled: 1-line block ×4, first 2 shown]
	s_clause 0x1
	flat_load_b64 v[2:3], v1, s[2:3]
	flat_load_b64 v[4:5], v1, s[4:5]
	s_wait_loadcnt_dscnt 0x101
	v_cmp_eq_f32_e32 vcc_lo, 0, v2
	v_cmp_eq_f32_e64 s2, 0, v3
	s_wait_loadcnt_dscnt 0x0
	v_cmp_eq_f32_e64 s3, 1.0, v4
	v_cmp_eq_f32_e64 s4, 0, v5
	s_and_b32 s2, vcc_lo, s2
	s_and_b32 s3, s3, s4
	s_delay_alu instid0(SALU_CYCLE_1) | instskip(NEXT) | instid1(SALU_CYCLE_1)
	s_and_b32 s2, s2, s3
	s_xor_b32 s2, s2, -1
	s_delay_alu instid0(SALU_CYCLE_1)
	s_and_saveexec_b32 s3, s2
	s_cbranch_execz .LBB106_19
; %bb.1:
	s_load_b64 s[2:3], s[0:1], 0x0
	s_bfe_u32 s4, ttmp6, 0x4000c
	s_and_b32 s5, ttmp6, 15
	s_add_co_i32 s4, s4, 1
	s_getreg_b32 s6, hwreg(HW_REG_IB_STS2, 6, 4)
	s_mul_i32 s4, ttmp9, s4
	v_lshrrev_b32_e32 v1, 4, v0
	s_add_co_i32 s5, s5, s4
	s_cmp_eq_u32 s6, 0
	s_cselect_b32 s4, ttmp9, s5
	s_delay_alu instid0(VALU_DEP_1) | instid1(SALU_CYCLE_1)
	v_lshl_or_b32 v6, s4, 3, v1
	s_wait_kmcnt 0x0
	s_delay_alu instid0(VALU_DEP_1)
	v_cmp_gt_i32_e32 vcc_lo, s2, v6
	s_and_b32 exec_lo, exec_lo, vcc_lo
	s_cbranch_execz .LBB106_19
; %bb.2:
	s_load_b256 s[4:11], s[0:1], 0x10
	v_ashrrev_i32_e32 v7, 31, v6
	s_cmp_lg_u32 s3, 0
	s_wait_kmcnt 0x0
	s_delay_alu instid0(VALU_DEP_1)
	v_lshl_add_u64 v[8:9], v[6:7], 2, s[4:5]
	v_and_b32_e32 v7, 15, v0
	global_load_b64 v[8:9], v[8:9], off
	s_wait_loadcnt 0x0
	v_subrev_nc_u32_e32 v0, s12, v8
	v_subrev_nc_u32_e32 v16, s12, v9
	s_delay_alu instid0(VALU_DEP_2) | instskip(NEXT) | instid1(VALU_DEP_1)
	v_add_nc_u32_e32 v17, v0, v7
	v_cmp_lt_i32_e64 s2, v17, v16
	s_cbranch_scc0 .LBB106_8
; %bb.3:
	v_mov_b32_e32 v11, 0
	s_delay_alu instid0(VALU_DEP_1)
	v_dual_mov_b32 v10, v11 :: v_dual_mov_b32 v1, v11
	v_dual_mov_b32 v0, v11 :: v_dual_mov_b32 v9, v11
	;; [unrolled: 1-line block ×3, first 2 shown]
	v_mov_b32_e32 v12, v11
	s_and_saveexec_b32 s3, s2
	s_cbranch_execz .LBB106_7
; %bb.4:
	v_dual_mov_b32 v15, 0 :: v_dual_lshlrev_b32 v14, 5, v17
	v_mov_b32_e32 v18, v17
	s_mov_b32 s4, 0
	s_delay_alu instid0(VALU_DEP_2)
	v_dual_mov_b32 v0, v15 :: v_dual_mov_b32 v1, v15
	v_dual_mov_b32 v8, v15 :: v_dual_mov_b32 v9, v15
	;; [unrolled: 1-line block ×4, first 2 shown]
.LBB106_5:                              ; =>This Inner Loop Header: Depth=1
	global_load_b32 v19, v18, s[6:7] scale_offset
	v_lshl_add_u64 v[96:97], v[14:15], 3, s[8:9]
	s_clause 0x5
	global_load_b128 v[20:23], v[96:97], off offset:48
	global_load_b128 v[24:27], v[96:97], off offset:32
	global_load_b128 v[28:31], v[96:97], off
	global_load_b128 v[32:35], v[96:97], off offset:16
	global_load_b128 v[36:39], v[96:97], off offset:80
	;; [unrolled: 1-line block ×3, first 2 shown]
	v_add_nc_u32_e32 v14, 0x200, v14
	s_wait_xcnt 0x6
	v_add_nc_u32_e32 v18, 16, v18
	s_delay_alu instid0(VALU_DEP_1)
	v_cmp_ge_i32_e32 vcc_lo, v18, v16
	s_or_b32 s4, vcc_lo, s4
	s_wait_loadcnt 0x6
	v_subrev_nc_u32_e32 v19, s12, v19
	v_mov_b32_e32 v45, v15
	s_wait_loadcnt 0x3
	v_xor_b32_e32 v98, 0x80000000, v31
	s_delay_alu instid0(VALU_DEP_3) | instskip(NEXT) | instid1(VALU_DEP_1)
	v_dual_mov_b32 v99, v30 :: v_dual_lshlrev_b32 v44, 3, v19
	v_lshl_add_u64 v[92:93], v[44:45], 3, s[10:11]
	global_load_b128 v[44:47], v[92:93], off
	s_clause 0x5
	global_load_b128 v[48:51], v[96:97], off offset:96
	global_load_b128 v[52:55], v[96:97], off offset:128
	;; [unrolled: 1-line block ×7, first 2 shown]
	s_clause 0x1
	global_load_b128 v[76:79], v[96:97], off offset:144
	global_load_b128 v[80:83], v[96:97], off offset:176
	;; [unrolled: 1-line block ×5, first 2 shown]
	s_wait_loadcnt 0xc
	v_pk_fma_f32 v[10:11], v[28:29], v[44:45], v[10:11] op_sel_hi:[1,0,1]
	v_pk_fma_f32 v[12:13], v[30:31], v[44:45], v[12:13] op_sel_hi:[1,0,1]
	;; [unrolled: 1-line block ×4, first 2 shown]
	s_delay_alu instid0(VALU_DEP_4)
	v_pk_fma_f32 v[10:11], v[28:29], v[44:45], v[10:11] op_sel:[1,1,0] op_sel_hi:[0,1,1] neg_lo:[1,0,0]
	global_load_b128 v[28:31], v[96:97], off offset:240
	s_wait_xcnt 0x0
	v_xor_b32_e32 v96, 0x80000000, v35
	v_mov_b32_e32 v97, v34
	v_pk_fma_f32 v[8:9], v[32:33], v[44:45], v[8:9] op_sel:[1,1,0] op_sel_hi:[0,1,1] neg_lo:[1,0,0]
	v_pk_fma_f32 v[12:13], v[98:99], v[44:45], v[12:13] op_sel:[0,1,0]
	v_xor_b32_e32 v32, 0x80000000, v27
	v_dual_mov_b32 v33, v26 :: v_dual_mov_b32 v35, v22
	v_pk_fma_f32 v[0:1], v[96:97], v[44:45], v[0:1] op_sel:[0,1,0]
	v_xor_b32_e32 v34, 0x80000000, v23
	v_pk_fma_f32 v[10:11], v[24:25], v[46:47], v[10:11] op_sel_hi:[1,0,1]
	v_pk_fma_f32 v[12:13], v[26:27], v[46:47], v[12:13] op_sel_hi:[1,0,1]
	;; [unrolled: 1-line block ×4, first 2 shown]
	s_wait_loadcnt 0xc
	v_dual_mov_b32 v22, v47 :: v_dual_mov_b32 v27, v50
	v_xor_b32_e32 v98, 0x80000000, v43
	v_dual_mov_b32 v99, v42 :: v_dual_mov_b32 v45, v38
	s_delay_alu instid0(VALU_DEP_3)
	v_pk_fma_f32 v[10:11], v[24:25], v[22:23], v[10:11] op_sel:[1,0,0] op_sel_hi:[0,0,1] neg_lo:[1,0,0]
	v_pk_fma_f32 v[8:9], v[20:21], v[22:23], v[8:9] op_sel:[1,0,0] op_sel_hi:[0,0,1] neg_lo:[1,0,0]
	v_pk_fma_f32 v[12:13], v[32:33], v[22:23], v[12:13] op_sel_hi:[1,0,1]
	v_pk_fma_f32 v[0:1], v[34:35], v[22:23], v[0:1] op_sel_hi:[1,0,1]
	v_xor_b32_e32 v44, 0x80000000, v39
	s_wait_loadcnt 0x6
	v_pk_fma_f32 v[10:11], v[40:41], v[72:73], v[10:11] op_sel_hi:[1,0,1]
	v_pk_fma_f32 v[8:9], v[36:37], v[72:73], v[8:9] op_sel_hi:[1,0,1]
	;; [unrolled: 1-line block ×4, first 2 shown]
	v_xor_b32_e32 v26, 0x80000000, v51
	v_pk_fma_f32 v[10:11], v[40:41], v[72:73], v[10:11] op_sel:[1,1,0] op_sel_hi:[0,1,1] neg_lo:[1,0,0]
	v_pk_fma_f32 v[8:9], v[36:37], v[72:73], v[8:9] op_sel:[1,1,0] op_sel_hi:[0,1,1] neg_lo:[1,0,0]
	v_pk_fma_f32 v[12:13], v[98:99], v[72:73], v[12:13] op_sel:[0,1,0]
	v_pk_fma_f32 v[0:1], v[44:45], v[72:73], v[0:1] op_sel:[0,1,0]
	v_dual_mov_b32 v21, v62 :: v_dual_mov_b32 v97, v66
	v_xor_b32_e32 v96, 0x80000000, v67
	s_wait_loadcnt 0x4
	v_dual_mov_b32 v34, v75 :: v_dual_mov_b32 v37, v82
	v_pk_fma_f32 v[10:11], v[48:49], v[74:75], v[10:11] op_sel_hi:[1,0,1]
	v_pk_fma_f32 v[12:13], v[50:51], v[74:75], v[12:13] op_sel_hi:[1,0,1]
	;; [unrolled: 1-line block ×4, first 2 shown]
	v_xor_b32_e32 v24, 0x80000000, v55
	v_pk_fma_f32 v[10:11], v[48:49], v[34:35], v[10:11] op_sel:[1,0,0] op_sel_hi:[0,0,1] neg_lo:[1,0,0]
	v_pk_fma_f32 v[12:13], v[26:27], v[34:35], v[12:13] op_sel_hi:[1,0,1]
	v_pk_fma_f32 v[8:9], v[64:65], v[34:35], v[8:9] op_sel:[1,0,0] op_sel_hi:[0,0,1] neg_lo:[1,0,0]
	v_pk_fma_f32 v[0:1], v[96:97], v[34:35], v[0:1] op_sel_hi:[1,0,1]
	v_dual_mov_b32 v25, v54 :: v_dual_mov_b32 v47, v58
	v_dual_mov_b32 v33, v70 :: v_dual_mov_b32 v23, v78
	v_xor_b32_e32 v22, 0x80000000, v79
	s_wait_loadcnt 0x3
	v_pk_fma_f32 v[10:11], v[52:53], v[84:85], v[10:11] op_sel_hi:[1,0,1]
	v_pk_fma_f32 v[12:13], v[54:55], v[84:85], v[12:13] op_sel_hi:[1,0,1]
	;; [unrolled: 1-line block ×4, first 2 shown]
	v_xor_b32_e32 v46, 0x80000000, v59
	v_pk_fma_f32 v[10:11], v[52:53], v[84:85], v[10:11] op_sel:[1,1,0] op_sel_hi:[0,1,1] neg_lo:[1,0,0]
	v_pk_fma_f32 v[12:13], v[24:25], v[84:85], v[12:13] op_sel:[0,1,0]
	v_pk_fma_f32 v[8:9], v[76:77], v[84:85], v[8:9] op_sel:[1,1,0] op_sel_hi:[0,1,1] neg_lo:[1,0,0]
	v_pk_fma_f32 v[0:1], v[22:23], v[84:85], v[0:1] op_sel:[0,1,0]
	v_xor_b32_e32 v36, 0x80000000, v83
	s_wait_loadcnt 0x2
	v_dual_mov_b32 v22, v87 :: v_dual_mov_b32 v27, v90
	v_pk_fma_f32 v[10:11], v[56:57], v[86:87], v[10:11] op_sel_hi:[1,0,1]
	v_pk_fma_f32 v[12:13], v[58:59], v[86:87], v[12:13] op_sel_hi:[1,0,1]
	;; [unrolled: 1-line block ×4, first 2 shown]
	v_xor_b32_e32 v20, 0x80000000, v63
	v_pk_fma_f32 v[10:11], v[56:57], v[22:23], v[10:11] op_sel:[1,0,0] op_sel_hi:[0,0,1] neg_lo:[1,0,0]
	v_pk_fma_f32 v[12:13], v[46:47], v[22:23], v[12:13] op_sel_hi:[1,0,1]
	v_pk_fma_f32 v[8:9], v[80:81], v[22:23], v[8:9] op_sel:[1,0,0] op_sel_hi:[0,0,1] neg_lo:[1,0,0]
	v_pk_fma_f32 v[0:1], v[36:37], v[22:23], v[0:1] op_sel_hi:[1,0,1]
	v_xor_b32_e32 v26, 0x80000000, v91
	s_wait_loadcnt 0x1
	v_pk_fma_f32 v[10:11], v[60:61], v[92:93], v[10:11] op_sel_hi:[1,0,1]
	v_pk_fma_f32 v[12:13], v[62:63], v[92:93], v[12:13] op_sel_hi:[1,0,1]
	v_pk_fma_f32 v[8:9], v[88:89], v[92:93], v[8:9] op_sel_hi:[1,0,1]
	v_pk_fma_f32 v[0:1], v[90:91], v[92:93], v[0:1] op_sel_hi:[1,0,1]
	v_xor_b32_e32 v32, 0x80000000, v71
	v_pk_fma_f32 v[10:11], v[60:61], v[92:93], v[10:11] op_sel:[1,1,0] op_sel_hi:[0,1,1] neg_lo:[1,0,0]
	v_pk_fma_f32 v[12:13], v[20:21], v[92:93], v[12:13] op_sel:[0,1,0]
	v_pk_fma_f32 v[8:9], v[88:89], v[92:93], v[8:9] op_sel:[1,1,0] op_sel_hi:[0,1,1] neg_lo:[1,0,0]
	v_pk_fma_f32 v[0:1], v[26:27], v[92:93], v[0:1] op_sel:[0,1,0]
	v_mov_b32_e32 v20, v95
	v_pk_fma_f32 v[10:11], v[68:69], v[94:95], v[10:11] op_sel_hi:[1,0,1]
	v_pk_fma_f32 v[12:13], v[70:71], v[94:95], v[12:13] op_sel_hi:[1,0,1]
	s_delay_alu instid0(VALU_DEP_2) | instskip(NEXT) | instid1(VALU_DEP_2)
	v_pk_fma_f32 v[10:11], v[68:69], v[20:21], v[10:11] op_sel:[1,0,0] op_sel_hi:[0,0,1] neg_lo:[1,0,0]
	v_pk_fma_f32 v[12:13], v[32:33], v[20:21], v[12:13] op_sel_hi:[1,0,1]
	s_wait_loadcnt 0x0
	v_xor_b32_e32 v22, 0x80000000, v31
	v_mov_b32_e32 v23, v30
	v_pk_fma_f32 v[8:9], v[28:29], v[94:95], v[8:9] op_sel_hi:[1,0,1]
	v_pk_fma_f32 v[0:1], v[30:31], v[94:95], v[0:1] op_sel_hi:[1,0,1]
	s_delay_alu instid0(VALU_DEP_2) | instskip(NEXT) | instid1(VALU_DEP_2)
	v_pk_fma_f32 v[8:9], v[28:29], v[20:21], v[8:9] op_sel:[1,0,0] op_sel_hi:[0,0,1] neg_lo:[1,0,0]
	v_pk_fma_f32 v[0:1], v[22:23], v[20:21], v[0:1] op_sel_hi:[1,0,1]
	s_and_not1_b32 exec_lo, exec_lo, s4
	s_cbranch_execnz .LBB106_5
; %bb.6:
	s_or_b32 exec_lo, exec_lo, s4
.LBB106_7:
	s_delay_alu instid0(SALU_CYCLE_1)
	s_or_b32 exec_lo, exec_lo, s3
	s_cbranch_execz .LBB106_9
	s_branch .LBB106_14
.LBB106_8:
                                        ; implicit-def: $vgpr11
                                        ; implicit-def: $vgpr1
                                        ; implicit-def: $vgpr9
                                        ; implicit-def: $vgpr13
.LBB106_9:
	v_mov_b32_e32 v11, 0
	s_delay_alu instid0(VALU_DEP_1)
	v_dual_mov_b32 v10, v11 :: v_dual_mov_b32 v1, v11
	v_dual_mov_b32 v0, v11 :: v_dual_mov_b32 v9, v11
	;; [unrolled: 1-line block ×3, first 2 shown]
	v_mov_b32_e32 v12, v11
	s_and_saveexec_b32 s3, s2
	s_cbranch_execz .LBB106_13
; %bb.10:
	v_dual_mov_b32 v15, 0 :: v_dual_lshlrev_b32 v14, 5, v17
	s_mov_b32 s2, 0
	s_delay_alu instid0(VALU_DEP_1)
	v_dual_mov_b32 v0, v15 :: v_dual_mov_b32 v1, v15
	v_dual_mov_b32 v8, v15 :: v_dual_mov_b32 v9, v15
	;; [unrolled: 1-line block ×4, first 2 shown]
.LBB106_11:                             ; =>This Inner Loop Header: Depth=1
	global_load_b32 v66, v17, s[6:7] scale_offset
	v_lshl_add_u64 v[74:75], v[14:15], 3, s[8:9]
	s_clause 0xb
	global_load_b128 v[18:21], v[74:75], off
	global_load_b128 v[22:25], v[74:75], off offset:16
	global_load_b128 v[26:29], v[74:75], off offset:80
	;; [unrolled: 1-line block ×11, first 2 shown]
	v_add_nc_u32_e32 v14, 0x200, v14
	s_wait_xcnt 0xc
	v_add_nc_u32_e32 v17, 16, v17
	s_delay_alu instid0(VALU_DEP_1)
	v_cmp_ge_i32_e32 vcc_lo, v17, v16
	s_or_b32 s2, vcc_lo, s2
	s_wait_loadcnt 0xb
	v_mov_b32_e32 v77, v20
	v_xor_b32_e32 v76, 0x80000000, v21
	s_wait_loadcnt 0x8
	v_xor_b32_e32 v82, 0x80000000, v33
	v_mov_b32_e32 v83, v32
	v_subrev_nc_u32_e32 v66, s12, v66
	v_mov_b32_e32 v67, v15
	s_wait_loadcnt 0x6
	v_xor_b32_e32 v84, 0x80000000, v41
	s_wait_loadcnt 0x4
	v_dual_mov_b32 v85, v40 :: v_dual_mov_b32 v89, v48
	v_lshlrev_b32_e32 v66, 3, v66
	v_xor_b32_e32 v88, 0x80000000, v49
	s_delay_alu instid0(VALU_DEP_2)
	v_lshl_add_u64 v[78:79], v[66:67], 3, s[10:11]
	s_clause 0x1
	global_load_b128 v[66:69], v[78:79], off
	global_load_b128 v[70:73], v[78:79], off offset:16
	s_wait_loadcnt 0x1
	v_pk_fma_f32 v[10:11], v[18:19], v[66:67], v[10:11] op_sel_hi:[1,0,1]
	v_pk_fma_f32 v[8:9], v[38:39], v[66:67], v[8:9] op_sel_hi:[1,0,1]
	;; [unrolled: 1-line block ×3, first 2 shown]
	v_mov_b32_e32 v90, v69
	s_delay_alu instid0(VALU_DEP_4) | instskip(NEXT) | instid1(VALU_DEP_4)
	v_pk_fma_f32 v[10:11], v[18:19], v[66:67], v[10:11] op_sel:[1,1,0] op_sel_hi:[0,1,1] neg_lo:[1,0,0]
	v_pk_fma_f32 v[8:9], v[38:39], v[66:67], v[8:9] op_sel:[1,1,0] op_sel_hi:[0,1,1] neg_lo:[1,0,0]
	s_delay_alu instid0(VALU_DEP_4) | instskip(NEXT) | instid1(VALU_DEP_3)
	v_pk_fma_f32 v[0:1], v[46:47], v[66:67], v[0:1] op_sel:[1,1,0] op_sel_hi:[0,1,1] neg_lo:[1,0,0]
	v_pk_fma_f32 v[80:81], v[20:21], v[68:69], v[10:11] op_sel_hi:[1,0,1]
	v_pk_fma_f32 v[10:11], v[30:31], v[66:67], v[12:13] op_sel_hi:[1,0,1]
	s_delay_alu instid0(VALU_DEP_4)
	v_pk_fma_f32 v[86:87], v[40:41], v[68:69], v[8:9] op_sel_hi:[1,0,1]
	global_load_b128 v[18:21], v[74:75], off offset:176
	v_pk_fma_f32 v[0:1], v[48:49], v[68:69], v[0:1] op_sel_hi:[1,0,1]
	global_load_b128 v[46:49], v[78:79], off offset:32
	v_pk_fma_f32 v[10:11], v[30:31], v[66:67], v[10:11] op_sel:[1,1,0] op_sel_hi:[0,1,1] neg_lo:[1,0,0]
	global_load_b128 v[38:41], v[74:75], off offset:224
	v_pk_fma_f32 v[0:1], v[88:89], v[90:91], v[0:1] op_sel_hi:[1,0,1]
	v_pk_fma_f32 v[12:13], v[32:33], v[68:69], v[10:11] op_sel_hi:[1,0,1]
	s_clause 0x1
	global_load_b128 v[30:33], v[74:75], off offset:240
	global_load_b128 v[8:11], v[74:75], off offset:160
	;; [unrolled: 1-line block ×3, first 2 shown]
	s_wait_xcnt 0x1
	v_pk_fma_f32 v[74:75], v[76:77], v[90:91], v[80:81] op_sel_hi:[1,0,1]
	v_pk_fma_f32 v[12:13], v[82:83], v[90:91], v[12:13] op_sel_hi:[1,0,1]
	;; [unrolled: 1-line block ×3, first 2 shown]
	s_wait_loadcnt 0x6
	v_pk_fma_f32 v[0:1], v[42:43], v[70:71], v[0:1] op_sel_hi:[1,0,1]
	s_wait_xcnt 0x0
	v_xor_b32_e32 v78, 0x80000000, v25
	v_pk_fma_f32 v[74:75], v[22:23], v[70:71], v[74:75] op_sel_hi:[1,0,1]
	v_pk_fma_f32 v[12:13], v[26:27], v[70:71], v[12:13] op_sel_hi:[1,0,1]
	;; [unrolled: 1-line block ×3, first 2 shown]
	v_pk_fma_f32 v[0:1], v[42:43], v[70:71], v[0:1] op_sel:[1,1,0] op_sel_hi:[0,1,1] neg_lo:[1,0,0]
	v_mov_b32_e32 v79, v24
	v_pk_fma_f32 v[22:23], v[22:23], v[70:71], v[74:75] op_sel:[1,1,0] op_sel_hi:[0,1,1] neg_lo:[1,0,0]
	v_pk_fma_f32 v[12:13], v[26:27], v[70:71], v[12:13] op_sel:[1,1,0] op_sel_hi:[0,1,1] neg_lo:[1,0,0]
	;; [unrolled: 1-line block ×3, first 2 shown]
	v_xor_b32_e32 v80, 0x80000000, v29
	v_mov_b32_e32 v81, v28
	v_pk_fma_f32 v[22:23], v[24:25], v[72:73], v[22:23] op_sel_hi:[1,0,1]
	v_xor_b32_e32 v24, 0x80000000, v37
	v_mov_b32_e32 v25, v36
	v_xor_b32_e32 v74, 0x80000000, v45
	v_dual_mov_b32 v75, v44 :: v_dual_mov_b32 v27, v56
	v_pk_fma_f32 v[12:13], v[28:29], v[72:73], v[12:13] op_sel_hi:[1,0,1]
	v_pk_fma_f32 v[34:35], v[36:37], v[72:73], v[34:35] op_sel_hi:[1,0,1]
	;; [unrolled: 1-line block ×3, first 2 shown]
	v_mov_b32_e32 v44, v73
	v_xor_b32_e32 v26, 0x80000000, v57
	v_dual_mov_b32 v29, v52 :: v_dual_mov_b32 v37, v64
	v_xor_b32_e32 v36, 0x80000000, v65
	s_delay_alu instid0(VALU_DEP_4)
	v_pk_fma_f32 v[24:25], v[24:25], v[44:45], v[34:35] op_sel_hi:[1,0,1]
	v_mov_b32_e32 v77, v60
	v_xor_b32_e32 v28, 0x80000000, v53
	v_xor_b32_e32 v76, 0x80000000, v61
	s_wait_loadcnt 0x5
	v_xor_b32_e32 v70, 0x80000000, v21
	s_wait_loadcnt 0x3
	v_dual_mov_b32 v71, v20 :: v_dual_mov_b32 v35, v40
	v_pk_fma_f32 v[22:23], v[78:79], v[44:45], v[22:23] op_sel_hi:[1,0,1]
	v_pk_fma_f32 v[12:13], v[80:81], v[44:45], v[12:13] op_sel_hi:[1,0,1]
	;; [unrolled: 1-line block ×3, first 2 shown]
	v_xor_b32_e32 v34, 0x80000000, v41
	s_delay_alu instid0(VALU_DEP_4) | instskip(NEXT) | instid1(VALU_DEP_4)
	v_pk_fma_f32 v[22:23], v[54:55], v[46:47], v[22:23] op_sel_hi:[1,0,1]
	v_pk_fma_f32 v[12:13], v[62:63], v[46:47], v[12:13] op_sel_hi:[1,0,1]
	s_wait_loadcnt 0x1
	v_pk_fma_f32 v[24:25], v[8:9], v[46:47], v[24:25] op_sel_hi:[1,0,1]
	v_pk_fma_f32 v[0:1], v[38:39], v[46:47], v[0:1] op_sel_hi:[1,0,1]
	v_xor_b32_e32 v42, 0x80000000, v11
	v_mov_b32_e32 v43, v10
	v_pk_fma_f32 v[22:23], v[54:55], v[46:47], v[22:23] op_sel:[1,1,0] op_sel_hi:[0,1,1] neg_lo:[1,0,0]
	v_pk_fma_f32 v[12:13], v[62:63], v[46:47], v[12:13] op_sel:[1,1,0] op_sel_hi:[0,1,1] neg_lo:[1,0,0]
	;; [unrolled: 1-line block ×4, first 2 shown]
	v_mov_b32_e32 v24, v49
	v_pk_fma_f32 v[22:23], v[56:57], v[48:49], v[22:23] op_sel_hi:[1,0,1]
	v_pk_fma_f32 v[12:13], v[64:65], v[48:49], v[12:13] op_sel_hi:[1,0,1]
	v_pk_fma_f32 v[8:9], v[10:11], v[48:49], v[8:9] op_sel_hi:[1,0,1]
	v_pk_fma_f32 v[0:1], v[40:41], v[48:49], v[0:1] op_sel_hi:[1,0,1]
	s_delay_alu instid0(VALU_DEP_4) | instskip(NEXT) | instid1(VALU_DEP_4)
	v_pk_fma_f32 v[10:11], v[26:27], v[24:25], v[22:23] op_sel_hi:[1,0,1]
	v_pk_fma_f32 v[12:13], v[36:37], v[24:25], v[12:13] op_sel_hi:[1,0,1]
	s_delay_alu instid0(VALU_DEP_4) | instskip(NEXT) | instid1(VALU_DEP_4)
	v_pk_fma_f32 v[8:9], v[42:43], v[24:25], v[8:9] op_sel_hi:[1,0,1]
	v_pk_fma_f32 v[0:1], v[34:35], v[24:25], v[0:1] op_sel_hi:[1,0,1]
	v_xor_b32_e32 v22, 0x80000000, v33
	v_mov_b32_e32 v23, v32
	s_wait_loadcnt 0x0
	v_pk_fma_f32 v[10:11], v[50:51], v[66:67], v[10:11] op_sel_hi:[1,0,1]
	v_pk_fma_f32 v[12:13], v[58:59], v[66:67], v[12:13] op_sel_hi:[1,0,1]
	;; [unrolled: 1-line block ×4, first 2 shown]
	s_delay_alu instid0(VALU_DEP_4) | instskip(NEXT) | instid1(VALU_DEP_4)
	v_pk_fma_f32 v[10:11], v[50:51], v[66:67], v[10:11] op_sel:[1,1,0] op_sel_hi:[0,1,1] neg_lo:[1,0,0]
	v_pk_fma_f32 v[12:13], v[58:59], v[66:67], v[12:13] op_sel:[1,1,0] op_sel_hi:[0,1,1] neg_lo:[1,0,0]
	s_delay_alu instid0(VALU_DEP_4) | instskip(NEXT) | instid1(VALU_DEP_4)
	v_pk_fma_f32 v[8:9], v[18:19], v[66:67], v[8:9] op_sel:[1,1,0] op_sel_hi:[0,1,1] neg_lo:[1,0,0]
	v_pk_fma_f32 v[0:1], v[30:31], v[66:67], v[0:1] op_sel:[1,1,0] op_sel_hi:[0,1,1] neg_lo:[1,0,0]
	v_mov_b32_e32 v18, v69
	v_pk_fma_f32 v[10:11], v[52:53], v[68:69], v[10:11] op_sel_hi:[1,0,1]
	v_pk_fma_f32 v[12:13], v[60:61], v[68:69], v[12:13] op_sel_hi:[1,0,1]
	;; [unrolled: 1-line block ×4, first 2 shown]
	s_delay_alu instid0(VALU_DEP_4) | instskip(NEXT) | instid1(VALU_DEP_4)
	v_pk_fma_f32 v[10:11], v[28:29], v[18:19], v[10:11] op_sel_hi:[1,0,1]
	v_pk_fma_f32 v[12:13], v[76:77], v[18:19], v[12:13] op_sel_hi:[1,0,1]
	s_delay_alu instid0(VALU_DEP_4) | instskip(NEXT) | instid1(VALU_DEP_4)
	v_pk_fma_f32 v[8:9], v[70:71], v[18:19], v[8:9] op_sel_hi:[1,0,1]
	v_pk_fma_f32 v[0:1], v[22:23], v[18:19], v[0:1] op_sel_hi:[1,0,1]
	s_and_not1_b32 exec_lo, exec_lo, s2
	s_cbranch_execnz .LBB106_11
; %bb.12:
	s_or_b32 exec_lo, exec_lo, s2
.LBB106_13:
	s_delay_alu instid0(SALU_CYCLE_1)
	s_or_b32 exec_lo, exec_lo, s3
.LBB106_14:
	v_mbcnt_lo_u32_b32 v14, -1, 0
	s_delay_alu instid0(VALU_DEP_1) | instskip(SKIP_1) | instid1(VALU_DEP_1)
	v_xor_b32_e32 v23, 4, v14
	v_xor_b32_e32 v15, 8, v14
	v_cmp_gt_i32_e32 vcc_lo, 32, v15
	v_cndmask_b32_e32 v15, v14, v15, vcc_lo
	s_delay_alu instid0(VALU_DEP_1)
	v_lshlrev_b32_e32 v15, 2, v15
	ds_bpermute_b32 v16, v15, v10
	s_wait_dscnt 0x0
	v_add_f32_e32 v10, v10, v16
	ds_bpermute_b32 v19, v15, v13
	ds_bpermute_b32 v17, v15, v11
	;; [unrolled: 1-line block ×7, first 2 shown]
	s_wait_dscnt 0x6
	v_add_f32_e32 v13, v13, v19
	v_cmp_gt_i32_e32 vcc_lo, 32, v23
	s_wait_dscnt 0x3
	v_dual_add_f32 v11, v11, v17 :: v_dual_add_f32 v8, v8, v20
	s_wait_dscnt 0x1
	v_dual_add_f32 v9, v9, v21 :: v_dual_add_f32 v0, v0, v22
	s_wait_dscnt 0x0
	v_add_f32_e32 v1, v1, v15
	v_dual_cndmask_b32 v23, v14, v23 :: v_dual_add_f32 v12, v12, v18
	s_delay_alu instid0(VALU_DEP_1)
	v_lshlrev_b32_e32 v23, 2, v23
	ds_bpermute_b32 v15, v23, v10
	ds_bpermute_b32 v16, v23, v11
	ds_bpermute_b32 v17, v23, v12
	ds_bpermute_b32 v18, v23, v13
	ds_bpermute_b32 v19, v23, v8
	ds_bpermute_b32 v20, v23, v9
	ds_bpermute_b32 v21, v23, v0
	ds_bpermute_b32 v22, v23, v1
	s_wait_dscnt 0x7
	v_dual_add_f32 v10, v10, v15 :: v_dual_bitop2_b32 v23, 2, v14 bitop3:0x14
	s_delay_alu instid0(VALU_DEP_1)
	v_cmp_gt_i32_e32 vcc_lo, 32, v23
	s_wait_dscnt 0x4
	v_dual_add_f32 v11, v11, v16 :: v_dual_add_f32 v13, v13, v18
	s_wait_dscnt 0x2
	v_dual_add_f32 v15, v8, v19 :: v_dual_add_f32 v9, v9, v20
	s_wait_dscnt 0x1
	v_dual_add_f32 v16, v0, v21 :: v_dual_cndmask_b32 v23, v14, v23
	s_delay_alu instid0(VALU_DEP_1)
	v_dual_add_f32 v12, v12, v17 :: v_dual_lshlrev_b32 v23, 2, v23
	ds_bpermute_b32 v0, v23, v10
	v_xor_b32_e32 v8, 1, v14
	ds_bpermute_b32 v18, v23, v12
	ds_bpermute_b32 v19, v23, v13
	;; [unrolled: 1-line block ×4, first 2 shown]
	s_wait_dscnt 0x4
	v_add_f32_e32 v0, v10, v0
	v_cmp_gt_i32_e32 vcc_lo, 32, v8
	v_add_f32_e32 v17, v1, v22
	ds_bpermute_b32 v1, v23, v11
	ds_bpermute_b32 v22, v23, v16
	s_wait_dscnt 0x5
	v_dual_add_f32 v10, v12, v18 :: v_dual_cndmask_b32 v8, v14, v8, vcc_lo
	ds_bpermute_b32 v23, v23, v17
	s_wait_dscnt 0x4
	v_add_f32_e32 v12, v15, v20
	v_cmp_eq_u32_e32 vcc_lo, 15, v7
	s_wait_dscnt 0x2
	v_dual_lshlrev_b32 v24, 2, v8 :: v_dual_add_f32 v8, v11, v1
	v_add_f32_e32 v11, v13, v19
	s_wait_dscnt 0x1
	v_dual_add_f32 v13, v9, v21 :: v_dual_add_f32 v1, v16, v22
	s_wait_dscnt 0x0
	v_add_f32_e32 v9, v17, v23
	ds_bpermute_b32 v16, v24, v0
	ds_bpermute_b32 v17, v24, v8
	;; [unrolled: 1-line block ×8, first 2 shown]
	s_and_b32 exec_lo, exec_lo, vcc_lo
	s_cbranch_execz .LBB106_19
; %bb.15:
	s_load_b64 s[2:3], s[0:1], 0x38
	v_cmp_eq_f32_e32 vcc_lo, 0, v4
	s_wait_xcnt 0x0
	v_cmp_eq_f32_e64 s0, 0, v5
	s_wait_dscnt 0x7
	v_add_f32_e32 v0, v0, v16
	s_wait_dscnt 0x5
	v_dual_add_f32 v20, v8, v17 :: v_dual_add_f32 v8, v10, v18
	s_wait_dscnt 0x3
	v_dual_add_f32 v18, v11, v19 :: v_dual_add_f32 v10, v12, v21
	s_wait_dscnt 0x2
	v_add_f32_e32 v16, v13, v22
	s_wait_dscnt 0x1
	v_add_f32_e32 v12, v1, v14
	;; [unrolled: 2-line block ×3, first 2 shown]
	s_and_b32 s0, vcc_lo, s0
	s_delay_alu instid0(SALU_CYCLE_1) | instskip(NEXT) | instid1(SALU_CYCLE_1)
	s_and_saveexec_b32 s1, s0
	s_xor_b32 s0, exec_lo, s1
	s_cbranch_execz .LBB106_17
; %bb.16:
	v_xor_b32_e32 v4, 0x80000000, v3
	v_dual_mov_b32 v5, v2 :: v_dual_lshlrev_b32 v6, 2, v6
	s_delay_alu instid0(VALU_DEP_1) | instskip(NEXT) | instid1(VALU_DEP_2)
	v_ashrrev_i32_e32 v7, 31, v6
	v_pk_mul_f32 v[20:21], v[20:21], v[4:5] op_sel_hi:[0,1]
	v_pk_mul_f32 v[18:19], v[18:19], v[4:5] op_sel_hi:[0,1]
	;; [unrolled: 1-line block ×4, first 2 shown]
	s_wait_kmcnt 0x0
	v_lshl_add_u64 v[22:23], v[6:7], 3, s[2:3]
	v_pk_fma_f32 v[4:5], v[2:3], v[0:1], v[20:21] op_sel_hi:[1,0,1]
	v_pk_fma_f32 v[6:7], v[2:3], v[8:9], v[18:19] op_sel_hi:[1,0,1]
	v_pk_fma_f32 v[0:1], v[2:3], v[10:11], v[16:17] op_sel_hi:[1,0,1]
	v_pk_fma_f32 v[2:3], v[2:3], v[12:13], v[14:15] op_sel_hi:[1,0,1]
	s_clause 0x1
	global_store_b128 v[22:23], v[4:7], off
	global_store_b128 v[22:23], v[0:3], off offset:16
                                        ; implicit-def: $vgpr6
                                        ; implicit-def: $vgpr0
                                        ; implicit-def: $vgpr20
                                        ; implicit-def: $vgpr8
                                        ; implicit-def: $vgpr18
                                        ; implicit-def: $vgpr10
                                        ; implicit-def: $vgpr16
                                        ; implicit-def: $vgpr12
                                        ; implicit-def: $vgpr14
                                        ; implicit-def: $vgpr2_vgpr3
                                        ; implicit-def: $vgpr4_vgpr5
.LBB106_17:
	s_wait_xcnt 0x0
	s_and_not1_saveexec_b32 s0, s0
	s_cbranch_execz .LBB106_19
; %bb.18:
	v_lshlrev_b32_e32 v6, 2, v6
	v_xor_b32_e32 v32, 0x80000000, v5
	s_delay_alu instid0(VALU_DEP_2) | instskip(SKIP_1) | instid1(VALU_DEP_1)
	v_dual_mov_b32 v33, v4 :: v_dual_ashrrev_i32 v7, 31, v6
	s_wait_kmcnt 0x0
	v_lshl_add_u64 v[30:31], v[6:7], 3, s[2:3]
	v_xor_b32_e32 v6, 0x80000000, v3
	v_mov_b32_e32 v7, v2
	s_clause 0x1
	global_load_b128 v[22:25], v[30:31], off
	global_load_b128 v[26:29], v[30:31], off offset:16
	v_pk_mul_f32 v[20:21], v[20:21], v[6:7] op_sel_hi:[0,1]
	v_pk_mul_f32 v[18:19], v[18:19], v[6:7] op_sel_hi:[0,1]
	;; [unrolled: 1-line block ×4, first 2 shown]
	s_delay_alu instid0(VALU_DEP_4) | instskip(NEXT) | instid1(VALU_DEP_4)
	v_pk_fma_f32 v[0:1], v[2:3], v[0:1], v[20:21] op_sel_hi:[1,0,1]
	v_pk_fma_f32 v[8:9], v[2:3], v[8:9], v[18:19] op_sel_hi:[1,0,1]
	s_delay_alu instid0(VALU_DEP_4) | instskip(NEXT) | instid1(VALU_DEP_4)
	v_pk_fma_f32 v[10:11], v[2:3], v[10:11], v[16:17] op_sel_hi:[1,0,1]
	v_pk_fma_f32 v[2:3], v[2:3], v[12:13], v[6:7] op_sel_hi:[1,0,1]
	s_wait_loadcnt 0x1
	v_pk_fma_f32 v[0:1], v[4:5], v[22:23], v[0:1] op_sel_hi:[1,0,1]
	v_pk_fma_f32 v[6:7], v[4:5], v[24:25], v[8:9] op_sel_hi:[1,0,1]
	s_wait_loadcnt 0x0
	v_dual_mov_b32 v8, v25 :: v_dual_mov_b32 v14, v29
	v_pk_fma_f32 v[10:11], v[4:5], v[26:27], v[10:11] op_sel_hi:[1,0,1]
	v_pk_fma_f32 v[12:13], v[4:5], v[28:29], v[2:3] op_sel_hi:[1,0,1]
	v_pk_fma_f32 v[0:1], v[32:33], v[22:23], v[0:1] op_sel:[0,1,0]
	s_delay_alu instid0(VALU_DEP_4) | instskip(NEXT) | instid1(VALU_DEP_4)
	v_pk_fma_f32 v[2:3], v[32:33], v[8:9], v[6:7] op_sel_hi:[1,0,1]
	v_pk_fma_f32 v[4:5], v[32:33], v[26:27], v[10:11] op_sel:[0,1,0]
	s_delay_alu instid0(VALU_DEP_4)
	v_pk_fma_f32 v[6:7], v[32:33], v[14:15], v[12:13] op_sel_hi:[1,0,1]
	s_clause 0x1
	global_store_b128 v[30:31], v[0:3], off
	global_store_b128 v[30:31], v[4:7], off offset:16
.LBB106_19:
	s_sendmsg sendmsg(MSG_DEALLOC_VGPRS)
	s_endpgm
	.section	.rodata,"a",@progbits
	.p2align	6, 0x0
	.amdhsa_kernel _ZN9rocsparseL19gebsrmvn_4xn_kernelILj128ELj8ELj16E21rocsparse_complex_numIfEEEvi20rocsparse_direction_NS_24const_host_device_scalarIT2_EEPKiS8_PKS5_SA_S6_PS5_21rocsparse_index_base_b
		.amdhsa_group_segment_fixed_size 0
		.amdhsa_private_segment_fixed_size 0
		.amdhsa_kernarg_size 72
		.amdhsa_user_sgpr_count 2
		.amdhsa_user_sgpr_dispatch_ptr 0
		.amdhsa_user_sgpr_queue_ptr 0
		.amdhsa_user_sgpr_kernarg_segment_ptr 1
		.amdhsa_user_sgpr_dispatch_id 0
		.amdhsa_user_sgpr_kernarg_preload_length 0
		.amdhsa_user_sgpr_kernarg_preload_offset 0
		.amdhsa_user_sgpr_private_segment_size 0
		.amdhsa_wavefront_size32 1
		.amdhsa_uses_dynamic_stack 0
		.amdhsa_enable_private_segment 0
		.amdhsa_system_sgpr_workgroup_id_x 1
		.amdhsa_system_sgpr_workgroup_id_y 0
		.amdhsa_system_sgpr_workgroup_id_z 0
		.amdhsa_system_sgpr_workgroup_info 0
		.amdhsa_system_vgpr_workitem_id 0
		.amdhsa_next_free_vgpr 100
		.amdhsa_next_free_sgpr 14
		.amdhsa_named_barrier_count 0
		.amdhsa_reserve_vcc 1
		.amdhsa_float_round_mode_32 0
		.amdhsa_float_round_mode_16_64 0
		.amdhsa_float_denorm_mode_32 3
		.amdhsa_float_denorm_mode_16_64 3
		.amdhsa_fp16_overflow 0
		.amdhsa_memory_ordered 1
		.amdhsa_forward_progress 1
		.amdhsa_inst_pref_size 31
		.amdhsa_round_robin_scheduling 0
		.amdhsa_exception_fp_ieee_invalid_op 0
		.amdhsa_exception_fp_denorm_src 0
		.amdhsa_exception_fp_ieee_div_zero 0
		.amdhsa_exception_fp_ieee_overflow 0
		.amdhsa_exception_fp_ieee_underflow 0
		.amdhsa_exception_fp_ieee_inexact 0
		.amdhsa_exception_int_div_zero 0
	.end_amdhsa_kernel
	.section	.text._ZN9rocsparseL19gebsrmvn_4xn_kernelILj128ELj8ELj16E21rocsparse_complex_numIfEEEvi20rocsparse_direction_NS_24const_host_device_scalarIT2_EEPKiS8_PKS5_SA_S6_PS5_21rocsparse_index_base_b,"axG",@progbits,_ZN9rocsparseL19gebsrmvn_4xn_kernelILj128ELj8ELj16E21rocsparse_complex_numIfEEEvi20rocsparse_direction_NS_24const_host_device_scalarIT2_EEPKiS8_PKS5_SA_S6_PS5_21rocsparse_index_base_b,comdat
.Lfunc_end106:
	.size	_ZN9rocsparseL19gebsrmvn_4xn_kernelILj128ELj8ELj16E21rocsparse_complex_numIfEEEvi20rocsparse_direction_NS_24const_host_device_scalarIT2_EEPKiS8_PKS5_SA_S6_PS5_21rocsparse_index_base_b, .Lfunc_end106-_ZN9rocsparseL19gebsrmvn_4xn_kernelILj128ELj8ELj16E21rocsparse_complex_numIfEEEvi20rocsparse_direction_NS_24const_host_device_scalarIT2_EEPKiS8_PKS5_SA_S6_PS5_21rocsparse_index_base_b
                                        ; -- End function
	.set _ZN9rocsparseL19gebsrmvn_4xn_kernelILj128ELj8ELj16E21rocsparse_complex_numIfEEEvi20rocsparse_direction_NS_24const_host_device_scalarIT2_EEPKiS8_PKS5_SA_S6_PS5_21rocsparse_index_base_b.num_vgpr, 100
	.set _ZN9rocsparseL19gebsrmvn_4xn_kernelILj128ELj8ELj16E21rocsparse_complex_numIfEEEvi20rocsparse_direction_NS_24const_host_device_scalarIT2_EEPKiS8_PKS5_SA_S6_PS5_21rocsparse_index_base_b.num_agpr, 0
	.set _ZN9rocsparseL19gebsrmvn_4xn_kernelILj128ELj8ELj16E21rocsparse_complex_numIfEEEvi20rocsparse_direction_NS_24const_host_device_scalarIT2_EEPKiS8_PKS5_SA_S6_PS5_21rocsparse_index_base_b.numbered_sgpr, 14
	.set _ZN9rocsparseL19gebsrmvn_4xn_kernelILj128ELj8ELj16E21rocsparse_complex_numIfEEEvi20rocsparse_direction_NS_24const_host_device_scalarIT2_EEPKiS8_PKS5_SA_S6_PS5_21rocsparse_index_base_b.num_named_barrier, 0
	.set _ZN9rocsparseL19gebsrmvn_4xn_kernelILj128ELj8ELj16E21rocsparse_complex_numIfEEEvi20rocsparse_direction_NS_24const_host_device_scalarIT2_EEPKiS8_PKS5_SA_S6_PS5_21rocsparse_index_base_b.private_seg_size, 0
	.set _ZN9rocsparseL19gebsrmvn_4xn_kernelILj128ELj8ELj16E21rocsparse_complex_numIfEEEvi20rocsparse_direction_NS_24const_host_device_scalarIT2_EEPKiS8_PKS5_SA_S6_PS5_21rocsparse_index_base_b.uses_vcc, 1
	.set _ZN9rocsparseL19gebsrmvn_4xn_kernelILj128ELj8ELj16E21rocsparse_complex_numIfEEEvi20rocsparse_direction_NS_24const_host_device_scalarIT2_EEPKiS8_PKS5_SA_S6_PS5_21rocsparse_index_base_b.uses_flat_scratch, 1
	.set _ZN9rocsparseL19gebsrmvn_4xn_kernelILj128ELj8ELj16E21rocsparse_complex_numIfEEEvi20rocsparse_direction_NS_24const_host_device_scalarIT2_EEPKiS8_PKS5_SA_S6_PS5_21rocsparse_index_base_b.has_dyn_sized_stack, 0
	.set _ZN9rocsparseL19gebsrmvn_4xn_kernelILj128ELj8ELj16E21rocsparse_complex_numIfEEEvi20rocsparse_direction_NS_24const_host_device_scalarIT2_EEPKiS8_PKS5_SA_S6_PS5_21rocsparse_index_base_b.has_recursion, 0
	.set _ZN9rocsparseL19gebsrmvn_4xn_kernelILj128ELj8ELj16E21rocsparse_complex_numIfEEEvi20rocsparse_direction_NS_24const_host_device_scalarIT2_EEPKiS8_PKS5_SA_S6_PS5_21rocsparse_index_base_b.has_indirect_call, 0
	.section	.AMDGPU.csdata,"",@progbits
; Kernel info:
; codeLenInByte = 3900
; TotalNumSgprs: 16
; NumVgprs: 100
; ScratchSize: 0
; MemoryBound: 0
; FloatMode: 240
; IeeeMode: 1
; LDSByteSize: 0 bytes/workgroup (compile time only)
; SGPRBlocks: 0
; VGPRBlocks: 6
; NumSGPRsForWavesPerEU: 16
; NumVGPRsForWavesPerEU: 100
; NamedBarCnt: 0
; Occupancy: 9
; WaveLimiterHint : 1
; COMPUTE_PGM_RSRC2:SCRATCH_EN: 0
; COMPUTE_PGM_RSRC2:USER_SGPR: 2
; COMPUTE_PGM_RSRC2:TRAP_HANDLER: 0
; COMPUTE_PGM_RSRC2:TGID_X_EN: 1
; COMPUTE_PGM_RSRC2:TGID_Y_EN: 0
; COMPUTE_PGM_RSRC2:TGID_Z_EN: 0
; COMPUTE_PGM_RSRC2:TIDIG_COMP_CNT: 0
	.section	.text._ZN9rocsparseL19gebsrmvn_4xn_kernelILj128ELj8ELj32E21rocsparse_complex_numIfEEEvi20rocsparse_direction_NS_24const_host_device_scalarIT2_EEPKiS8_PKS5_SA_S6_PS5_21rocsparse_index_base_b,"axG",@progbits,_ZN9rocsparseL19gebsrmvn_4xn_kernelILj128ELj8ELj32E21rocsparse_complex_numIfEEEvi20rocsparse_direction_NS_24const_host_device_scalarIT2_EEPKiS8_PKS5_SA_S6_PS5_21rocsparse_index_base_b,comdat
	.globl	_ZN9rocsparseL19gebsrmvn_4xn_kernelILj128ELj8ELj32E21rocsparse_complex_numIfEEEvi20rocsparse_direction_NS_24const_host_device_scalarIT2_EEPKiS8_PKS5_SA_S6_PS5_21rocsparse_index_base_b ; -- Begin function _ZN9rocsparseL19gebsrmvn_4xn_kernelILj128ELj8ELj32E21rocsparse_complex_numIfEEEvi20rocsparse_direction_NS_24const_host_device_scalarIT2_EEPKiS8_PKS5_SA_S6_PS5_21rocsparse_index_base_b
	.p2align	8
	.type	_ZN9rocsparseL19gebsrmvn_4xn_kernelILj128ELj8ELj32E21rocsparse_complex_numIfEEEvi20rocsparse_direction_NS_24const_host_device_scalarIT2_EEPKiS8_PKS5_SA_S6_PS5_21rocsparse_index_base_b,@function
_ZN9rocsparseL19gebsrmvn_4xn_kernelILj128ELj8ELj32E21rocsparse_complex_numIfEEEvi20rocsparse_direction_NS_24const_host_device_scalarIT2_EEPKiS8_PKS5_SA_S6_PS5_21rocsparse_index_base_b: ; @_ZN9rocsparseL19gebsrmvn_4xn_kernelILj128ELj8ELj32E21rocsparse_complex_numIfEEEvi20rocsparse_direction_NS_24const_host_device_scalarIT2_EEPKiS8_PKS5_SA_S6_PS5_21rocsparse_index_base_b
; %bb.0:
	s_clause 0x2
	s_load_b64 s[12:13], s[0:1], 0x40
	s_load_b64 s[2:3], s[0:1], 0x8
	;; [unrolled: 1-line block ×3, first 2 shown]
	v_mov_b32_e32 v1, 0
	s_add_nc_u64 s[6:7], s[0:1], 8
	s_add_nc_u64 s[8:9], s[0:1], 48
	s_wait_kmcnt 0x0
	s_bitcmp1_b32 s13, 0
	s_cselect_b32 s3, s7, s3
	s_cselect_b32 s2, s6, s2
	;; [unrolled: 1-line block ×4, first 2 shown]
	s_clause 0x1
	flat_load_b64 v[2:3], v1, s[2:3]
	flat_load_b64 v[4:5], v1, s[4:5]
	s_wait_loadcnt_dscnt 0x101
	v_cmp_eq_f32_e32 vcc_lo, 0, v2
	v_cmp_eq_f32_e64 s2, 0, v3
	s_wait_loadcnt_dscnt 0x0
	v_cmp_eq_f32_e64 s3, 1.0, v4
	v_cmp_eq_f32_e64 s4, 0, v5
	s_and_b32 s2, vcc_lo, s2
	s_and_b32 s3, s3, s4
	s_delay_alu instid0(SALU_CYCLE_1) | instskip(NEXT) | instid1(SALU_CYCLE_1)
	s_and_b32 s2, s2, s3
	s_xor_b32 s2, s2, -1
	s_delay_alu instid0(SALU_CYCLE_1)
	s_and_saveexec_b32 s3, s2
	s_cbranch_execz .LBB107_19
; %bb.1:
	s_load_b64 s[2:3], s[0:1], 0x0
	s_bfe_u32 s4, ttmp6, 0x4000c
	s_and_b32 s5, ttmp6, 15
	s_add_co_i32 s4, s4, 1
	s_getreg_b32 s6, hwreg(HW_REG_IB_STS2, 6, 4)
	s_mul_i32 s4, ttmp9, s4
	v_lshrrev_b32_e32 v1, 5, v0
	s_add_co_i32 s5, s5, s4
	s_cmp_eq_u32 s6, 0
	s_cselect_b32 s4, ttmp9, s5
	s_delay_alu instid0(VALU_DEP_1) | instid1(SALU_CYCLE_1)
	v_lshl_or_b32 v6, s4, 2, v1
	s_wait_kmcnt 0x0
	s_delay_alu instid0(VALU_DEP_1)
	v_cmp_gt_i32_e32 vcc_lo, s2, v6
	s_and_b32 exec_lo, exec_lo, vcc_lo
	s_cbranch_execz .LBB107_19
; %bb.2:
	s_load_b256 s[4:11], s[0:1], 0x10
	v_ashrrev_i32_e32 v7, 31, v6
	s_cmp_lg_u32 s3, 0
	s_wait_kmcnt 0x0
	s_delay_alu instid0(VALU_DEP_1)
	v_lshl_add_u64 v[8:9], v[6:7], 2, s[4:5]
	v_and_b32_e32 v7, 31, v0
	global_load_b64 v[8:9], v[8:9], off
	s_wait_loadcnt 0x0
	v_subrev_nc_u32_e32 v0, s12, v8
	v_subrev_nc_u32_e32 v16, s12, v9
	s_delay_alu instid0(VALU_DEP_2) | instskip(NEXT) | instid1(VALU_DEP_1)
	v_add_nc_u32_e32 v17, v0, v7
	v_cmp_lt_i32_e64 s2, v17, v16
	s_cbranch_scc0 .LBB107_8
; %bb.3:
	v_mov_b32_e32 v11, 0
	s_delay_alu instid0(VALU_DEP_1)
	v_dual_mov_b32 v10, v11 :: v_dual_mov_b32 v1, v11
	v_dual_mov_b32 v0, v11 :: v_dual_mov_b32 v9, v11
	;; [unrolled: 1-line block ×3, first 2 shown]
	v_mov_b32_e32 v12, v11
	s_and_saveexec_b32 s3, s2
	s_cbranch_execz .LBB107_7
; %bb.4:
	v_dual_mov_b32 v15, 0 :: v_dual_lshlrev_b32 v14, 5, v17
	v_mov_b32_e32 v18, v17
	s_mov_b32 s4, 0
	s_delay_alu instid0(VALU_DEP_2)
	v_dual_mov_b32 v0, v15 :: v_dual_mov_b32 v1, v15
	v_dual_mov_b32 v8, v15 :: v_dual_mov_b32 v9, v15
	v_dual_mov_b32 v12, v15 :: v_dual_mov_b32 v13, v15
	v_dual_mov_b32 v10, v15 :: v_dual_mov_b32 v11, v15
.LBB107_5:                              ; =>This Inner Loop Header: Depth=1
	global_load_b32 v19, v18, s[6:7] scale_offset
	v_lshl_add_u64 v[96:97], v[14:15], 3, s[8:9]
	s_clause 0x5
	global_load_b128 v[20:23], v[96:97], off offset:48
	global_load_b128 v[24:27], v[96:97], off offset:32
	global_load_b128 v[28:31], v[96:97], off
	global_load_b128 v[32:35], v[96:97], off offset:16
	global_load_b128 v[36:39], v[96:97], off offset:80
	;; [unrolled: 1-line block ×3, first 2 shown]
	v_add_nc_u32_e32 v14, 0x400, v14
	s_wait_xcnt 0x6
	v_add_nc_u32_e32 v18, 32, v18
	s_delay_alu instid0(VALU_DEP_1)
	v_cmp_ge_i32_e32 vcc_lo, v18, v16
	s_or_b32 s4, vcc_lo, s4
	s_wait_loadcnt 0x6
	v_subrev_nc_u32_e32 v19, s12, v19
	v_mov_b32_e32 v45, v15
	s_wait_loadcnt 0x3
	v_xor_b32_e32 v98, 0x80000000, v31
	s_delay_alu instid0(VALU_DEP_3) | instskip(NEXT) | instid1(VALU_DEP_1)
	v_dual_mov_b32 v99, v30 :: v_dual_lshlrev_b32 v44, 3, v19
	v_lshl_add_u64 v[92:93], v[44:45], 3, s[10:11]
	global_load_b128 v[44:47], v[92:93], off
	s_clause 0x5
	global_load_b128 v[48:51], v[96:97], off offset:96
	global_load_b128 v[52:55], v[96:97], off offset:128
	;; [unrolled: 1-line block ×7, first 2 shown]
	s_clause 0x1
	global_load_b128 v[76:79], v[96:97], off offset:144
	global_load_b128 v[80:83], v[96:97], off offset:176
	;; [unrolled: 1-line block ×5, first 2 shown]
	s_wait_loadcnt 0xc
	v_pk_fma_f32 v[10:11], v[28:29], v[44:45], v[10:11] op_sel_hi:[1,0,1]
	v_pk_fma_f32 v[12:13], v[30:31], v[44:45], v[12:13] op_sel_hi:[1,0,1]
	;; [unrolled: 1-line block ×4, first 2 shown]
	s_delay_alu instid0(VALU_DEP_4)
	v_pk_fma_f32 v[10:11], v[28:29], v[44:45], v[10:11] op_sel:[1,1,0] op_sel_hi:[0,1,1] neg_lo:[1,0,0]
	global_load_b128 v[28:31], v[96:97], off offset:240
	s_wait_xcnt 0x0
	v_xor_b32_e32 v96, 0x80000000, v35
	v_mov_b32_e32 v97, v34
	v_pk_fma_f32 v[8:9], v[32:33], v[44:45], v[8:9] op_sel:[1,1,0] op_sel_hi:[0,1,1] neg_lo:[1,0,0]
	v_pk_fma_f32 v[12:13], v[98:99], v[44:45], v[12:13] op_sel:[0,1,0]
	v_xor_b32_e32 v32, 0x80000000, v27
	v_dual_mov_b32 v33, v26 :: v_dual_mov_b32 v35, v22
	v_pk_fma_f32 v[0:1], v[96:97], v[44:45], v[0:1] op_sel:[0,1,0]
	v_xor_b32_e32 v34, 0x80000000, v23
	v_pk_fma_f32 v[10:11], v[24:25], v[46:47], v[10:11] op_sel_hi:[1,0,1]
	v_pk_fma_f32 v[12:13], v[26:27], v[46:47], v[12:13] op_sel_hi:[1,0,1]
	;; [unrolled: 1-line block ×4, first 2 shown]
	s_wait_loadcnt 0xc
	v_dual_mov_b32 v22, v47 :: v_dual_mov_b32 v27, v50
	v_xor_b32_e32 v98, 0x80000000, v43
	v_dual_mov_b32 v99, v42 :: v_dual_mov_b32 v45, v38
	s_delay_alu instid0(VALU_DEP_3)
	v_pk_fma_f32 v[10:11], v[24:25], v[22:23], v[10:11] op_sel:[1,0,0] op_sel_hi:[0,0,1] neg_lo:[1,0,0]
	v_pk_fma_f32 v[8:9], v[20:21], v[22:23], v[8:9] op_sel:[1,0,0] op_sel_hi:[0,0,1] neg_lo:[1,0,0]
	v_pk_fma_f32 v[12:13], v[32:33], v[22:23], v[12:13] op_sel_hi:[1,0,1]
	v_pk_fma_f32 v[0:1], v[34:35], v[22:23], v[0:1] op_sel_hi:[1,0,1]
	v_xor_b32_e32 v44, 0x80000000, v39
	s_wait_loadcnt 0x6
	v_pk_fma_f32 v[10:11], v[40:41], v[72:73], v[10:11] op_sel_hi:[1,0,1]
	v_pk_fma_f32 v[8:9], v[36:37], v[72:73], v[8:9] op_sel_hi:[1,0,1]
	;; [unrolled: 1-line block ×4, first 2 shown]
	v_xor_b32_e32 v26, 0x80000000, v51
	v_pk_fma_f32 v[10:11], v[40:41], v[72:73], v[10:11] op_sel:[1,1,0] op_sel_hi:[0,1,1] neg_lo:[1,0,0]
	v_pk_fma_f32 v[8:9], v[36:37], v[72:73], v[8:9] op_sel:[1,1,0] op_sel_hi:[0,1,1] neg_lo:[1,0,0]
	v_pk_fma_f32 v[12:13], v[98:99], v[72:73], v[12:13] op_sel:[0,1,0]
	v_pk_fma_f32 v[0:1], v[44:45], v[72:73], v[0:1] op_sel:[0,1,0]
	v_dual_mov_b32 v21, v62 :: v_dual_mov_b32 v97, v66
	v_xor_b32_e32 v96, 0x80000000, v67
	s_wait_loadcnt 0x4
	v_dual_mov_b32 v34, v75 :: v_dual_mov_b32 v37, v82
	v_pk_fma_f32 v[10:11], v[48:49], v[74:75], v[10:11] op_sel_hi:[1,0,1]
	v_pk_fma_f32 v[12:13], v[50:51], v[74:75], v[12:13] op_sel_hi:[1,0,1]
	;; [unrolled: 1-line block ×4, first 2 shown]
	v_xor_b32_e32 v24, 0x80000000, v55
	v_pk_fma_f32 v[10:11], v[48:49], v[34:35], v[10:11] op_sel:[1,0,0] op_sel_hi:[0,0,1] neg_lo:[1,0,0]
	v_pk_fma_f32 v[12:13], v[26:27], v[34:35], v[12:13] op_sel_hi:[1,0,1]
	v_pk_fma_f32 v[8:9], v[64:65], v[34:35], v[8:9] op_sel:[1,0,0] op_sel_hi:[0,0,1] neg_lo:[1,0,0]
	v_pk_fma_f32 v[0:1], v[96:97], v[34:35], v[0:1] op_sel_hi:[1,0,1]
	v_dual_mov_b32 v25, v54 :: v_dual_mov_b32 v47, v58
	v_dual_mov_b32 v33, v70 :: v_dual_mov_b32 v23, v78
	v_xor_b32_e32 v22, 0x80000000, v79
	s_wait_loadcnt 0x3
	v_pk_fma_f32 v[10:11], v[52:53], v[84:85], v[10:11] op_sel_hi:[1,0,1]
	v_pk_fma_f32 v[12:13], v[54:55], v[84:85], v[12:13] op_sel_hi:[1,0,1]
	;; [unrolled: 1-line block ×4, first 2 shown]
	v_xor_b32_e32 v46, 0x80000000, v59
	v_pk_fma_f32 v[10:11], v[52:53], v[84:85], v[10:11] op_sel:[1,1,0] op_sel_hi:[0,1,1] neg_lo:[1,0,0]
	v_pk_fma_f32 v[12:13], v[24:25], v[84:85], v[12:13] op_sel:[0,1,0]
	v_pk_fma_f32 v[8:9], v[76:77], v[84:85], v[8:9] op_sel:[1,1,0] op_sel_hi:[0,1,1] neg_lo:[1,0,0]
	v_pk_fma_f32 v[0:1], v[22:23], v[84:85], v[0:1] op_sel:[0,1,0]
	v_xor_b32_e32 v36, 0x80000000, v83
	s_wait_loadcnt 0x2
	v_dual_mov_b32 v22, v87 :: v_dual_mov_b32 v27, v90
	v_pk_fma_f32 v[10:11], v[56:57], v[86:87], v[10:11] op_sel_hi:[1,0,1]
	v_pk_fma_f32 v[12:13], v[58:59], v[86:87], v[12:13] op_sel_hi:[1,0,1]
	;; [unrolled: 1-line block ×4, first 2 shown]
	v_xor_b32_e32 v20, 0x80000000, v63
	v_pk_fma_f32 v[10:11], v[56:57], v[22:23], v[10:11] op_sel:[1,0,0] op_sel_hi:[0,0,1] neg_lo:[1,0,0]
	v_pk_fma_f32 v[12:13], v[46:47], v[22:23], v[12:13] op_sel_hi:[1,0,1]
	v_pk_fma_f32 v[8:9], v[80:81], v[22:23], v[8:9] op_sel:[1,0,0] op_sel_hi:[0,0,1] neg_lo:[1,0,0]
	v_pk_fma_f32 v[0:1], v[36:37], v[22:23], v[0:1] op_sel_hi:[1,0,1]
	v_xor_b32_e32 v26, 0x80000000, v91
	s_wait_loadcnt 0x1
	v_pk_fma_f32 v[10:11], v[60:61], v[92:93], v[10:11] op_sel_hi:[1,0,1]
	v_pk_fma_f32 v[12:13], v[62:63], v[92:93], v[12:13] op_sel_hi:[1,0,1]
	;; [unrolled: 1-line block ×4, first 2 shown]
	v_xor_b32_e32 v32, 0x80000000, v71
	v_pk_fma_f32 v[10:11], v[60:61], v[92:93], v[10:11] op_sel:[1,1,0] op_sel_hi:[0,1,1] neg_lo:[1,0,0]
	v_pk_fma_f32 v[12:13], v[20:21], v[92:93], v[12:13] op_sel:[0,1,0]
	v_pk_fma_f32 v[8:9], v[88:89], v[92:93], v[8:9] op_sel:[1,1,0] op_sel_hi:[0,1,1] neg_lo:[1,0,0]
	v_pk_fma_f32 v[0:1], v[26:27], v[92:93], v[0:1] op_sel:[0,1,0]
	v_mov_b32_e32 v20, v95
	v_pk_fma_f32 v[10:11], v[68:69], v[94:95], v[10:11] op_sel_hi:[1,0,1]
	v_pk_fma_f32 v[12:13], v[70:71], v[94:95], v[12:13] op_sel_hi:[1,0,1]
	s_delay_alu instid0(VALU_DEP_2) | instskip(NEXT) | instid1(VALU_DEP_2)
	v_pk_fma_f32 v[10:11], v[68:69], v[20:21], v[10:11] op_sel:[1,0,0] op_sel_hi:[0,0,1] neg_lo:[1,0,0]
	v_pk_fma_f32 v[12:13], v[32:33], v[20:21], v[12:13] op_sel_hi:[1,0,1]
	s_wait_loadcnt 0x0
	v_xor_b32_e32 v22, 0x80000000, v31
	v_mov_b32_e32 v23, v30
	v_pk_fma_f32 v[8:9], v[28:29], v[94:95], v[8:9] op_sel_hi:[1,0,1]
	v_pk_fma_f32 v[0:1], v[30:31], v[94:95], v[0:1] op_sel_hi:[1,0,1]
	s_delay_alu instid0(VALU_DEP_2) | instskip(NEXT) | instid1(VALU_DEP_2)
	v_pk_fma_f32 v[8:9], v[28:29], v[20:21], v[8:9] op_sel:[1,0,0] op_sel_hi:[0,0,1] neg_lo:[1,0,0]
	v_pk_fma_f32 v[0:1], v[22:23], v[20:21], v[0:1] op_sel_hi:[1,0,1]
	s_and_not1_b32 exec_lo, exec_lo, s4
	s_cbranch_execnz .LBB107_5
; %bb.6:
	s_or_b32 exec_lo, exec_lo, s4
.LBB107_7:
	s_delay_alu instid0(SALU_CYCLE_1)
	s_or_b32 exec_lo, exec_lo, s3
	s_cbranch_execz .LBB107_9
	s_branch .LBB107_14
.LBB107_8:
                                        ; implicit-def: $vgpr11
                                        ; implicit-def: $vgpr1
                                        ; implicit-def: $vgpr9
                                        ; implicit-def: $vgpr13
.LBB107_9:
	v_mov_b32_e32 v11, 0
	s_delay_alu instid0(VALU_DEP_1)
	v_dual_mov_b32 v10, v11 :: v_dual_mov_b32 v1, v11
	v_dual_mov_b32 v0, v11 :: v_dual_mov_b32 v9, v11
	v_dual_mov_b32 v8, v11 :: v_dual_mov_b32 v13, v11
	v_mov_b32_e32 v12, v11
	s_and_saveexec_b32 s3, s2
	s_cbranch_execz .LBB107_13
; %bb.10:
	v_dual_mov_b32 v15, 0 :: v_dual_lshlrev_b32 v14, 5, v17
	s_mov_b32 s2, 0
	s_delay_alu instid0(VALU_DEP_1)
	v_dual_mov_b32 v0, v15 :: v_dual_mov_b32 v1, v15
	v_dual_mov_b32 v8, v15 :: v_dual_mov_b32 v9, v15
	;; [unrolled: 1-line block ×4, first 2 shown]
.LBB107_11:                             ; =>This Inner Loop Header: Depth=1
	global_load_b32 v66, v17, s[6:7] scale_offset
	v_lshl_add_u64 v[74:75], v[14:15], 3, s[8:9]
	s_clause 0xb
	global_load_b128 v[18:21], v[74:75], off
	global_load_b128 v[22:25], v[74:75], off offset:16
	global_load_b128 v[26:29], v[74:75], off offset:80
	;; [unrolled: 1-line block ×11, first 2 shown]
	v_add_nc_u32_e32 v14, 0x400, v14
	s_wait_xcnt 0xc
	v_add_nc_u32_e32 v17, 32, v17
	s_delay_alu instid0(VALU_DEP_1)
	v_cmp_ge_i32_e32 vcc_lo, v17, v16
	s_or_b32 s2, vcc_lo, s2
	s_wait_loadcnt 0xb
	v_mov_b32_e32 v77, v20
	v_xor_b32_e32 v76, 0x80000000, v21
	s_wait_loadcnt 0x8
	v_xor_b32_e32 v82, 0x80000000, v33
	v_mov_b32_e32 v83, v32
	v_subrev_nc_u32_e32 v66, s12, v66
	v_mov_b32_e32 v67, v15
	s_wait_loadcnt 0x6
	v_xor_b32_e32 v84, 0x80000000, v41
	s_wait_loadcnt 0x4
	v_dual_mov_b32 v85, v40 :: v_dual_mov_b32 v89, v48
	v_lshlrev_b32_e32 v66, 3, v66
	v_xor_b32_e32 v88, 0x80000000, v49
	s_delay_alu instid0(VALU_DEP_2)
	v_lshl_add_u64 v[78:79], v[66:67], 3, s[10:11]
	s_clause 0x1
	global_load_b128 v[66:69], v[78:79], off
	global_load_b128 v[70:73], v[78:79], off offset:16
	s_wait_loadcnt 0x1
	v_pk_fma_f32 v[10:11], v[18:19], v[66:67], v[10:11] op_sel_hi:[1,0,1]
	v_pk_fma_f32 v[8:9], v[38:39], v[66:67], v[8:9] op_sel_hi:[1,0,1]
	;; [unrolled: 1-line block ×3, first 2 shown]
	v_mov_b32_e32 v90, v69
	s_delay_alu instid0(VALU_DEP_4) | instskip(NEXT) | instid1(VALU_DEP_4)
	v_pk_fma_f32 v[10:11], v[18:19], v[66:67], v[10:11] op_sel:[1,1,0] op_sel_hi:[0,1,1] neg_lo:[1,0,0]
	v_pk_fma_f32 v[8:9], v[38:39], v[66:67], v[8:9] op_sel:[1,1,0] op_sel_hi:[0,1,1] neg_lo:[1,0,0]
	s_delay_alu instid0(VALU_DEP_4) | instskip(NEXT) | instid1(VALU_DEP_3)
	v_pk_fma_f32 v[0:1], v[46:47], v[66:67], v[0:1] op_sel:[1,1,0] op_sel_hi:[0,1,1] neg_lo:[1,0,0]
	v_pk_fma_f32 v[80:81], v[20:21], v[68:69], v[10:11] op_sel_hi:[1,0,1]
	v_pk_fma_f32 v[10:11], v[30:31], v[66:67], v[12:13] op_sel_hi:[1,0,1]
	s_delay_alu instid0(VALU_DEP_4)
	v_pk_fma_f32 v[86:87], v[40:41], v[68:69], v[8:9] op_sel_hi:[1,0,1]
	global_load_b128 v[18:21], v[74:75], off offset:176
	v_pk_fma_f32 v[0:1], v[48:49], v[68:69], v[0:1] op_sel_hi:[1,0,1]
	global_load_b128 v[46:49], v[78:79], off offset:32
	v_pk_fma_f32 v[10:11], v[30:31], v[66:67], v[10:11] op_sel:[1,1,0] op_sel_hi:[0,1,1] neg_lo:[1,0,0]
	global_load_b128 v[38:41], v[74:75], off offset:224
	v_pk_fma_f32 v[0:1], v[88:89], v[90:91], v[0:1] op_sel_hi:[1,0,1]
	v_pk_fma_f32 v[12:13], v[32:33], v[68:69], v[10:11] op_sel_hi:[1,0,1]
	s_clause 0x1
	global_load_b128 v[30:33], v[74:75], off offset:240
	global_load_b128 v[8:11], v[74:75], off offset:160
	;; [unrolled: 1-line block ×3, first 2 shown]
	s_wait_xcnt 0x1
	v_pk_fma_f32 v[74:75], v[76:77], v[90:91], v[80:81] op_sel_hi:[1,0,1]
	v_pk_fma_f32 v[12:13], v[82:83], v[90:91], v[12:13] op_sel_hi:[1,0,1]
	v_pk_fma_f32 v[76:77], v[84:85], v[90:91], v[86:87] op_sel_hi:[1,0,1]
	s_wait_loadcnt 0x6
	v_pk_fma_f32 v[0:1], v[42:43], v[70:71], v[0:1] op_sel_hi:[1,0,1]
	s_wait_xcnt 0x0
	v_xor_b32_e32 v78, 0x80000000, v25
	v_pk_fma_f32 v[74:75], v[22:23], v[70:71], v[74:75] op_sel_hi:[1,0,1]
	v_pk_fma_f32 v[12:13], v[26:27], v[70:71], v[12:13] op_sel_hi:[1,0,1]
	;; [unrolled: 1-line block ×3, first 2 shown]
	v_pk_fma_f32 v[0:1], v[42:43], v[70:71], v[0:1] op_sel:[1,1,0] op_sel_hi:[0,1,1] neg_lo:[1,0,0]
	v_mov_b32_e32 v79, v24
	v_pk_fma_f32 v[22:23], v[22:23], v[70:71], v[74:75] op_sel:[1,1,0] op_sel_hi:[0,1,1] neg_lo:[1,0,0]
	v_pk_fma_f32 v[12:13], v[26:27], v[70:71], v[12:13] op_sel:[1,1,0] op_sel_hi:[0,1,1] neg_lo:[1,0,0]
	;; [unrolled: 1-line block ×3, first 2 shown]
	v_xor_b32_e32 v80, 0x80000000, v29
	v_mov_b32_e32 v81, v28
	v_pk_fma_f32 v[22:23], v[24:25], v[72:73], v[22:23] op_sel_hi:[1,0,1]
	v_xor_b32_e32 v24, 0x80000000, v37
	v_mov_b32_e32 v25, v36
	v_xor_b32_e32 v74, 0x80000000, v45
	v_dual_mov_b32 v75, v44 :: v_dual_mov_b32 v27, v56
	v_pk_fma_f32 v[12:13], v[28:29], v[72:73], v[12:13] op_sel_hi:[1,0,1]
	v_pk_fma_f32 v[34:35], v[36:37], v[72:73], v[34:35] op_sel_hi:[1,0,1]
	;; [unrolled: 1-line block ×3, first 2 shown]
	v_mov_b32_e32 v44, v73
	v_xor_b32_e32 v26, 0x80000000, v57
	v_dual_mov_b32 v29, v52 :: v_dual_mov_b32 v37, v64
	v_xor_b32_e32 v36, 0x80000000, v65
	s_delay_alu instid0(VALU_DEP_4)
	v_pk_fma_f32 v[24:25], v[24:25], v[44:45], v[34:35] op_sel_hi:[1,0,1]
	v_mov_b32_e32 v77, v60
	v_xor_b32_e32 v28, 0x80000000, v53
	v_xor_b32_e32 v76, 0x80000000, v61
	s_wait_loadcnt 0x5
	v_xor_b32_e32 v70, 0x80000000, v21
	s_wait_loadcnt 0x3
	v_dual_mov_b32 v71, v20 :: v_dual_mov_b32 v35, v40
	v_pk_fma_f32 v[22:23], v[78:79], v[44:45], v[22:23] op_sel_hi:[1,0,1]
	v_pk_fma_f32 v[12:13], v[80:81], v[44:45], v[12:13] op_sel_hi:[1,0,1]
	;; [unrolled: 1-line block ×3, first 2 shown]
	v_xor_b32_e32 v34, 0x80000000, v41
	s_delay_alu instid0(VALU_DEP_4) | instskip(NEXT) | instid1(VALU_DEP_4)
	v_pk_fma_f32 v[22:23], v[54:55], v[46:47], v[22:23] op_sel_hi:[1,0,1]
	v_pk_fma_f32 v[12:13], v[62:63], v[46:47], v[12:13] op_sel_hi:[1,0,1]
	s_wait_loadcnt 0x1
	v_pk_fma_f32 v[24:25], v[8:9], v[46:47], v[24:25] op_sel_hi:[1,0,1]
	v_pk_fma_f32 v[0:1], v[38:39], v[46:47], v[0:1] op_sel_hi:[1,0,1]
	v_xor_b32_e32 v42, 0x80000000, v11
	v_mov_b32_e32 v43, v10
	v_pk_fma_f32 v[22:23], v[54:55], v[46:47], v[22:23] op_sel:[1,1,0] op_sel_hi:[0,1,1] neg_lo:[1,0,0]
	v_pk_fma_f32 v[12:13], v[62:63], v[46:47], v[12:13] op_sel:[1,1,0] op_sel_hi:[0,1,1] neg_lo:[1,0,0]
	v_pk_fma_f32 v[8:9], v[8:9], v[46:47], v[24:25] op_sel:[1,1,0] op_sel_hi:[0,1,1] neg_lo:[1,0,0]
	v_pk_fma_f32 v[0:1], v[38:39], v[46:47], v[0:1] op_sel:[1,1,0] op_sel_hi:[0,1,1] neg_lo:[1,0,0]
	v_mov_b32_e32 v24, v49
	v_pk_fma_f32 v[22:23], v[56:57], v[48:49], v[22:23] op_sel_hi:[1,0,1]
	v_pk_fma_f32 v[12:13], v[64:65], v[48:49], v[12:13] op_sel_hi:[1,0,1]
	;; [unrolled: 1-line block ×4, first 2 shown]
	s_delay_alu instid0(VALU_DEP_4) | instskip(NEXT) | instid1(VALU_DEP_4)
	v_pk_fma_f32 v[10:11], v[26:27], v[24:25], v[22:23] op_sel_hi:[1,0,1]
	v_pk_fma_f32 v[12:13], v[36:37], v[24:25], v[12:13] op_sel_hi:[1,0,1]
	s_delay_alu instid0(VALU_DEP_4) | instskip(NEXT) | instid1(VALU_DEP_4)
	v_pk_fma_f32 v[8:9], v[42:43], v[24:25], v[8:9] op_sel_hi:[1,0,1]
	v_pk_fma_f32 v[0:1], v[34:35], v[24:25], v[0:1] op_sel_hi:[1,0,1]
	v_xor_b32_e32 v22, 0x80000000, v33
	v_mov_b32_e32 v23, v32
	s_wait_loadcnt 0x0
	v_pk_fma_f32 v[10:11], v[50:51], v[66:67], v[10:11] op_sel_hi:[1,0,1]
	v_pk_fma_f32 v[12:13], v[58:59], v[66:67], v[12:13] op_sel_hi:[1,0,1]
	;; [unrolled: 1-line block ×4, first 2 shown]
	s_delay_alu instid0(VALU_DEP_4) | instskip(NEXT) | instid1(VALU_DEP_4)
	v_pk_fma_f32 v[10:11], v[50:51], v[66:67], v[10:11] op_sel:[1,1,0] op_sel_hi:[0,1,1] neg_lo:[1,0,0]
	v_pk_fma_f32 v[12:13], v[58:59], v[66:67], v[12:13] op_sel:[1,1,0] op_sel_hi:[0,1,1] neg_lo:[1,0,0]
	s_delay_alu instid0(VALU_DEP_4) | instskip(NEXT) | instid1(VALU_DEP_4)
	v_pk_fma_f32 v[8:9], v[18:19], v[66:67], v[8:9] op_sel:[1,1,0] op_sel_hi:[0,1,1] neg_lo:[1,0,0]
	v_pk_fma_f32 v[0:1], v[30:31], v[66:67], v[0:1] op_sel:[1,1,0] op_sel_hi:[0,1,1] neg_lo:[1,0,0]
	v_mov_b32_e32 v18, v69
	v_pk_fma_f32 v[10:11], v[52:53], v[68:69], v[10:11] op_sel_hi:[1,0,1]
	v_pk_fma_f32 v[12:13], v[60:61], v[68:69], v[12:13] op_sel_hi:[1,0,1]
	v_pk_fma_f32 v[8:9], v[20:21], v[68:69], v[8:9] op_sel_hi:[1,0,1]
	v_pk_fma_f32 v[0:1], v[32:33], v[68:69], v[0:1] op_sel_hi:[1,0,1]
	s_delay_alu instid0(VALU_DEP_4) | instskip(NEXT) | instid1(VALU_DEP_4)
	v_pk_fma_f32 v[10:11], v[28:29], v[18:19], v[10:11] op_sel_hi:[1,0,1]
	v_pk_fma_f32 v[12:13], v[76:77], v[18:19], v[12:13] op_sel_hi:[1,0,1]
	s_delay_alu instid0(VALU_DEP_4) | instskip(NEXT) | instid1(VALU_DEP_4)
	v_pk_fma_f32 v[8:9], v[70:71], v[18:19], v[8:9] op_sel_hi:[1,0,1]
	v_pk_fma_f32 v[0:1], v[22:23], v[18:19], v[0:1] op_sel_hi:[1,0,1]
	s_and_not1_b32 exec_lo, exec_lo, s2
	s_cbranch_execnz .LBB107_11
; %bb.12:
	s_or_b32 exec_lo, exec_lo, s2
.LBB107_13:
	s_delay_alu instid0(SALU_CYCLE_1)
	s_or_b32 exec_lo, exec_lo, s3
.LBB107_14:
	v_mbcnt_lo_u32_b32 v14, -1, 0
	s_delay_alu instid0(VALU_DEP_1) | instskip(SKIP_1) | instid1(VALU_DEP_1)
	v_xor_b32_e32 v23, 8, v14
	v_xor_b32_e32 v15, 16, v14
	v_cmp_gt_i32_e32 vcc_lo, 32, v15
	v_cndmask_b32_e32 v15, v14, v15, vcc_lo
	s_delay_alu instid0(VALU_DEP_1)
	v_lshlrev_b32_e32 v15, 2, v15
	ds_bpermute_b32 v16, v15, v10
	s_wait_dscnt 0x0
	v_add_f32_e32 v10, v10, v16
	ds_bpermute_b32 v19, v15, v13
	ds_bpermute_b32 v17, v15, v11
	;; [unrolled: 1-line block ×7, first 2 shown]
	s_wait_dscnt 0x6
	v_add_f32_e32 v13, v13, v19
	v_cmp_gt_i32_e32 vcc_lo, 32, v23
	s_wait_dscnt 0x3
	v_dual_add_f32 v11, v11, v17 :: v_dual_add_f32 v8, v8, v20
	s_wait_dscnt 0x1
	v_dual_add_f32 v9, v9, v21 :: v_dual_add_f32 v0, v0, v22
	s_wait_dscnt 0x0
	v_add_f32_e32 v1, v1, v15
	v_dual_cndmask_b32 v23, v14, v23 :: v_dual_add_f32 v12, v12, v18
	s_delay_alu instid0(VALU_DEP_1)
	v_lshlrev_b32_e32 v23, 2, v23
	ds_bpermute_b32 v15, v23, v10
	ds_bpermute_b32 v16, v23, v11
	;; [unrolled: 1-line block ×8, first 2 shown]
	s_wait_dscnt 0x7
	v_dual_add_f32 v10, v10, v15 :: v_dual_bitop2_b32 v23, 4, v14 bitop3:0x14
	s_delay_alu instid0(VALU_DEP_1)
	v_cmp_gt_i32_e32 vcc_lo, 32, v23
	s_wait_dscnt 0x4
	v_dual_add_f32 v11, v11, v16 :: v_dual_add_f32 v13, v13, v18
	s_wait_dscnt 0x2
	v_dual_add_f32 v8, v8, v19 :: v_dual_add_f32 v9, v9, v20
	s_wait_dscnt 0x1
	v_dual_add_f32 v0, v0, v21 :: v_dual_cndmask_b32 v23, v14, v23
	s_wait_dscnt 0x0
	v_dual_add_f32 v12, v12, v17 :: v_dual_add_f32 v1, v1, v22
	s_delay_alu instid0(VALU_DEP_2)
	v_lshlrev_b32_e32 v23, 2, v23
	ds_bpermute_b32 v15, v23, v10
	ds_bpermute_b32 v16, v23, v11
	;; [unrolled: 1-line block ×8, first 2 shown]
	s_wait_dscnt 0x7
	v_dual_add_f32 v10, v10, v15 :: v_dual_bitop2_b32 v23, 2, v14 bitop3:0x14
	s_delay_alu instid0(VALU_DEP_1)
	v_cmp_gt_i32_e32 vcc_lo, 32, v23
	s_wait_dscnt 0x4
	v_dual_add_f32 v12, v12, v17 :: v_dual_add_f32 v13, v13, v18
	s_wait_dscnt 0x3
	v_dual_add_f32 v11, v11, v16 :: v_dual_add_f32 v15, v8, v19
	s_wait_dscnt 0x2
	v_dual_add_f32 v9, v9, v20 :: v_dual_cndmask_b32 v23, v14, v23, vcc_lo
	s_wait_dscnt 0x0
	v_dual_add_f32 v16, v0, v21 :: v_dual_add_f32 v17, v1, v22
	s_delay_alu instid0(VALU_DEP_2)
	v_lshlrev_b32_e32 v23, 2, v23
	ds_bpermute_b32 v0, v23, v10
	ds_bpermute_b32 v1, v23, v11
	;; [unrolled: 1-line block ×8, first 2 shown]
	s_wait_dscnt 0x7
	v_dual_add_f32 v0, v10, v0 :: v_dual_bitop2_b32 v8, 1, v14 bitop3:0x14
	s_delay_alu instid0(VALU_DEP_1) | instskip(SKIP_4) | instid1(VALU_DEP_2)
	v_cmp_gt_i32_e32 vcc_lo, 32, v8
	s_wait_dscnt 0x3
	v_dual_add_f32 v10, v12, v18 :: v_dual_add_f32 v12, v15, v20
	v_cndmask_b32_e32 v8, v14, v8, vcc_lo
	v_cmp_eq_u32_e32 vcc_lo, 31, v7
	v_dual_lshlrev_b32 v24, 2, v8 :: v_dual_add_f32 v8, v11, v1
	v_add_f32_e32 v11, v13, v19
	s_wait_dscnt 0x1
	v_dual_add_f32 v13, v9, v21 :: v_dual_add_f32 v1, v16, v22
	s_wait_dscnt 0x0
	v_add_f32_e32 v9, v17, v23
	ds_bpermute_b32 v16, v24, v0
	ds_bpermute_b32 v17, v24, v8
	;; [unrolled: 1-line block ×8, first 2 shown]
	s_and_b32 exec_lo, exec_lo, vcc_lo
	s_cbranch_execz .LBB107_19
; %bb.15:
	s_load_b64 s[2:3], s[0:1], 0x38
	v_cmp_eq_f32_e32 vcc_lo, 0, v4
	s_wait_xcnt 0x0
	v_cmp_eq_f32_e64 s0, 0, v5
	s_wait_dscnt 0x7
	v_add_f32_e32 v0, v0, v16
	s_wait_dscnt 0x5
	v_dual_add_f32 v20, v8, v17 :: v_dual_add_f32 v8, v10, v18
	s_wait_dscnt 0x3
	v_dual_add_f32 v18, v11, v19 :: v_dual_add_f32 v10, v12, v21
	s_wait_dscnt 0x2
	v_add_f32_e32 v16, v13, v22
	s_wait_dscnt 0x1
	v_add_f32_e32 v12, v1, v14
	;; [unrolled: 2-line block ×3, first 2 shown]
	s_and_b32 s0, vcc_lo, s0
	s_delay_alu instid0(SALU_CYCLE_1) | instskip(NEXT) | instid1(SALU_CYCLE_1)
	s_and_saveexec_b32 s1, s0
	s_xor_b32 s0, exec_lo, s1
	s_cbranch_execz .LBB107_17
; %bb.16:
	v_xor_b32_e32 v4, 0x80000000, v3
	v_dual_mov_b32 v5, v2 :: v_dual_lshlrev_b32 v6, 2, v6
	s_delay_alu instid0(VALU_DEP_1) | instskip(NEXT) | instid1(VALU_DEP_2)
	v_ashrrev_i32_e32 v7, 31, v6
	v_pk_mul_f32 v[20:21], v[20:21], v[4:5] op_sel_hi:[0,1]
	v_pk_mul_f32 v[18:19], v[18:19], v[4:5] op_sel_hi:[0,1]
	;; [unrolled: 1-line block ×4, first 2 shown]
	s_wait_kmcnt 0x0
	v_lshl_add_u64 v[22:23], v[6:7], 3, s[2:3]
	v_pk_fma_f32 v[4:5], v[2:3], v[0:1], v[20:21] op_sel_hi:[1,0,1]
	v_pk_fma_f32 v[6:7], v[2:3], v[8:9], v[18:19] op_sel_hi:[1,0,1]
	;; [unrolled: 1-line block ×4, first 2 shown]
	s_clause 0x1
	global_store_b128 v[22:23], v[4:7], off
	global_store_b128 v[22:23], v[0:3], off offset:16
                                        ; implicit-def: $vgpr6
                                        ; implicit-def: $vgpr0
                                        ; implicit-def: $vgpr20
                                        ; implicit-def: $vgpr8
                                        ; implicit-def: $vgpr18
                                        ; implicit-def: $vgpr10
                                        ; implicit-def: $vgpr16
                                        ; implicit-def: $vgpr12
                                        ; implicit-def: $vgpr14
                                        ; implicit-def: $vgpr2_vgpr3
                                        ; implicit-def: $vgpr4_vgpr5
.LBB107_17:
	s_wait_xcnt 0x0
	s_and_not1_saveexec_b32 s0, s0
	s_cbranch_execz .LBB107_19
; %bb.18:
	v_lshlrev_b32_e32 v6, 2, v6
	v_xor_b32_e32 v32, 0x80000000, v5
	s_delay_alu instid0(VALU_DEP_2) | instskip(SKIP_1) | instid1(VALU_DEP_1)
	v_dual_mov_b32 v33, v4 :: v_dual_ashrrev_i32 v7, 31, v6
	s_wait_kmcnt 0x0
	v_lshl_add_u64 v[30:31], v[6:7], 3, s[2:3]
	v_xor_b32_e32 v6, 0x80000000, v3
	v_mov_b32_e32 v7, v2
	s_clause 0x1
	global_load_b128 v[22:25], v[30:31], off
	global_load_b128 v[26:29], v[30:31], off offset:16
	v_pk_mul_f32 v[20:21], v[20:21], v[6:7] op_sel_hi:[0,1]
	v_pk_mul_f32 v[18:19], v[18:19], v[6:7] op_sel_hi:[0,1]
	;; [unrolled: 1-line block ×4, first 2 shown]
	s_delay_alu instid0(VALU_DEP_4) | instskip(NEXT) | instid1(VALU_DEP_4)
	v_pk_fma_f32 v[0:1], v[2:3], v[0:1], v[20:21] op_sel_hi:[1,0,1]
	v_pk_fma_f32 v[8:9], v[2:3], v[8:9], v[18:19] op_sel_hi:[1,0,1]
	s_delay_alu instid0(VALU_DEP_4) | instskip(NEXT) | instid1(VALU_DEP_4)
	v_pk_fma_f32 v[10:11], v[2:3], v[10:11], v[16:17] op_sel_hi:[1,0,1]
	v_pk_fma_f32 v[2:3], v[2:3], v[12:13], v[6:7] op_sel_hi:[1,0,1]
	s_wait_loadcnt 0x1
	v_pk_fma_f32 v[0:1], v[4:5], v[22:23], v[0:1] op_sel_hi:[1,0,1]
	v_pk_fma_f32 v[6:7], v[4:5], v[24:25], v[8:9] op_sel_hi:[1,0,1]
	s_wait_loadcnt 0x0
	v_dual_mov_b32 v8, v25 :: v_dual_mov_b32 v14, v29
	v_pk_fma_f32 v[10:11], v[4:5], v[26:27], v[10:11] op_sel_hi:[1,0,1]
	v_pk_fma_f32 v[12:13], v[4:5], v[28:29], v[2:3] op_sel_hi:[1,0,1]
	v_pk_fma_f32 v[0:1], v[32:33], v[22:23], v[0:1] op_sel:[0,1,0]
	s_delay_alu instid0(VALU_DEP_4) | instskip(NEXT) | instid1(VALU_DEP_4)
	v_pk_fma_f32 v[2:3], v[32:33], v[8:9], v[6:7] op_sel_hi:[1,0,1]
	v_pk_fma_f32 v[4:5], v[32:33], v[26:27], v[10:11] op_sel:[0,1,0]
	s_delay_alu instid0(VALU_DEP_4)
	v_pk_fma_f32 v[6:7], v[32:33], v[14:15], v[12:13] op_sel_hi:[1,0,1]
	s_clause 0x1
	global_store_b128 v[30:31], v[0:3], off
	global_store_b128 v[30:31], v[4:7], off offset:16
.LBB107_19:
	s_sendmsg sendmsg(MSG_DEALLOC_VGPRS)
	s_endpgm
	.section	.rodata,"a",@progbits
	.p2align	6, 0x0
	.amdhsa_kernel _ZN9rocsparseL19gebsrmvn_4xn_kernelILj128ELj8ELj32E21rocsparse_complex_numIfEEEvi20rocsparse_direction_NS_24const_host_device_scalarIT2_EEPKiS8_PKS5_SA_S6_PS5_21rocsparse_index_base_b
		.amdhsa_group_segment_fixed_size 0
		.amdhsa_private_segment_fixed_size 0
		.amdhsa_kernarg_size 72
		.amdhsa_user_sgpr_count 2
		.amdhsa_user_sgpr_dispatch_ptr 0
		.amdhsa_user_sgpr_queue_ptr 0
		.amdhsa_user_sgpr_kernarg_segment_ptr 1
		.amdhsa_user_sgpr_dispatch_id 0
		.amdhsa_user_sgpr_kernarg_preload_length 0
		.amdhsa_user_sgpr_kernarg_preload_offset 0
		.amdhsa_user_sgpr_private_segment_size 0
		.amdhsa_wavefront_size32 1
		.amdhsa_uses_dynamic_stack 0
		.amdhsa_enable_private_segment 0
		.amdhsa_system_sgpr_workgroup_id_x 1
		.amdhsa_system_sgpr_workgroup_id_y 0
		.amdhsa_system_sgpr_workgroup_id_z 0
		.amdhsa_system_sgpr_workgroup_info 0
		.amdhsa_system_vgpr_workitem_id 0
		.amdhsa_next_free_vgpr 100
		.amdhsa_next_free_sgpr 14
		.amdhsa_named_barrier_count 0
		.amdhsa_reserve_vcc 1
		.amdhsa_float_round_mode_32 0
		.amdhsa_float_round_mode_16_64 0
		.amdhsa_float_denorm_mode_32 3
		.amdhsa_float_denorm_mode_16_64 3
		.amdhsa_fp16_overflow 0
		.amdhsa_memory_ordered 1
		.amdhsa_forward_progress 1
		.amdhsa_inst_pref_size 32
		.amdhsa_round_robin_scheduling 0
		.amdhsa_exception_fp_ieee_invalid_op 0
		.amdhsa_exception_fp_denorm_src 0
		.amdhsa_exception_fp_ieee_div_zero 0
		.amdhsa_exception_fp_ieee_overflow 0
		.amdhsa_exception_fp_ieee_underflow 0
		.amdhsa_exception_fp_ieee_inexact 0
		.amdhsa_exception_int_div_zero 0
	.end_amdhsa_kernel
	.section	.text._ZN9rocsparseL19gebsrmvn_4xn_kernelILj128ELj8ELj32E21rocsparse_complex_numIfEEEvi20rocsparse_direction_NS_24const_host_device_scalarIT2_EEPKiS8_PKS5_SA_S6_PS5_21rocsparse_index_base_b,"axG",@progbits,_ZN9rocsparseL19gebsrmvn_4xn_kernelILj128ELj8ELj32E21rocsparse_complex_numIfEEEvi20rocsparse_direction_NS_24const_host_device_scalarIT2_EEPKiS8_PKS5_SA_S6_PS5_21rocsparse_index_base_b,comdat
.Lfunc_end107:
	.size	_ZN9rocsparseL19gebsrmvn_4xn_kernelILj128ELj8ELj32E21rocsparse_complex_numIfEEEvi20rocsparse_direction_NS_24const_host_device_scalarIT2_EEPKiS8_PKS5_SA_S6_PS5_21rocsparse_index_base_b, .Lfunc_end107-_ZN9rocsparseL19gebsrmvn_4xn_kernelILj128ELj8ELj32E21rocsparse_complex_numIfEEEvi20rocsparse_direction_NS_24const_host_device_scalarIT2_EEPKiS8_PKS5_SA_S6_PS5_21rocsparse_index_base_b
                                        ; -- End function
	.set _ZN9rocsparseL19gebsrmvn_4xn_kernelILj128ELj8ELj32E21rocsparse_complex_numIfEEEvi20rocsparse_direction_NS_24const_host_device_scalarIT2_EEPKiS8_PKS5_SA_S6_PS5_21rocsparse_index_base_b.num_vgpr, 100
	.set _ZN9rocsparseL19gebsrmvn_4xn_kernelILj128ELj8ELj32E21rocsparse_complex_numIfEEEvi20rocsparse_direction_NS_24const_host_device_scalarIT2_EEPKiS8_PKS5_SA_S6_PS5_21rocsparse_index_base_b.num_agpr, 0
	.set _ZN9rocsparseL19gebsrmvn_4xn_kernelILj128ELj8ELj32E21rocsparse_complex_numIfEEEvi20rocsparse_direction_NS_24const_host_device_scalarIT2_EEPKiS8_PKS5_SA_S6_PS5_21rocsparse_index_base_b.numbered_sgpr, 14
	.set _ZN9rocsparseL19gebsrmvn_4xn_kernelILj128ELj8ELj32E21rocsparse_complex_numIfEEEvi20rocsparse_direction_NS_24const_host_device_scalarIT2_EEPKiS8_PKS5_SA_S6_PS5_21rocsparse_index_base_b.num_named_barrier, 0
	.set _ZN9rocsparseL19gebsrmvn_4xn_kernelILj128ELj8ELj32E21rocsparse_complex_numIfEEEvi20rocsparse_direction_NS_24const_host_device_scalarIT2_EEPKiS8_PKS5_SA_S6_PS5_21rocsparse_index_base_b.private_seg_size, 0
	.set _ZN9rocsparseL19gebsrmvn_4xn_kernelILj128ELj8ELj32E21rocsparse_complex_numIfEEEvi20rocsparse_direction_NS_24const_host_device_scalarIT2_EEPKiS8_PKS5_SA_S6_PS5_21rocsparse_index_base_b.uses_vcc, 1
	.set _ZN9rocsparseL19gebsrmvn_4xn_kernelILj128ELj8ELj32E21rocsparse_complex_numIfEEEvi20rocsparse_direction_NS_24const_host_device_scalarIT2_EEPKiS8_PKS5_SA_S6_PS5_21rocsparse_index_base_b.uses_flat_scratch, 1
	.set _ZN9rocsparseL19gebsrmvn_4xn_kernelILj128ELj8ELj32E21rocsparse_complex_numIfEEEvi20rocsparse_direction_NS_24const_host_device_scalarIT2_EEPKiS8_PKS5_SA_S6_PS5_21rocsparse_index_base_b.has_dyn_sized_stack, 0
	.set _ZN9rocsparseL19gebsrmvn_4xn_kernelILj128ELj8ELj32E21rocsparse_complex_numIfEEEvi20rocsparse_direction_NS_24const_host_device_scalarIT2_EEPKiS8_PKS5_SA_S6_PS5_21rocsparse_index_base_b.has_recursion, 0
	.set _ZN9rocsparseL19gebsrmvn_4xn_kernelILj128ELj8ELj32E21rocsparse_complex_numIfEEEvi20rocsparse_direction_NS_24const_host_device_scalarIT2_EEPKiS8_PKS5_SA_S6_PS5_21rocsparse_index_base_b.has_indirect_call, 0
	.section	.AMDGPU.csdata,"",@progbits
; Kernel info:
; codeLenInByte = 4052
; TotalNumSgprs: 16
; NumVgprs: 100
; ScratchSize: 0
; MemoryBound: 0
; FloatMode: 240
; IeeeMode: 1
; LDSByteSize: 0 bytes/workgroup (compile time only)
; SGPRBlocks: 0
; VGPRBlocks: 6
; NumSGPRsForWavesPerEU: 16
; NumVGPRsForWavesPerEU: 100
; NamedBarCnt: 0
; Occupancy: 9
; WaveLimiterHint : 1
; COMPUTE_PGM_RSRC2:SCRATCH_EN: 0
; COMPUTE_PGM_RSRC2:USER_SGPR: 2
; COMPUTE_PGM_RSRC2:TRAP_HANDLER: 0
; COMPUTE_PGM_RSRC2:TGID_X_EN: 1
; COMPUTE_PGM_RSRC2:TGID_Y_EN: 0
; COMPUTE_PGM_RSRC2:TGID_Z_EN: 0
; COMPUTE_PGM_RSRC2:TIDIG_COMP_CNT: 0
	.section	.text._ZN9rocsparseL19gebsrmvn_4xn_kernelILj128ELj8ELj64E21rocsparse_complex_numIfEEEvi20rocsparse_direction_NS_24const_host_device_scalarIT2_EEPKiS8_PKS5_SA_S6_PS5_21rocsparse_index_base_b,"axG",@progbits,_ZN9rocsparseL19gebsrmvn_4xn_kernelILj128ELj8ELj64E21rocsparse_complex_numIfEEEvi20rocsparse_direction_NS_24const_host_device_scalarIT2_EEPKiS8_PKS5_SA_S6_PS5_21rocsparse_index_base_b,comdat
	.globl	_ZN9rocsparseL19gebsrmvn_4xn_kernelILj128ELj8ELj64E21rocsparse_complex_numIfEEEvi20rocsparse_direction_NS_24const_host_device_scalarIT2_EEPKiS8_PKS5_SA_S6_PS5_21rocsparse_index_base_b ; -- Begin function _ZN9rocsparseL19gebsrmvn_4xn_kernelILj128ELj8ELj64E21rocsparse_complex_numIfEEEvi20rocsparse_direction_NS_24const_host_device_scalarIT2_EEPKiS8_PKS5_SA_S6_PS5_21rocsparse_index_base_b
	.p2align	8
	.type	_ZN9rocsparseL19gebsrmvn_4xn_kernelILj128ELj8ELj64E21rocsparse_complex_numIfEEEvi20rocsparse_direction_NS_24const_host_device_scalarIT2_EEPKiS8_PKS5_SA_S6_PS5_21rocsparse_index_base_b,@function
_ZN9rocsparseL19gebsrmvn_4xn_kernelILj128ELj8ELj64E21rocsparse_complex_numIfEEEvi20rocsparse_direction_NS_24const_host_device_scalarIT2_EEPKiS8_PKS5_SA_S6_PS5_21rocsparse_index_base_b: ; @_ZN9rocsparseL19gebsrmvn_4xn_kernelILj128ELj8ELj64E21rocsparse_complex_numIfEEEvi20rocsparse_direction_NS_24const_host_device_scalarIT2_EEPKiS8_PKS5_SA_S6_PS5_21rocsparse_index_base_b
; %bb.0:
	s_clause 0x2
	s_load_b64 s[12:13], s[0:1], 0x40
	s_load_b64 s[2:3], s[0:1], 0x8
	;; [unrolled: 1-line block ×3, first 2 shown]
	v_mov_b32_e32 v1, 0
	s_add_nc_u64 s[6:7], s[0:1], 8
	s_add_nc_u64 s[8:9], s[0:1], 48
	s_wait_kmcnt 0x0
	s_bitcmp1_b32 s13, 0
	s_cselect_b32 s3, s7, s3
	s_cselect_b32 s2, s6, s2
	;; [unrolled: 1-line block ×4, first 2 shown]
	s_clause 0x1
	flat_load_b64 v[2:3], v1, s[2:3]
	flat_load_b64 v[4:5], v1, s[4:5]
	s_wait_loadcnt_dscnt 0x101
	v_cmp_eq_f32_e32 vcc_lo, 0, v2
	v_cmp_eq_f32_e64 s2, 0, v3
	s_wait_loadcnt_dscnt 0x0
	v_cmp_eq_f32_e64 s3, 1.0, v4
	v_cmp_eq_f32_e64 s4, 0, v5
	s_and_b32 s2, vcc_lo, s2
	s_and_b32 s3, s3, s4
	s_delay_alu instid0(SALU_CYCLE_1) | instskip(NEXT) | instid1(SALU_CYCLE_1)
	s_and_b32 s2, s2, s3
	s_xor_b32 s2, s2, -1
	s_delay_alu instid0(SALU_CYCLE_1)
	s_and_saveexec_b32 s3, s2
	s_cbranch_execz .LBB108_19
; %bb.1:
	s_load_b64 s[2:3], s[0:1], 0x0
	s_bfe_u32 s4, ttmp6, 0x4000c
	s_and_b32 s5, ttmp6, 15
	s_add_co_i32 s4, s4, 1
	s_getreg_b32 s6, hwreg(HW_REG_IB_STS2, 6, 4)
	s_mul_i32 s4, ttmp9, s4
	v_lshrrev_b32_e32 v1, 6, v0
	s_add_co_i32 s5, s5, s4
	s_cmp_eq_u32 s6, 0
	s_cselect_b32 s4, ttmp9, s5
	s_delay_alu instid0(VALU_DEP_1) | instid1(SALU_CYCLE_1)
	v_lshl_or_b32 v6, s4, 1, v1
	s_wait_kmcnt 0x0
	s_delay_alu instid0(VALU_DEP_1)
	v_cmp_gt_i32_e32 vcc_lo, s2, v6
	s_and_b32 exec_lo, exec_lo, vcc_lo
	s_cbranch_execz .LBB108_19
; %bb.2:
	s_load_b256 s[4:11], s[0:1], 0x10
	v_ashrrev_i32_e32 v7, 31, v6
	s_cmp_lg_u32 s3, 0
	s_wait_kmcnt 0x0
	s_delay_alu instid0(VALU_DEP_1)
	v_lshl_add_u64 v[8:9], v[6:7], 2, s[4:5]
	v_and_b32_e32 v7, 63, v0
	global_load_b64 v[8:9], v[8:9], off
	s_wait_loadcnt 0x0
	v_subrev_nc_u32_e32 v0, s12, v8
	v_subrev_nc_u32_e32 v16, s12, v9
	s_delay_alu instid0(VALU_DEP_2) | instskip(NEXT) | instid1(VALU_DEP_1)
	v_add_nc_u32_e32 v17, v0, v7
	v_cmp_lt_i32_e64 s2, v17, v16
	s_cbranch_scc0 .LBB108_8
; %bb.3:
	v_mov_b32_e32 v11, 0
	s_delay_alu instid0(VALU_DEP_1)
	v_dual_mov_b32 v10, v11 :: v_dual_mov_b32 v1, v11
	v_dual_mov_b32 v0, v11 :: v_dual_mov_b32 v9, v11
	v_dual_mov_b32 v8, v11 :: v_dual_mov_b32 v13, v11
	v_mov_b32_e32 v12, v11
	s_and_saveexec_b32 s3, s2
	s_cbranch_execz .LBB108_7
; %bb.4:
	v_dual_mov_b32 v15, 0 :: v_dual_lshlrev_b32 v14, 5, v17
	v_mov_b32_e32 v18, v17
	s_mov_b32 s4, 0
	s_delay_alu instid0(VALU_DEP_2)
	v_dual_mov_b32 v0, v15 :: v_dual_mov_b32 v1, v15
	v_dual_mov_b32 v8, v15 :: v_dual_mov_b32 v9, v15
	;; [unrolled: 1-line block ×4, first 2 shown]
.LBB108_5:                              ; =>This Inner Loop Header: Depth=1
	global_load_b32 v19, v18, s[6:7] scale_offset
	v_lshl_add_u64 v[96:97], v[14:15], 3, s[8:9]
	s_clause 0x5
	global_load_b128 v[20:23], v[96:97], off offset:48
	global_load_b128 v[24:27], v[96:97], off offset:32
	global_load_b128 v[28:31], v[96:97], off
	global_load_b128 v[32:35], v[96:97], off offset:16
	global_load_b128 v[36:39], v[96:97], off offset:80
	;; [unrolled: 1-line block ×3, first 2 shown]
	v_add_nc_u32_e32 v14, 0x800, v14
	s_wait_xcnt 0x6
	v_add_nc_u32_e32 v18, 64, v18
	s_delay_alu instid0(VALU_DEP_1)
	v_cmp_ge_i32_e32 vcc_lo, v18, v16
	s_or_b32 s4, vcc_lo, s4
	s_wait_loadcnt 0x6
	v_subrev_nc_u32_e32 v19, s12, v19
	v_mov_b32_e32 v45, v15
	s_wait_loadcnt 0x3
	v_xor_b32_e32 v98, 0x80000000, v31
	s_delay_alu instid0(VALU_DEP_3) | instskip(NEXT) | instid1(VALU_DEP_1)
	v_dual_mov_b32 v99, v30 :: v_dual_lshlrev_b32 v44, 3, v19
	v_lshl_add_u64 v[92:93], v[44:45], 3, s[10:11]
	global_load_b128 v[44:47], v[92:93], off
	s_clause 0x5
	global_load_b128 v[48:51], v[96:97], off offset:96
	global_load_b128 v[52:55], v[96:97], off offset:128
	;; [unrolled: 1-line block ×7, first 2 shown]
	s_clause 0x1
	global_load_b128 v[76:79], v[96:97], off offset:144
	global_load_b128 v[80:83], v[96:97], off offset:176
	;; [unrolled: 1-line block ×5, first 2 shown]
	s_wait_loadcnt 0xc
	v_pk_fma_f32 v[10:11], v[28:29], v[44:45], v[10:11] op_sel_hi:[1,0,1]
	v_pk_fma_f32 v[12:13], v[30:31], v[44:45], v[12:13] op_sel_hi:[1,0,1]
	;; [unrolled: 1-line block ×4, first 2 shown]
	s_delay_alu instid0(VALU_DEP_4)
	v_pk_fma_f32 v[10:11], v[28:29], v[44:45], v[10:11] op_sel:[1,1,0] op_sel_hi:[0,1,1] neg_lo:[1,0,0]
	global_load_b128 v[28:31], v[96:97], off offset:240
	s_wait_xcnt 0x0
	v_xor_b32_e32 v96, 0x80000000, v35
	v_mov_b32_e32 v97, v34
	v_pk_fma_f32 v[8:9], v[32:33], v[44:45], v[8:9] op_sel:[1,1,0] op_sel_hi:[0,1,1] neg_lo:[1,0,0]
	v_pk_fma_f32 v[12:13], v[98:99], v[44:45], v[12:13] op_sel:[0,1,0]
	v_xor_b32_e32 v32, 0x80000000, v27
	v_dual_mov_b32 v33, v26 :: v_dual_mov_b32 v35, v22
	v_pk_fma_f32 v[0:1], v[96:97], v[44:45], v[0:1] op_sel:[0,1,0]
	v_xor_b32_e32 v34, 0x80000000, v23
	v_pk_fma_f32 v[10:11], v[24:25], v[46:47], v[10:11] op_sel_hi:[1,0,1]
	v_pk_fma_f32 v[12:13], v[26:27], v[46:47], v[12:13] op_sel_hi:[1,0,1]
	;; [unrolled: 1-line block ×4, first 2 shown]
	s_wait_loadcnt 0xc
	v_dual_mov_b32 v22, v47 :: v_dual_mov_b32 v27, v50
	v_xor_b32_e32 v98, 0x80000000, v43
	v_dual_mov_b32 v99, v42 :: v_dual_mov_b32 v45, v38
	s_delay_alu instid0(VALU_DEP_3)
	v_pk_fma_f32 v[10:11], v[24:25], v[22:23], v[10:11] op_sel:[1,0,0] op_sel_hi:[0,0,1] neg_lo:[1,0,0]
	v_pk_fma_f32 v[8:9], v[20:21], v[22:23], v[8:9] op_sel:[1,0,0] op_sel_hi:[0,0,1] neg_lo:[1,0,0]
	v_pk_fma_f32 v[12:13], v[32:33], v[22:23], v[12:13] op_sel_hi:[1,0,1]
	v_pk_fma_f32 v[0:1], v[34:35], v[22:23], v[0:1] op_sel_hi:[1,0,1]
	v_xor_b32_e32 v44, 0x80000000, v39
	s_wait_loadcnt 0x6
	v_pk_fma_f32 v[10:11], v[40:41], v[72:73], v[10:11] op_sel_hi:[1,0,1]
	v_pk_fma_f32 v[8:9], v[36:37], v[72:73], v[8:9] op_sel_hi:[1,0,1]
	;; [unrolled: 1-line block ×4, first 2 shown]
	v_xor_b32_e32 v26, 0x80000000, v51
	v_pk_fma_f32 v[10:11], v[40:41], v[72:73], v[10:11] op_sel:[1,1,0] op_sel_hi:[0,1,1] neg_lo:[1,0,0]
	v_pk_fma_f32 v[8:9], v[36:37], v[72:73], v[8:9] op_sel:[1,1,0] op_sel_hi:[0,1,1] neg_lo:[1,0,0]
	v_pk_fma_f32 v[12:13], v[98:99], v[72:73], v[12:13] op_sel:[0,1,0]
	v_pk_fma_f32 v[0:1], v[44:45], v[72:73], v[0:1] op_sel:[0,1,0]
	v_dual_mov_b32 v21, v62 :: v_dual_mov_b32 v97, v66
	v_xor_b32_e32 v96, 0x80000000, v67
	s_wait_loadcnt 0x4
	v_dual_mov_b32 v34, v75 :: v_dual_mov_b32 v37, v82
	v_pk_fma_f32 v[10:11], v[48:49], v[74:75], v[10:11] op_sel_hi:[1,0,1]
	v_pk_fma_f32 v[12:13], v[50:51], v[74:75], v[12:13] op_sel_hi:[1,0,1]
	;; [unrolled: 1-line block ×4, first 2 shown]
	v_xor_b32_e32 v24, 0x80000000, v55
	v_pk_fma_f32 v[10:11], v[48:49], v[34:35], v[10:11] op_sel:[1,0,0] op_sel_hi:[0,0,1] neg_lo:[1,0,0]
	v_pk_fma_f32 v[12:13], v[26:27], v[34:35], v[12:13] op_sel_hi:[1,0,1]
	v_pk_fma_f32 v[8:9], v[64:65], v[34:35], v[8:9] op_sel:[1,0,0] op_sel_hi:[0,0,1] neg_lo:[1,0,0]
	v_pk_fma_f32 v[0:1], v[96:97], v[34:35], v[0:1] op_sel_hi:[1,0,1]
	v_dual_mov_b32 v25, v54 :: v_dual_mov_b32 v47, v58
	v_dual_mov_b32 v33, v70 :: v_dual_mov_b32 v23, v78
	v_xor_b32_e32 v22, 0x80000000, v79
	s_wait_loadcnt 0x3
	v_pk_fma_f32 v[10:11], v[52:53], v[84:85], v[10:11] op_sel_hi:[1,0,1]
	v_pk_fma_f32 v[12:13], v[54:55], v[84:85], v[12:13] op_sel_hi:[1,0,1]
	;; [unrolled: 1-line block ×4, first 2 shown]
	v_xor_b32_e32 v46, 0x80000000, v59
	v_pk_fma_f32 v[10:11], v[52:53], v[84:85], v[10:11] op_sel:[1,1,0] op_sel_hi:[0,1,1] neg_lo:[1,0,0]
	v_pk_fma_f32 v[12:13], v[24:25], v[84:85], v[12:13] op_sel:[0,1,0]
	v_pk_fma_f32 v[8:9], v[76:77], v[84:85], v[8:9] op_sel:[1,1,0] op_sel_hi:[0,1,1] neg_lo:[1,0,0]
	v_pk_fma_f32 v[0:1], v[22:23], v[84:85], v[0:1] op_sel:[0,1,0]
	v_xor_b32_e32 v36, 0x80000000, v83
	s_wait_loadcnt 0x2
	v_dual_mov_b32 v22, v87 :: v_dual_mov_b32 v27, v90
	v_pk_fma_f32 v[10:11], v[56:57], v[86:87], v[10:11] op_sel_hi:[1,0,1]
	v_pk_fma_f32 v[12:13], v[58:59], v[86:87], v[12:13] op_sel_hi:[1,0,1]
	;; [unrolled: 1-line block ×4, first 2 shown]
	v_xor_b32_e32 v20, 0x80000000, v63
	v_pk_fma_f32 v[10:11], v[56:57], v[22:23], v[10:11] op_sel:[1,0,0] op_sel_hi:[0,0,1] neg_lo:[1,0,0]
	v_pk_fma_f32 v[12:13], v[46:47], v[22:23], v[12:13] op_sel_hi:[1,0,1]
	v_pk_fma_f32 v[8:9], v[80:81], v[22:23], v[8:9] op_sel:[1,0,0] op_sel_hi:[0,0,1] neg_lo:[1,0,0]
	v_pk_fma_f32 v[0:1], v[36:37], v[22:23], v[0:1] op_sel_hi:[1,0,1]
	v_xor_b32_e32 v26, 0x80000000, v91
	s_wait_loadcnt 0x1
	v_pk_fma_f32 v[10:11], v[60:61], v[92:93], v[10:11] op_sel_hi:[1,0,1]
	v_pk_fma_f32 v[12:13], v[62:63], v[92:93], v[12:13] op_sel_hi:[1,0,1]
	;; [unrolled: 1-line block ×4, first 2 shown]
	v_xor_b32_e32 v32, 0x80000000, v71
	v_pk_fma_f32 v[10:11], v[60:61], v[92:93], v[10:11] op_sel:[1,1,0] op_sel_hi:[0,1,1] neg_lo:[1,0,0]
	v_pk_fma_f32 v[12:13], v[20:21], v[92:93], v[12:13] op_sel:[0,1,0]
	v_pk_fma_f32 v[8:9], v[88:89], v[92:93], v[8:9] op_sel:[1,1,0] op_sel_hi:[0,1,1] neg_lo:[1,0,0]
	v_pk_fma_f32 v[0:1], v[26:27], v[92:93], v[0:1] op_sel:[0,1,0]
	v_mov_b32_e32 v20, v95
	v_pk_fma_f32 v[10:11], v[68:69], v[94:95], v[10:11] op_sel_hi:[1,0,1]
	v_pk_fma_f32 v[12:13], v[70:71], v[94:95], v[12:13] op_sel_hi:[1,0,1]
	s_delay_alu instid0(VALU_DEP_2) | instskip(NEXT) | instid1(VALU_DEP_2)
	v_pk_fma_f32 v[10:11], v[68:69], v[20:21], v[10:11] op_sel:[1,0,0] op_sel_hi:[0,0,1] neg_lo:[1,0,0]
	v_pk_fma_f32 v[12:13], v[32:33], v[20:21], v[12:13] op_sel_hi:[1,0,1]
	s_wait_loadcnt 0x0
	v_xor_b32_e32 v22, 0x80000000, v31
	v_mov_b32_e32 v23, v30
	v_pk_fma_f32 v[8:9], v[28:29], v[94:95], v[8:9] op_sel_hi:[1,0,1]
	v_pk_fma_f32 v[0:1], v[30:31], v[94:95], v[0:1] op_sel_hi:[1,0,1]
	s_delay_alu instid0(VALU_DEP_2) | instskip(NEXT) | instid1(VALU_DEP_2)
	v_pk_fma_f32 v[8:9], v[28:29], v[20:21], v[8:9] op_sel:[1,0,0] op_sel_hi:[0,0,1] neg_lo:[1,0,0]
	v_pk_fma_f32 v[0:1], v[22:23], v[20:21], v[0:1] op_sel_hi:[1,0,1]
	s_and_not1_b32 exec_lo, exec_lo, s4
	s_cbranch_execnz .LBB108_5
; %bb.6:
	s_or_b32 exec_lo, exec_lo, s4
.LBB108_7:
	s_delay_alu instid0(SALU_CYCLE_1)
	s_or_b32 exec_lo, exec_lo, s3
	s_cbranch_execz .LBB108_9
	s_branch .LBB108_14
.LBB108_8:
                                        ; implicit-def: $vgpr11
                                        ; implicit-def: $vgpr1
                                        ; implicit-def: $vgpr9
                                        ; implicit-def: $vgpr13
.LBB108_9:
	v_mov_b32_e32 v11, 0
	s_delay_alu instid0(VALU_DEP_1)
	v_dual_mov_b32 v10, v11 :: v_dual_mov_b32 v1, v11
	v_dual_mov_b32 v0, v11 :: v_dual_mov_b32 v9, v11
	;; [unrolled: 1-line block ×3, first 2 shown]
	v_mov_b32_e32 v12, v11
	s_and_saveexec_b32 s3, s2
	s_cbranch_execz .LBB108_13
; %bb.10:
	v_dual_mov_b32 v15, 0 :: v_dual_lshlrev_b32 v14, 5, v17
	s_mov_b32 s2, 0
	s_delay_alu instid0(VALU_DEP_1)
	v_dual_mov_b32 v0, v15 :: v_dual_mov_b32 v1, v15
	v_dual_mov_b32 v8, v15 :: v_dual_mov_b32 v9, v15
	;; [unrolled: 1-line block ×4, first 2 shown]
.LBB108_11:                             ; =>This Inner Loop Header: Depth=1
	global_load_b32 v66, v17, s[6:7] scale_offset
	v_lshl_add_u64 v[74:75], v[14:15], 3, s[8:9]
	s_clause 0xb
	global_load_b128 v[18:21], v[74:75], off
	global_load_b128 v[22:25], v[74:75], off offset:16
	global_load_b128 v[26:29], v[74:75], off offset:80
	;; [unrolled: 1-line block ×11, first 2 shown]
	v_add_nc_u32_e32 v14, 0x800, v14
	s_wait_xcnt 0xc
	v_add_nc_u32_e32 v17, 64, v17
	s_delay_alu instid0(VALU_DEP_1)
	v_cmp_ge_i32_e32 vcc_lo, v17, v16
	s_or_b32 s2, vcc_lo, s2
	s_wait_loadcnt 0xb
	v_mov_b32_e32 v77, v20
	v_xor_b32_e32 v76, 0x80000000, v21
	s_wait_loadcnt 0x8
	v_xor_b32_e32 v82, 0x80000000, v33
	v_mov_b32_e32 v83, v32
	v_subrev_nc_u32_e32 v66, s12, v66
	v_mov_b32_e32 v67, v15
	s_wait_loadcnt 0x6
	v_xor_b32_e32 v84, 0x80000000, v41
	s_wait_loadcnt 0x4
	v_dual_mov_b32 v85, v40 :: v_dual_mov_b32 v89, v48
	v_lshlrev_b32_e32 v66, 3, v66
	v_xor_b32_e32 v88, 0x80000000, v49
	s_delay_alu instid0(VALU_DEP_2)
	v_lshl_add_u64 v[78:79], v[66:67], 3, s[10:11]
	s_clause 0x1
	global_load_b128 v[66:69], v[78:79], off
	global_load_b128 v[70:73], v[78:79], off offset:16
	s_wait_loadcnt 0x1
	v_pk_fma_f32 v[10:11], v[18:19], v[66:67], v[10:11] op_sel_hi:[1,0,1]
	v_pk_fma_f32 v[8:9], v[38:39], v[66:67], v[8:9] op_sel_hi:[1,0,1]
	;; [unrolled: 1-line block ×3, first 2 shown]
	v_mov_b32_e32 v90, v69
	s_delay_alu instid0(VALU_DEP_4) | instskip(NEXT) | instid1(VALU_DEP_4)
	v_pk_fma_f32 v[10:11], v[18:19], v[66:67], v[10:11] op_sel:[1,1,0] op_sel_hi:[0,1,1] neg_lo:[1,0,0]
	v_pk_fma_f32 v[8:9], v[38:39], v[66:67], v[8:9] op_sel:[1,1,0] op_sel_hi:[0,1,1] neg_lo:[1,0,0]
	s_delay_alu instid0(VALU_DEP_4) | instskip(NEXT) | instid1(VALU_DEP_3)
	v_pk_fma_f32 v[0:1], v[46:47], v[66:67], v[0:1] op_sel:[1,1,0] op_sel_hi:[0,1,1] neg_lo:[1,0,0]
	v_pk_fma_f32 v[80:81], v[20:21], v[68:69], v[10:11] op_sel_hi:[1,0,1]
	v_pk_fma_f32 v[10:11], v[30:31], v[66:67], v[12:13] op_sel_hi:[1,0,1]
	s_delay_alu instid0(VALU_DEP_4)
	v_pk_fma_f32 v[86:87], v[40:41], v[68:69], v[8:9] op_sel_hi:[1,0,1]
	global_load_b128 v[18:21], v[74:75], off offset:176
	v_pk_fma_f32 v[0:1], v[48:49], v[68:69], v[0:1] op_sel_hi:[1,0,1]
	global_load_b128 v[46:49], v[78:79], off offset:32
	v_pk_fma_f32 v[10:11], v[30:31], v[66:67], v[10:11] op_sel:[1,1,0] op_sel_hi:[0,1,1] neg_lo:[1,0,0]
	global_load_b128 v[38:41], v[74:75], off offset:224
	v_pk_fma_f32 v[0:1], v[88:89], v[90:91], v[0:1] op_sel_hi:[1,0,1]
	v_pk_fma_f32 v[12:13], v[32:33], v[68:69], v[10:11] op_sel_hi:[1,0,1]
	s_clause 0x1
	global_load_b128 v[30:33], v[74:75], off offset:240
	global_load_b128 v[8:11], v[74:75], off offset:160
	;; [unrolled: 1-line block ×3, first 2 shown]
	s_wait_xcnt 0x1
	v_pk_fma_f32 v[74:75], v[76:77], v[90:91], v[80:81] op_sel_hi:[1,0,1]
	v_pk_fma_f32 v[12:13], v[82:83], v[90:91], v[12:13] op_sel_hi:[1,0,1]
	;; [unrolled: 1-line block ×3, first 2 shown]
	s_wait_loadcnt 0x6
	v_pk_fma_f32 v[0:1], v[42:43], v[70:71], v[0:1] op_sel_hi:[1,0,1]
	s_wait_xcnt 0x0
	v_xor_b32_e32 v78, 0x80000000, v25
	v_pk_fma_f32 v[74:75], v[22:23], v[70:71], v[74:75] op_sel_hi:[1,0,1]
	v_pk_fma_f32 v[12:13], v[26:27], v[70:71], v[12:13] op_sel_hi:[1,0,1]
	;; [unrolled: 1-line block ×3, first 2 shown]
	v_pk_fma_f32 v[0:1], v[42:43], v[70:71], v[0:1] op_sel:[1,1,0] op_sel_hi:[0,1,1] neg_lo:[1,0,0]
	v_mov_b32_e32 v79, v24
	v_pk_fma_f32 v[22:23], v[22:23], v[70:71], v[74:75] op_sel:[1,1,0] op_sel_hi:[0,1,1] neg_lo:[1,0,0]
	v_pk_fma_f32 v[12:13], v[26:27], v[70:71], v[12:13] op_sel:[1,1,0] op_sel_hi:[0,1,1] neg_lo:[1,0,0]
	;; [unrolled: 1-line block ×3, first 2 shown]
	v_xor_b32_e32 v80, 0x80000000, v29
	v_mov_b32_e32 v81, v28
	v_pk_fma_f32 v[22:23], v[24:25], v[72:73], v[22:23] op_sel_hi:[1,0,1]
	v_xor_b32_e32 v24, 0x80000000, v37
	v_mov_b32_e32 v25, v36
	v_xor_b32_e32 v74, 0x80000000, v45
	v_dual_mov_b32 v75, v44 :: v_dual_mov_b32 v27, v56
	v_pk_fma_f32 v[12:13], v[28:29], v[72:73], v[12:13] op_sel_hi:[1,0,1]
	v_pk_fma_f32 v[34:35], v[36:37], v[72:73], v[34:35] op_sel_hi:[1,0,1]
	v_pk_fma_f32 v[0:1], v[44:45], v[72:73], v[0:1] op_sel_hi:[1,0,1]
	v_mov_b32_e32 v44, v73
	v_xor_b32_e32 v26, 0x80000000, v57
	v_dual_mov_b32 v29, v52 :: v_dual_mov_b32 v37, v64
	v_xor_b32_e32 v36, 0x80000000, v65
	s_delay_alu instid0(VALU_DEP_4)
	v_pk_fma_f32 v[24:25], v[24:25], v[44:45], v[34:35] op_sel_hi:[1,0,1]
	v_mov_b32_e32 v77, v60
	v_xor_b32_e32 v28, 0x80000000, v53
	v_xor_b32_e32 v76, 0x80000000, v61
	s_wait_loadcnt 0x5
	v_xor_b32_e32 v70, 0x80000000, v21
	s_wait_loadcnt 0x3
	v_dual_mov_b32 v71, v20 :: v_dual_mov_b32 v35, v40
	v_pk_fma_f32 v[22:23], v[78:79], v[44:45], v[22:23] op_sel_hi:[1,0,1]
	v_pk_fma_f32 v[12:13], v[80:81], v[44:45], v[12:13] op_sel_hi:[1,0,1]
	;; [unrolled: 1-line block ×3, first 2 shown]
	v_xor_b32_e32 v34, 0x80000000, v41
	s_delay_alu instid0(VALU_DEP_4) | instskip(NEXT) | instid1(VALU_DEP_4)
	v_pk_fma_f32 v[22:23], v[54:55], v[46:47], v[22:23] op_sel_hi:[1,0,1]
	v_pk_fma_f32 v[12:13], v[62:63], v[46:47], v[12:13] op_sel_hi:[1,0,1]
	s_wait_loadcnt 0x1
	v_pk_fma_f32 v[24:25], v[8:9], v[46:47], v[24:25] op_sel_hi:[1,0,1]
	v_pk_fma_f32 v[0:1], v[38:39], v[46:47], v[0:1] op_sel_hi:[1,0,1]
	v_xor_b32_e32 v42, 0x80000000, v11
	v_mov_b32_e32 v43, v10
	v_pk_fma_f32 v[22:23], v[54:55], v[46:47], v[22:23] op_sel:[1,1,0] op_sel_hi:[0,1,1] neg_lo:[1,0,0]
	v_pk_fma_f32 v[12:13], v[62:63], v[46:47], v[12:13] op_sel:[1,1,0] op_sel_hi:[0,1,1] neg_lo:[1,0,0]
	;; [unrolled: 1-line block ×4, first 2 shown]
	v_mov_b32_e32 v24, v49
	v_pk_fma_f32 v[22:23], v[56:57], v[48:49], v[22:23] op_sel_hi:[1,0,1]
	v_pk_fma_f32 v[12:13], v[64:65], v[48:49], v[12:13] op_sel_hi:[1,0,1]
	;; [unrolled: 1-line block ×4, first 2 shown]
	s_delay_alu instid0(VALU_DEP_4) | instskip(NEXT) | instid1(VALU_DEP_4)
	v_pk_fma_f32 v[10:11], v[26:27], v[24:25], v[22:23] op_sel_hi:[1,0,1]
	v_pk_fma_f32 v[12:13], v[36:37], v[24:25], v[12:13] op_sel_hi:[1,0,1]
	s_delay_alu instid0(VALU_DEP_4) | instskip(NEXT) | instid1(VALU_DEP_4)
	v_pk_fma_f32 v[8:9], v[42:43], v[24:25], v[8:9] op_sel_hi:[1,0,1]
	v_pk_fma_f32 v[0:1], v[34:35], v[24:25], v[0:1] op_sel_hi:[1,0,1]
	v_xor_b32_e32 v22, 0x80000000, v33
	v_mov_b32_e32 v23, v32
	s_wait_loadcnt 0x0
	v_pk_fma_f32 v[10:11], v[50:51], v[66:67], v[10:11] op_sel_hi:[1,0,1]
	v_pk_fma_f32 v[12:13], v[58:59], v[66:67], v[12:13] op_sel_hi:[1,0,1]
	;; [unrolled: 1-line block ×4, first 2 shown]
	s_delay_alu instid0(VALU_DEP_4) | instskip(NEXT) | instid1(VALU_DEP_4)
	v_pk_fma_f32 v[10:11], v[50:51], v[66:67], v[10:11] op_sel:[1,1,0] op_sel_hi:[0,1,1] neg_lo:[1,0,0]
	v_pk_fma_f32 v[12:13], v[58:59], v[66:67], v[12:13] op_sel:[1,1,0] op_sel_hi:[0,1,1] neg_lo:[1,0,0]
	s_delay_alu instid0(VALU_DEP_4) | instskip(NEXT) | instid1(VALU_DEP_4)
	v_pk_fma_f32 v[8:9], v[18:19], v[66:67], v[8:9] op_sel:[1,1,0] op_sel_hi:[0,1,1] neg_lo:[1,0,0]
	v_pk_fma_f32 v[0:1], v[30:31], v[66:67], v[0:1] op_sel:[1,1,0] op_sel_hi:[0,1,1] neg_lo:[1,0,0]
	v_mov_b32_e32 v18, v69
	v_pk_fma_f32 v[10:11], v[52:53], v[68:69], v[10:11] op_sel_hi:[1,0,1]
	v_pk_fma_f32 v[12:13], v[60:61], v[68:69], v[12:13] op_sel_hi:[1,0,1]
	v_pk_fma_f32 v[8:9], v[20:21], v[68:69], v[8:9] op_sel_hi:[1,0,1]
	v_pk_fma_f32 v[0:1], v[32:33], v[68:69], v[0:1] op_sel_hi:[1,0,1]
	s_delay_alu instid0(VALU_DEP_4) | instskip(NEXT) | instid1(VALU_DEP_4)
	v_pk_fma_f32 v[10:11], v[28:29], v[18:19], v[10:11] op_sel_hi:[1,0,1]
	v_pk_fma_f32 v[12:13], v[76:77], v[18:19], v[12:13] op_sel_hi:[1,0,1]
	s_delay_alu instid0(VALU_DEP_4) | instskip(NEXT) | instid1(VALU_DEP_4)
	v_pk_fma_f32 v[8:9], v[70:71], v[18:19], v[8:9] op_sel_hi:[1,0,1]
	v_pk_fma_f32 v[0:1], v[22:23], v[18:19], v[0:1] op_sel_hi:[1,0,1]
	s_and_not1_b32 exec_lo, exec_lo, s2
	s_cbranch_execnz .LBB108_11
; %bb.12:
	s_or_b32 exec_lo, exec_lo, s2
.LBB108_13:
	s_delay_alu instid0(SALU_CYCLE_1)
	s_or_b32 exec_lo, exec_lo, s3
.LBB108_14:
	v_mbcnt_lo_u32_b32 v14, -1, 0
	s_delay_alu instid0(VALU_DEP_1) | instskip(SKIP_1) | instid1(VALU_DEP_1)
	v_xor_b32_e32 v23, 16, v14
	v_or_b32_e32 v15, 32, v14
	v_cmp_gt_i32_e32 vcc_lo, 32, v15
	v_cndmask_b32_e32 v15, v14, v15, vcc_lo
	s_delay_alu instid0(VALU_DEP_1)
	v_lshlrev_b32_e32 v15, 2, v15
	ds_bpermute_b32 v16, v15, v10
	s_wait_dscnt 0x0
	v_add_f32_e32 v10, v10, v16
	ds_bpermute_b32 v19, v15, v13
	ds_bpermute_b32 v17, v15, v11
	;; [unrolled: 1-line block ×7, first 2 shown]
	s_wait_dscnt 0x6
	v_add_f32_e32 v13, v13, v19
	v_cmp_gt_i32_e32 vcc_lo, 32, v23
	s_wait_dscnt 0x3
	v_dual_add_f32 v11, v11, v17 :: v_dual_add_f32 v8, v8, v20
	s_wait_dscnt 0x1
	v_dual_add_f32 v9, v9, v21 :: v_dual_add_f32 v0, v0, v22
	s_wait_dscnt 0x0
	v_add_f32_e32 v1, v1, v15
	v_dual_cndmask_b32 v23, v14, v23 :: v_dual_add_f32 v12, v12, v18
	s_delay_alu instid0(VALU_DEP_1)
	v_lshlrev_b32_e32 v23, 2, v23
	ds_bpermute_b32 v15, v23, v10
	ds_bpermute_b32 v16, v23, v11
	;; [unrolled: 1-line block ×8, first 2 shown]
	s_wait_dscnt 0x7
	v_dual_add_f32 v10, v10, v15 :: v_dual_bitop2_b32 v23, 8, v14 bitop3:0x14
	s_delay_alu instid0(VALU_DEP_1)
	v_cmp_gt_i32_e32 vcc_lo, 32, v23
	s_wait_dscnt 0x4
	v_dual_add_f32 v11, v11, v16 :: v_dual_add_f32 v13, v13, v18
	s_wait_dscnt 0x2
	v_dual_add_f32 v8, v8, v19 :: v_dual_add_f32 v9, v9, v20
	s_wait_dscnt 0x1
	v_dual_add_f32 v0, v0, v21 :: v_dual_cndmask_b32 v23, v14, v23
	s_wait_dscnt 0x0
	v_dual_add_f32 v12, v12, v17 :: v_dual_add_f32 v1, v1, v22
	s_delay_alu instid0(VALU_DEP_2)
	v_lshlrev_b32_e32 v23, 2, v23
	ds_bpermute_b32 v15, v23, v10
	ds_bpermute_b32 v16, v23, v11
	;; [unrolled: 1-line block ×8, first 2 shown]
	s_wait_dscnt 0x7
	v_dual_add_f32 v10, v10, v15 :: v_dual_bitop2_b32 v23, 4, v14 bitop3:0x14
	s_delay_alu instid0(VALU_DEP_1)
	v_cmp_gt_i32_e32 vcc_lo, 32, v23
	s_wait_dscnt 0x4
	v_dual_add_f32 v12, v12, v17 :: v_dual_add_f32 v13, v13, v18
	s_wait_dscnt 0x3
	v_dual_add_f32 v11, v11, v16 :: v_dual_add_f32 v8, v8, v19
	s_wait_dscnt 0x2
	v_dual_add_f32 v9, v9, v20 :: v_dual_cndmask_b32 v23, v14, v23, vcc_lo
	s_wait_dscnt 0x0
	v_dual_add_f32 v0, v0, v21 :: v_dual_add_f32 v1, v1, v22
	s_delay_alu instid0(VALU_DEP_2)
	v_lshlrev_b32_e32 v23, 2, v23
	ds_bpermute_b32 v15, v23, v10
	ds_bpermute_b32 v16, v23, v11
	;; [unrolled: 1-line block ×8, first 2 shown]
	s_wait_dscnt 0x7
	v_dual_add_f32 v10, v10, v15 :: v_dual_bitop2_b32 v23, 2, v14 bitop3:0x14
	s_delay_alu instid0(VALU_DEP_1)
	v_cmp_gt_i32_e32 vcc_lo, 32, v23
	s_wait_dscnt 0x5
	v_dual_add_f32 v11, v11, v16 :: v_dual_add_f32 v12, v12, v17
	s_wait_dscnt 0x3
	v_dual_add_f32 v13, v13, v18 :: v_dual_add_f32 v15, v8, v19
	s_wait_dscnt 0x2
	v_dual_cndmask_b32 v23, v14, v23, vcc_lo :: v_dual_add_f32 v9, v9, v20
	s_wait_dscnt 0x1
	s_delay_alu instid0(VALU_DEP_1)
	v_dual_add_f32 v16, v0, v21 :: v_dual_lshlrev_b32 v23, 2, v23
	ds_bpermute_b32 v0, v23, v10
	v_xor_b32_e32 v8, 1, v14
	ds_bpermute_b32 v18, v23, v12
	ds_bpermute_b32 v19, v23, v13
	ds_bpermute_b32 v20, v23, v15
	ds_bpermute_b32 v21, v23, v9
	s_wait_dscnt 0x4
	v_add_f32_e32 v0, v10, v0
	v_cmp_gt_i32_e32 vcc_lo, 32, v8
	v_add_f32_e32 v17, v1, v22
	ds_bpermute_b32 v1, v23, v11
	ds_bpermute_b32 v22, v23, v16
	s_wait_dscnt 0x5
	v_dual_add_f32 v10, v12, v18 :: v_dual_cndmask_b32 v8, v14, v8, vcc_lo
	ds_bpermute_b32 v23, v23, v17
	s_wait_dscnt 0x4
	v_add_f32_e32 v12, v15, v20
	v_cmp_eq_u32_e32 vcc_lo, 63, v7
	s_wait_dscnt 0x2
	v_dual_lshlrev_b32 v24, 2, v8 :: v_dual_add_f32 v8, v11, v1
	v_add_f32_e32 v11, v13, v19
	s_wait_dscnt 0x1
	v_dual_add_f32 v13, v9, v21 :: v_dual_add_f32 v1, v16, v22
	s_wait_dscnt 0x0
	v_add_f32_e32 v9, v17, v23
	ds_bpermute_b32 v16, v24, v0
	ds_bpermute_b32 v17, v24, v8
	ds_bpermute_b32 v18, v24, v10
	ds_bpermute_b32 v19, v24, v11
	ds_bpermute_b32 v21, v24, v12
	ds_bpermute_b32 v22, v24, v13
	ds_bpermute_b32 v14, v24, v1
	ds_bpermute_b32 v15, v24, v9
	s_and_b32 exec_lo, exec_lo, vcc_lo
	s_cbranch_execz .LBB108_19
; %bb.15:
	s_load_b64 s[2:3], s[0:1], 0x38
	v_cmp_eq_f32_e32 vcc_lo, 0, v4
	s_wait_xcnt 0x0
	v_cmp_eq_f32_e64 s0, 0, v5
	s_wait_dscnt 0x7
	v_add_f32_e32 v0, v0, v16
	s_wait_dscnt 0x5
	v_dual_add_f32 v20, v8, v17 :: v_dual_add_f32 v8, v10, v18
	s_wait_dscnt 0x3
	v_dual_add_f32 v18, v11, v19 :: v_dual_add_f32 v10, v12, v21
	s_wait_dscnt 0x2
	v_add_f32_e32 v16, v13, v22
	s_wait_dscnt 0x1
	v_add_f32_e32 v12, v1, v14
	;; [unrolled: 2-line block ×3, first 2 shown]
	s_and_b32 s0, vcc_lo, s0
	s_delay_alu instid0(SALU_CYCLE_1) | instskip(NEXT) | instid1(SALU_CYCLE_1)
	s_and_saveexec_b32 s1, s0
	s_xor_b32 s0, exec_lo, s1
	s_cbranch_execz .LBB108_17
; %bb.16:
	v_xor_b32_e32 v4, 0x80000000, v3
	v_dual_mov_b32 v5, v2 :: v_dual_lshlrev_b32 v6, 2, v6
	s_delay_alu instid0(VALU_DEP_1) | instskip(NEXT) | instid1(VALU_DEP_2)
	v_ashrrev_i32_e32 v7, 31, v6
	v_pk_mul_f32 v[20:21], v[20:21], v[4:5] op_sel_hi:[0,1]
	v_pk_mul_f32 v[18:19], v[18:19], v[4:5] op_sel_hi:[0,1]
	;; [unrolled: 1-line block ×4, first 2 shown]
	s_wait_kmcnt 0x0
	v_lshl_add_u64 v[22:23], v[6:7], 3, s[2:3]
	v_pk_fma_f32 v[4:5], v[2:3], v[0:1], v[20:21] op_sel_hi:[1,0,1]
	v_pk_fma_f32 v[6:7], v[2:3], v[8:9], v[18:19] op_sel_hi:[1,0,1]
	;; [unrolled: 1-line block ×4, first 2 shown]
	s_clause 0x1
	global_store_b128 v[22:23], v[4:7], off
	global_store_b128 v[22:23], v[0:3], off offset:16
                                        ; implicit-def: $vgpr6
                                        ; implicit-def: $vgpr0
                                        ; implicit-def: $vgpr20
                                        ; implicit-def: $vgpr8
                                        ; implicit-def: $vgpr18
                                        ; implicit-def: $vgpr10
                                        ; implicit-def: $vgpr16
                                        ; implicit-def: $vgpr12
                                        ; implicit-def: $vgpr14
                                        ; implicit-def: $vgpr2_vgpr3
                                        ; implicit-def: $vgpr4_vgpr5
.LBB108_17:
	s_wait_xcnt 0x0
	s_and_not1_saveexec_b32 s0, s0
	s_cbranch_execz .LBB108_19
; %bb.18:
	v_lshlrev_b32_e32 v6, 2, v6
	v_xor_b32_e32 v32, 0x80000000, v5
	s_delay_alu instid0(VALU_DEP_2) | instskip(SKIP_1) | instid1(VALU_DEP_1)
	v_dual_mov_b32 v33, v4 :: v_dual_ashrrev_i32 v7, 31, v6
	s_wait_kmcnt 0x0
	v_lshl_add_u64 v[30:31], v[6:7], 3, s[2:3]
	v_xor_b32_e32 v6, 0x80000000, v3
	v_mov_b32_e32 v7, v2
	s_clause 0x1
	global_load_b128 v[22:25], v[30:31], off
	global_load_b128 v[26:29], v[30:31], off offset:16
	v_pk_mul_f32 v[20:21], v[20:21], v[6:7] op_sel_hi:[0,1]
	v_pk_mul_f32 v[18:19], v[18:19], v[6:7] op_sel_hi:[0,1]
	;; [unrolled: 1-line block ×4, first 2 shown]
	s_delay_alu instid0(VALU_DEP_4) | instskip(NEXT) | instid1(VALU_DEP_4)
	v_pk_fma_f32 v[0:1], v[2:3], v[0:1], v[20:21] op_sel_hi:[1,0,1]
	v_pk_fma_f32 v[8:9], v[2:3], v[8:9], v[18:19] op_sel_hi:[1,0,1]
	s_delay_alu instid0(VALU_DEP_4) | instskip(NEXT) | instid1(VALU_DEP_4)
	v_pk_fma_f32 v[10:11], v[2:3], v[10:11], v[16:17] op_sel_hi:[1,0,1]
	v_pk_fma_f32 v[2:3], v[2:3], v[12:13], v[6:7] op_sel_hi:[1,0,1]
	s_wait_loadcnt 0x1
	v_pk_fma_f32 v[0:1], v[4:5], v[22:23], v[0:1] op_sel_hi:[1,0,1]
	v_pk_fma_f32 v[6:7], v[4:5], v[24:25], v[8:9] op_sel_hi:[1,0,1]
	s_wait_loadcnt 0x0
	v_dual_mov_b32 v8, v25 :: v_dual_mov_b32 v14, v29
	v_pk_fma_f32 v[10:11], v[4:5], v[26:27], v[10:11] op_sel_hi:[1,0,1]
	v_pk_fma_f32 v[12:13], v[4:5], v[28:29], v[2:3] op_sel_hi:[1,0,1]
	v_pk_fma_f32 v[0:1], v[32:33], v[22:23], v[0:1] op_sel:[0,1,0]
	s_delay_alu instid0(VALU_DEP_4) | instskip(NEXT) | instid1(VALU_DEP_4)
	v_pk_fma_f32 v[2:3], v[32:33], v[8:9], v[6:7] op_sel_hi:[1,0,1]
	v_pk_fma_f32 v[4:5], v[32:33], v[26:27], v[10:11] op_sel:[0,1,0]
	s_delay_alu instid0(VALU_DEP_4)
	v_pk_fma_f32 v[6:7], v[32:33], v[14:15], v[12:13] op_sel_hi:[1,0,1]
	s_clause 0x1
	global_store_b128 v[30:31], v[0:3], off
	global_store_b128 v[30:31], v[4:7], off offset:16
.LBB108_19:
	s_sendmsg sendmsg(MSG_DEALLOC_VGPRS)
	s_endpgm
	.section	.rodata,"a",@progbits
	.p2align	6, 0x0
	.amdhsa_kernel _ZN9rocsparseL19gebsrmvn_4xn_kernelILj128ELj8ELj64E21rocsparse_complex_numIfEEEvi20rocsparse_direction_NS_24const_host_device_scalarIT2_EEPKiS8_PKS5_SA_S6_PS5_21rocsparse_index_base_b
		.amdhsa_group_segment_fixed_size 0
		.amdhsa_private_segment_fixed_size 0
		.amdhsa_kernarg_size 72
		.amdhsa_user_sgpr_count 2
		.amdhsa_user_sgpr_dispatch_ptr 0
		.amdhsa_user_sgpr_queue_ptr 0
		.amdhsa_user_sgpr_kernarg_segment_ptr 1
		.amdhsa_user_sgpr_dispatch_id 0
		.amdhsa_user_sgpr_kernarg_preload_length 0
		.amdhsa_user_sgpr_kernarg_preload_offset 0
		.amdhsa_user_sgpr_private_segment_size 0
		.amdhsa_wavefront_size32 1
		.amdhsa_uses_dynamic_stack 0
		.amdhsa_enable_private_segment 0
		.amdhsa_system_sgpr_workgroup_id_x 1
		.amdhsa_system_sgpr_workgroup_id_y 0
		.amdhsa_system_sgpr_workgroup_id_z 0
		.amdhsa_system_sgpr_workgroup_info 0
		.amdhsa_system_vgpr_workitem_id 0
		.amdhsa_next_free_vgpr 100
		.amdhsa_next_free_sgpr 14
		.amdhsa_named_barrier_count 0
		.amdhsa_reserve_vcc 1
		.amdhsa_float_round_mode_32 0
		.amdhsa_float_round_mode_16_64 0
		.amdhsa_float_denorm_mode_32 3
		.amdhsa_float_denorm_mode_16_64 3
		.amdhsa_fp16_overflow 0
		.amdhsa_memory_ordered 1
		.amdhsa_forward_progress 1
		.amdhsa_inst_pref_size 33
		.amdhsa_round_robin_scheduling 0
		.amdhsa_exception_fp_ieee_invalid_op 0
		.amdhsa_exception_fp_denorm_src 0
		.amdhsa_exception_fp_ieee_div_zero 0
		.amdhsa_exception_fp_ieee_overflow 0
		.amdhsa_exception_fp_ieee_underflow 0
		.amdhsa_exception_fp_ieee_inexact 0
		.amdhsa_exception_int_div_zero 0
	.end_amdhsa_kernel
	.section	.text._ZN9rocsparseL19gebsrmvn_4xn_kernelILj128ELj8ELj64E21rocsparse_complex_numIfEEEvi20rocsparse_direction_NS_24const_host_device_scalarIT2_EEPKiS8_PKS5_SA_S6_PS5_21rocsparse_index_base_b,"axG",@progbits,_ZN9rocsparseL19gebsrmvn_4xn_kernelILj128ELj8ELj64E21rocsparse_complex_numIfEEEvi20rocsparse_direction_NS_24const_host_device_scalarIT2_EEPKiS8_PKS5_SA_S6_PS5_21rocsparse_index_base_b,comdat
.Lfunc_end108:
	.size	_ZN9rocsparseL19gebsrmvn_4xn_kernelILj128ELj8ELj64E21rocsparse_complex_numIfEEEvi20rocsparse_direction_NS_24const_host_device_scalarIT2_EEPKiS8_PKS5_SA_S6_PS5_21rocsparse_index_base_b, .Lfunc_end108-_ZN9rocsparseL19gebsrmvn_4xn_kernelILj128ELj8ELj64E21rocsparse_complex_numIfEEEvi20rocsparse_direction_NS_24const_host_device_scalarIT2_EEPKiS8_PKS5_SA_S6_PS5_21rocsparse_index_base_b
                                        ; -- End function
	.set _ZN9rocsparseL19gebsrmvn_4xn_kernelILj128ELj8ELj64E21rocsparse_complex_numIfEEEvi20rocsparse_direction_NS_24const_host_device_scalarIT2_EEPKiS8_PKS5_SA_S6_PS5_21rocsparse_index_base_b.num_vgpr, 100
	.set _ZN9rocsparseL19gebsrmvn_4xn_kernelILj128ELj8ELj64E21rocsparse_complex_numIfEEEvi20rocsparse_direction_NS_24const_host_device_scalarIT2_EEPKiS8_PKS5_SA_S6_PS5_21rocsparse_index_base_b.num_agpr, 0
	.set _ZN9rocsparseL19gebsrmvn_4xn_kernelILj128ELj8ELj64E21rocsparse_complex_numIfEEEvi20rocsparse_direction_NS_24const_host_device_scalarIT2_EEPKiS8_PKS5_SA_S6_PS5_21rocsparse_index_base_b.numbered_sgpr, 14
	.set _ZN9rocsparseL19gebsrmvn_4xn_kernelILj128ELj8ELj64E21rocsparse_complex_numIfEEEvi20rocsparse_direction_NS_24const_host_device_scalarIT2_EEPKiS8_PKS5_SA_S6_PS5_21rocsparse_index_base_b.num_named_barrier, 0
	.set _ZN9rocsparseL19gebsrmvn_4xn_kernelILj128ELj8ELj64E21rocsparse_complex_numIfEEEvi20rocsparse_direction_NS_24const_host_device_scalarIT2_EEPKiS8_PKS5_SA_S6_PS5_21rocsparse_index_base_b.private_seg_size, 0
	.set _ZN9rocsparseL19gebsrmvn_4xn_kernelILj128ELj8ELj64E21rocsparse_complex_numIfEEEvi20rocsparse_direction_NS_24const_host_device_scalarIT2_EEPKiS8_PKS5_SA_S6_PS5_21rocsparse_index_base_b.uses_vcc, 1
	.set _ZN9rocsparseL19gebsrmvn_4xn_kernelILj128ELj8ELj64E21rocsparse_complex_numIfEEEvi20rocsparse_direction_NS_24const_host_device_scalarIT2_EEPKiS8_PKS5_SA_S6_PS5_21rocsparse_index_base_b.uses_flat_scratch, 1
	.set _ZN9rocsparseL19gebsrmvn_4xn_kernelILj128ELj8ELj64E21rocsparse_complex_numIfEEEvi20rocsparse_direction_NS_24const_host_device_scalarIT2_EEPKiS8_PKS5_SA_S6_PS5_21rocsparse_index_base_b.has_dyn_sized_stack, 0
	.set _ZN9rocsparseL19gebsrmvn_4xn_kernelILj128ELj8ELj64E21rocsparse_complex_numIfEEEvi20rocsparse_direction_NS_24const_host_device_scalarIT2_EEPKiS8_PKS5_SA_S6_PS5_21rocsparse_index_base_b.has_recursion, 0
	.set _ZN9rocsparseL19gebsrmvn_4xn_kernelILj128ELj8ELj64E21rocsparse_complex_numIfEEEvi20rocsparse_direction_NS_24const_host_device_scalarIT2_EEPKiS8_PKS5_SA_S6_PS5_21rocsparse_index_base_b.has_indirect_call, 0
	.section	.AMDGPU.csdata,"",@progbits
; Kernel info:
; codeLenInByte = 4200
; TotalNumSgprs: 16
; NumVgprs: 100
; ScratchSize: 0
; MemoryBound: 0
; FloatMode: 240
; IeeeMode: 1
; LDSByteSize: 0 bytes/workgroup (compile time only)
; SGPRBlocks: 0
; VGPRBlocks: 6
; NumSGPRsForWavesPerEU: 16
; NumVGPRsForWavesPerEU: 100
; NamedBarCnt: 0
; Occupancy: 9
; WaveLimiterHint : 1
; COMPUTE_PGM_RSRC2:SCRATCH_EN: 0
; COMPUTE_PGM_RSRC2:USER_SGPR: 2
; COMPUTE_PGM_RSRC2:TRAP_HANDLER: 0
; COMPUTE_PGM_RSRC2:TGID_X_EN: 1
; COMPUTE_PGM_RSRC2:TGID_Y_EN: 0
; COMPUTE_PGM_RSRC2:TGID_Z_EN: 0
; COMPUTE_PGM_RSRC2:TIDIG_COMP_CNT: 0
	.section	.text._ZN9rocsparseL23gebsrmvn_general_kernelILj64ELj16E21rocsparse_complex_numIfEEEvi20rocsparse_direction_NS_24const_host_device_scalarIT1_EEPKiS8_PKS5_iiSA_S6_PS5_21rocsparse_index_base_b,"axG",@progbits,_ZN9rocsparseL23gebsrmvn_general_kernelILj64ELj16E21rocsparse_complex_numIfEEEvi20rocsparse_direction_NS_24const_host_device_scalarIT1_EEPKiS8_PKS5_iiSA_S6_PS5_21rocsparse_index_base_b,comdat
	.globl	_ZN9rocsparseL23gebsrmvn_general_kernelILj64ELj16E21rocsparse_complex_numIfEEEvi20rocsparse_direction_NS_24const_host_device_scalarIT1_EEPKiS8_PKS5_iiSA_S6_PS5_21rocsparse_index_base_b ; -- Begin function _ZN9rocsparseL23gebsrmvn_general_kernelILj64ELj16E21rocsparse_complex_numIfEEEvi20rocsparse_direction_NS_24const_host_device_scalarIT1_EEPKiS8_PKS5_iiSA_S6_PS5_21rocsparse_index_base_b
	.p2align	8
	.type	_ZN9rocsparseL23gebsrmvn_general_kernelILj64ELj16E21rocsparse_complex_numIfEEEvi20rocsparse_direction_NS_24const_host_device_scalarIT1_EEPKiS8_PKS5_iiSA_S6_PS5_21rocsparse_index_base_b,@function
_ZN9rocsparseL23gebsrmvn_general_kernelILj64ELj16E21rocsparse_complex_numIfEEEvi20rocsparse_direction_NS_24const_host_device_scalarIT1_EEPKiS8_PKS5_iiSA_S6_PS5_21rocsparse_index_base_b: ; @_ZN9rocsparseL23gebsrmvn_general_kernelILj64ELj16E21rocsparse_complex_numIfEEEvi20rocsparse_direction_NS_24const_host_device_scalarIT1_EEPKiS8_PKS5_iiSA_S6_PS5_21rocsparse_index_base_b
; %bb.0:
	s_clause 0x2
	s_load_b64 s[8:9], s[0:1], 0x48
	s_load_b64 s[2:3], s[0:1], 0x8
	;; [unrolled: 1-line block ×3, first 2 shown]
	v_mov_b32_e32 v1, 0
	s_add_nc_u64 s[6:7], s[0:1], 8
	s_add_nc_u64 s[10:11], s[0:1], 56
	s_wait_kmcnt 0x0
	s_bitcmp1_b32 s9, 0
	s_cselect_b32 s3, s7, s3
	s_cselect_b32 s2, s6, s2
	;; [unrolled: 1-line block ×4, first 2 shown]
	s_clause 0x1
	flat_load_b64 v[2:3], v1, s[2:3]
	flat_load_b64 v[4:5], v1, s[4:5]
	s_wait_loadcnt_dscnt 0x101
	v_cmp_eq_f32_e32 vcc_lo, 0, v2
	v_cmp_eq_f32_e64 s2, 0, v3
	s_wait_loadcnt_dscnt 0x0
	v_cmp_eq_f32_e64 s3, 1.0, v4
	v_cmp_eq_f32_e64 s4, 0, v5
	s_and_b32 s2, vcc_lo, s2
	s_and_b32 s3, s3, s4
	s_delay_alu instid0(SALU_CYCLE_1) | instskip(NEXT) | instid1(SALU_CYCLE_1)
	s_and_b32 s2, s2, s3
	s_xor_b32 s2, s2, -1
	s_delay_alu instid0(SALU_CYCLE_1)
	s_and_saveexec_b32 s3, s2
	s_cbranch_execz .LBB109_20
; %bb.1:
	s_load_b64 s[10:11], s[0:1], 0x28
	v_lshrrev_b32_e32 v11, 4, v0
	s_wait_kmcnt 0x0
	s_delay_alu instid0(VALU_DEP_1)
	v_cmp_gt_i32_e32 vcc_lo, s10, v11
	s_and_b32 exec_lo, exec_lo, vcc_lo
	s_cbranch_execz .LBB109_20
; %bb.2:
	s_clause 0x1
	s_load_b128 s[4:7], s[0:1], 0x10
	s_load_b32 s20, s[0:1], 0x4
	s_bfe_u32 s2, ttmp6, 0x4000c
	s_and_b32 s3, ttmp6, 15
	s_add_co_i32 s2, s2, 1
	s_getreg_b32 s9, hwreg(HW_REG_IB_STS2, 6, 4)
	s_mul_i32 s2, ttmp9, s2
	v_and_b32_e32 v12, 15, v0
	s_add_co_i32 s3, s3, s2
	s_cmp_eq_u32 s9, 0
	v_mbcnt_lo_u32_b32 v0, -1, 0
	s_cselect_b32 s22, ttmp9, s3
	s_mov_b32 s9, 0
	s_ashr_i32 s23, s22, 31
	s_mul_i32 s21, s10, s22
	s_lshl_b64 s[2:3], s[22:23], 2
	v_xor_b32_e32 v7, 2, v0
	v_xor_b32_e32 v6, 4, v0
	;; [unrolled: 1-line block ×3, first 2 shown]
	s_mul_i32 s23, s11, s10
	s_wait_kmcnt 0x0
	s_add_nc_u64 s[2:3], s[4:5], s[2:3]
	s_load_b64 s[18:19], s[2:3], 0x0
	v_cmp_gt_i32_e32 vcc_lo, 32, v1
	s_clause 0x2
	s_load_b64 s[4:5], s[0:1], 0x20
	s_load_b64 s[12:13], s[0:1], 0x30
	;; [unrolled: 1-line block ×3, first 2 shown]
	s_wait_xcnt 0x0
	v_cmp_eq_f32_e64 s2, 0, v5
	v_cndmask_b32_e32 v1, v0, v1, vcc_lo
	v_cmp_gt_i32_e32 vcc_lo, 32, v6
	v_cmp_gt_i32_e64 s0, s11, v12
	v_cmp_eq_u32_e64 s1, 15, v12
	s_delay_alu instid0(VALU_DEP_4) | instskip(SKIP_2) | instid1(VALU_DEP_3)
	v_dual_cndmask_b32 v6, v0, v6 :: v_dual_lshlrev_b32 v13, 2, v1
	v_xor_b32_e32 v8, 1, v0
	v_cmp_gt_i32_e32 vcc_lo, 32, v7
	v_dual_mov_b32 v1, v2 :: v_dual_lshlrev_b32 v14, 2, v6
	v_xor_b32_e32 v6, 0x80000000, v5
	v_cndmask_b32_e32 v7, v0, v7, vcc_lo
	s_wait_kmcnt 0x0
	s_sub_co_i32 s16, s18, s8
	v_cmp_gt_i32_e32 vcc_lo, 32, v8
	v_mad_u32 v9, s10, s16, v11
	s_sub_co_i32 s17, s19, s8
	s_cmp_lt_i32 s18, s19
	v_dual_cndmask_b32 v0, v0, v8 :: v_dual_lshlrev_b32 v15, 2, v7
	v_cmp_eq_f32_e32 vcc_lo, 0, v4
	v_mov_b32_e32 v7, v4
	s_cselect_b32 s18, -1, 0
	s_cmp_lg_u32 s20, 0
	v_lshlrev_b32_e32 v16, 2, v0
	v_xor_b32_e32 v0, 0x80000000, v3
	v_mul_lo_u32 v17, s11, v9
	s_cselect_b32 s19, -1, 0
	s_and_b32 s20, vcc_lo, s2
	s_lshl_b32 s22, s11, 2
	s_branch .LBB109_4
.LBB109_3:                              ;   in Loop: Header=BB109_4 Depth=1
	s_wait_xcnt 0x0
	s_or_b32 exec_lo, exec_lo, s2
	v_dual_add_nc_u32 v11, 4, v11 :: v_dual_add_nc_u32 v17, s22, v17
	s_delay_alu instid0(VALU_DEP_1) | instskip(SKIP_1) | instid1(SALU_CYCLE_1)
	v_cmp_le_i32_e32 vcc_lo, s10, v11
	s_or_b32 s9, vcc_lo, s9
	s_and_not1_b32 exec_lo, exec_lo, s9
	s_cbranch_execz .LBB109_20
.LBB109_4:                              ; =>This Loop Header: Depth=1
                                        ;     Child Loop BB109_8 Depth 2
                                        ;       Child Loop BB109_11 Depth 3
	v_mov_b64_e32 v[8:9], 0
	s_and_not1_b32 vcc_lo, exec_lo, s18
	s_cbranch_vccnz .LBB109_15
; %bb.5:                                ;   in Loop: Header=BB109_4 Depth=1
	s_wait_dscnt 0x1
	s_delay_alu instid0(VALU_DEP_2)
	v_mov_b32_e32 v10, v17
	s_mov_b32 s2, s16
	s_branch .LBB109_8
.LBB109_6:                              ;   in Loop: Header=BB109_8 Depth=2
	s_or_b32 exec_lo, exec_lo, s25
.LBB109_7:                              ;   in Loop: Header=BB109_8 Depth=2
	s_delay_alu instid0(SALU_CYCLE_1) | instskip(SKIP_2) | instid1(SALU_CYCLE_1)
	s_or_b32 exec_lo, exec_lo, s24
	v_add_nc_u32_e32 v10, s23, v10
	s_add_co_i32 s2, s2, 1
	s_cmp_ge_i32 s2, s17
	s_cbranch_scc1 .LBB109_15
.LBB109_8:                              ;   Parent Loop BB109_4 Depth=1
                                        ; =>  This Loop Header: Depth=2
                                        ;       Child Loop BB109_11 Depth 3
	s_and_saveexec_b32 s24, s0
	s_cbranch_execz .LBB109_7
; %bb.9:                                ;   in Loop: Header=BB109_8 Depth=2
	s_ashr_i32 s3, s2, 31
	s_wait_dscnt 0x0
	v_mov_b32_e32 v18, v12
	s_lshl_b64 s[26:27], s[2:3], 2
	s_mov_b32 s25, 0
	s_add_nc_u64 s[26:27], s[6:7], s[26:27]
	s_load_b32 s3, s[26:27], 0x0
	s_wait_kmcnt 0x0
	s_wait_xcnt 0x0
	s_sub_co_i32 s26, s3, s8
	s_mul_i32 s3, s2, s11
	s_mul_i32 s26, s26, s11
	s_branch .LBB109_11
.LBB109_10:                             ;   in Loop: Header=BB109_11 Depth=3
	v_dual_add_nc_u32 v24, s26, v18 :: v_dual_add_nc_u32 v18, 16, v18
	global_load_b64 v[20:21], v24, s[12:13] scale_offset
	global_load_b64 v[22:23], v19, s[4:5] scale_offset
	v_cmp_le_i32_e32 vcc_lo, s11, v18
	s_or_b32 s25, vcc_lo, s25
	s_wait_loadcnt 0x0
	v_pk_fma_f32 v[8:9], v[22:23], v[20:21], v[8:9] op_sel_hi:[1,0,1]
	s_delay_alu instid0(VALU_DEP_1)
	v_pk_fma_f32 v[8:9], v[22:23], v[20:21], v[8:9] op_sel:[1,1,0] op_sel_hi:[0,1,1] neg_lo:[1,0,0]
	s_wait_xcnt 0x0
	s_and_not1_b32 exec_lo, exec_lo, s25
	s_cbranch_execz .LBB109_6
.LBB109_11:                             ;   Parent Loop BB109_4 Depth=1
                                        ;     Parent Loop BB109_8 Depth=2
                                        ; =>    This Inner Loop Header: Depth=3
	s_and_b32 vcc_lo, exec_lo, s19
	s_cbranch_vccz .LBB109_13
; %bb.12:                               ;   in Loop: Header=BB109_11 Depth=3
	v_add_nc_u32_e32 v19, s3, v18
	s_delay_alu instid0(VALU_DEP_1)
	v_mad_u32 v19, v19, s10, v11
	s_cbranch_execnz .LBB109_10
	s_branch .LBB109_14
.LBB109_13:                             ;   in Loop: Header=BB109_11 Depth=3
                                        ; implicit-def: $vgpr19
.LBB109_14:                             ;   in Loop: Header=BB109_11 Depth=3
	v_add_nc_u32_e32 v19, v10, v18
	s_branch .LBB109_10
.LBB109_15:                             ;   in Loop: Header=BB109_4 Depth=1
	s_wait_dscnt 0x1
	ds_bpermute_b32 v10, v13, v8
	s_wait_dscnt 0x1
	ds_bpermute_b32 v18, v13, v9
	s_wait_dscnt 0x1
	v_add_f32_e32 v8, v8, v10
	s_wait_dscnt 0x0
	v_add_f32_e32 v9, v9, v18
	ds_bpermute_b32 v10, v14, v8
	ds_bpermute_b32 v18, v14, v9
	s_wait_dscnt 0x1
	v_add_f32_e32 v8, v8, v10
	s_wait_dscnt 0x0
	v_add_f32_e32 v9, v9, v18
	ds_bpermute_b32 v10, v15, v8
	;; [unrolled: 6-line block ×3, first 2 shown]
	ds_bpermute_b32 v18, v16, v9
	s_and_saveexec_b32 s2, s1
	s_cbranch_execz .LBB109_3
; %bb.16:                               ;   in Loop: Header=BB109_4 Depth=1
	s_wait_dscnt 0x1
	v_add_f32_e32 v8, v8, v10
	s_wait_dscnt 0x0
	v_dual_add_f32 v10, v9, v18 :: v_dual_add_nc_u32 v9, s21, v11
	s_and_saveexec_b32 s3, s20
	s_delay_alu instid0(SALU_CYCLE_1)
	s_xor_b32 s3, exec_lo, s3
	s_cbranch_execz .LBB109_18
; %bb.17:                               ;   in Loop: Header=BB109_4 Depth=1
	s_delay_alu instid0(VALU_DEP_1) | instskip(NEXT) | instid1(VALU_DEP_1)
	v_pk_mul_f32 v[18:19], v[10:11], v[0:1] op_sel_hi:[0,1]
                                        ; implicit-def: $vgpr10
	v_pk_fma_f32 v[18:19], v[2:3], v[8:9], v[18:19] op_sel_hi:[1,0,1]
                                        ; implicit-def: $vgpr8
	global_store_b64 v9, v[18:19], s[14:15] scale_offset
                                        ; implicit-def: $vgpr9
.LBB109_18:                             ;   in Loop: Header=BB109_4 Depth=1
	s_wait_xcnt 0x0
	s_and_not1_saveexec_b32 s3, s3
	s_cbranch_execz .LBB109_3
; %bb.19:                               ;   in Loop: Header=BB109_4 Depth=1
	global_load_b64 v[18:19], v9, s[14:15] scale_offset
	v_pk_mul_f32 v[20:21], v[10:11], v[0:1] op_sel_hi:[0,1]
	s_delay_alu instid0(VALU_DEP_1) | instskip(SKIP_1) | instid1(VALU_DEP_1)
	v_pk_fma_f32 v[20:21], v[2:3], v[8:9], v[20:21] op_sel_hi:[1,0,1]
	s_wait_loadcnt 0x0
	v_pk_fma_f32 v[20:21], v[4:5], v[18:19], v[20:21] op_sel_hi:[1,0,1]
	s_delay_alu instid0(VALU_DEP_1)
	v_pk_fma_f32 v[18:19], v[6:7], v[18:19], v[20:21] op_sel:[0,1,0]
	global_store_b64 v9, v[18:19], s[14:15] scale_offset
	s_branch .LBB109_3
.LBB109_20:
	s_endpgm
	.section	.rodata,"a",@progbits
	.p2align	6, 0x0
	.amdhsa_kernel _ZN9rocsparseL23gebsrmvn_general_kernelILj64ELj16E21rocsparse_complex_numIfEEEvi20rocsparse_direction_NS_24const_host_device_scalarIT1_EEPKiS8_PKS5_iiSA_S6_PS5_21rocsparse_index_base_b
		.amdhsa_group_segment_fixed_size 0
		.amdhsa_private_segment_fixed_size 0
		.amdhsa_kernarg_size 80
		.amdhsa_user_sgpr_count 2
		.amdhsa_user_sgpr_dispatch_ptr 0
		.amdhsa_user_sgpr_queue_ptr 0
		.amdhsa_user_sgpr_kernarg_segment_ptr 1
		.amdhsa_user_sgpr_dispatch_id 0
		.amdhsa_user_sgpr_kernarg_preload_length 0
		.amdhsa_user_sgpr_kernarg_preload_offset 0
		.amdhsa_user_sgpr_private_segment_size 0
		.amdhsa_wavefront_size32 1
		.amdhsa_uses_dynamic_stack 0
		.amdhsa_enable_private_segment 0
		.amdhsa_system_sgpr_workgroup_id_x 1
		.amdhsa_system_sgpr_workgroup_id_y 0
		.amdhsa_system_sgpr_workgroup_id_z 0
		.amdhsa_system_sgpr_workgroup_info 0
		.amdhsa_system_vgpr_workitem_id 0
		.amdhsa_next_free_vgpr 25
		.amdhsa_next_free_sgpr 28
		.amdhsa_named_barrier_count 0
		.amdhsa_reserve_vcc 1
		.amdhsa_float_round_mode_32 0
		.amdhsa_float_round_mode_16_64 0
		.amdhsa_float_denorm_mode_32 3
		.amdhsa_float_denorm_mode_16_64 3
		.amdhsa_fp16_overflow 0
		.amdhsa_memory_ordered 1
		.amdhsa_forward_progress 1
		.amdhsa_inst_pref_size 9
		.amdhsa_round_robin_scheduling 0
		.amdhsa_exception_fp_ieee_invalid_op 0
		.amdhsa_exception_fp_denorm_src 0
		.amdhsa_exception_fp_ieee_div_zero 0
		.amdhsa_exception_fp_ieee_overflow 0
		.amdhsa_exception_fp_ieee_underflow 0
		.amdhsa_exception_fp_ieee_inexact 0
		.amdhsa_exception_int_div_zero 0
	.end_amdhsa_kernel
	.section	.text._ZN9rocsparseL23gebsrmvn_general_kernelILj64ELj16E21rocsparse_complex_numIfEEEvi20rocsparse_direction_NS_24const_host_device_scalarIT1_EEPKiS8_PKS5_iiSA_S6_PS5_21rocsparse_index_base_b,"axG",@progbits,_ZN9rocsparseL23gebsrmvn_general_kernelILj64ELj16E21rocsparse_complex_numIfEEEvi20rocsparse_direction_NS_24const_host_device_scalarIT1_EEPKiS8_PKS5_iiSA_S6_PS5_21rocsparse_index_base_b,comdat
.Lfunc_end109:
	.size	_ZN9rocsparseL23gebsrmvn_general_kernelILj64ELj16E21rocsparse_complex_numIfEEEvi20rocsparse_direction_NS_24const_host_device_scalarIT1_EEPKiS8_PKS5_iiSA_S6_PS5_21rocsparse_index_base_b, .Lfunc_end109-_ZN9rocsparseL23gebsrmvn_general_kernelILj64ELj16E21rocsparse_complex_numIfEEEvi20rocsparse_direction_NS_24const_host_device_scalarIT1_EEPKiS8_PKS5_iiSA_S6_PS5_21rocsparse_index_base_b
                                        ; -- End function
	.set _ZN9rocsparseL23gebsrmvn_general_kernelILj64ELj16E21rocsparse_complex_numIfEEEvi20rocsparse_direction_NS_24const_host_device_scalarIT1_EEPKiS8_PKS5_iiSA_S6_PS5_21rocsparse_index_base_b.num_vgpr, 25
	.set _ZN9rocsparseL23gebsrmvn_general_kernelILj64ELj16E21rocsparse_complex_numIfEEEvi20rocsparse_direction_NS_24const_host_device_scalarIT1_EEPKiS8_PKS5_iiSA_S6_PS5_21rocsparse_index_base_b.num_agpr, 0
	.set _ZN9rocsparseL23gebsrmvn_general_kernelILj64ELj16E21rocsparse_complex_numIfEEEvi20rocsparse_direction_NS_24const_host_device_scalarIT1_EEPKiS8_PKS5_iiSA_S6_PS5_21rocsparse_index_base_b.numbered_sgpr, 28
	.set _ZN9rocsparseL23gebsrmvn_general_kernelILj64ELj16E21rocsparse_complex_numIfEEEvi20rocsparse_direction_NS_24const_host_device_scalarIT1_EEPKiS8_PKS5_iiSA_S6_PS5_21rocsparse_index_base_b.num_named_barrier, 0
	.set _ZN9rocsparseL23gebsrmvn_general_kernelILj64ELj16E21rocsparse_complex_numIfEEEvi20rocsparse_direction_NS_24const_host_device_scalarIT1_EEPKiS8_PKS5_iiSA_S6_PS5_21rocsparse_index_base_b.private_seg_size, 0
	.set _ZN9rocsparseL23gebsrmvn_general_kernelILj64ELj16E21rocsparse_complex_numIfEEEvi20rocsparse_direction_NS_24const_host_device_scalarIT1_EEPKiS8_PKS5_iiSA_S6_PS5_21rocsparse_index_base_b.uses_vcc, 1
	.set _ZN9rocsparseL23gebsrmvn_general_kernelILj64ELj16E21rocsparse_complex_numIfEEEvi20rocsparse_direction_NS_24const_host_device_scalarIT1_EEPKiS8_PKS5_iiSA_S6_PS5_21rocsparse_index_base_b.uses_flat_scratch, 1
	.set _ZN9rocsparseL23gebsrmvn_general_kernelILj64ELj16E21rocsparse_complex_numIfEEEvi20rocsparse_direction_NS_24const_host_device_scalarIT1_EEPKiS8_PKS5_iiSA_S6_PS5_21rocsparse_index_base_b.has_dyn_sized_stack, 0
	.set _ZN9rocsparseL23gebsrmvn_general_kernelILj64ELj16E21rocsparse_complex_numIfEEEvi20rocsparse_direction_NS_24const_host_device_scalarIT1_EEPKiS8_PKS5_iiSA_S6_PS5_21rocsparse_index_base_b.has_recursion, 0
	.set _ZN9rocsparseL23gebsrmvn_general_kernelILj64ELj16E21rocsparse_complex_numIfEEEvi20rocsparse_direction_NS_24const_host_device_scalarIT1_EEPKiS8_PKS5_iiSA_S6_PS5_21rocsparse_index_base_b.has_indirect_call, 0
	.section	.AMDGPU.csdata,"",@progbits
; Kernel info:
; codeLenInByte = 1072
; TotalNumSgprs: 30
; NumVgprs: 25
; ScratchSize: 0
; MemoryBound: 0
; FloatMode: 240
; IeeeMode: 1
; LDSByteSize: 0 bytes/workgroup (compile time only)
; SGPRBlocks: 0
; VGPRBlocks: 1
; NumSGPRsForWavesPerEU: 30
; NumVGPRsForWavesPerEU: 25
; NamedBarCnt: 0
; Occupancy: 16
; WaveLimiterHint : 1
; COMPUTE_PGM_RSRC2:SCRATCH_EN: 0
; COMPUTE_PGM_RSRC2:USER_SGPR: 2
; COMPUTE_PGM_RSRC2:TRAP_HANDLER: 0
; COMPUTE_PGM_RSRC2:TGID_X_EN: 1
; COMPUTE_PGM_RSRC2:TGID_Y_EN: 0
; COMPUTE_PGM_RSRC2:TGID_Z_EN: 0
; COMPUTE_PGM_RSRC2:TIDIG_COMP_CNT: 0
	.section	.text._ZN9rocsparseL23gebsrmvn_general_kernelILj128ELj32E21rocsparse_complex_numIfEEEvi20rocsparse_direction_NS_24const_host_device_scalarIT1_EEPKiS8_PKS5_iiSA_S6_PS5_21rocsparse_index_base_b,"axG",@progbits,_ZN9rocsparseL23gebsrmvn_general_kernelILj128ELj32E21rocsparse_complex_numIfEEEvi20rocsparse_direction_NS_24const_host_device_scalarIT1_EEPKiS8_PKS5_iiSA_S6_PS5_21rocsparse_index_base_b,comdat
	.globl	_ZN9rocsparseL23gebsrmvn_general_kernelILj128ELj32E21rocsparse_complex_numIfEEEvi20rocsparse_direction_NS_24const_host_device_scalarIT1_EEPKiS8_PKS5_iiSA_S6_PS5_21rocsparse_index_base_b ; -- Begin function _ZN9rocsparseL23gebsrmvn_general_kernelILj128ELj32E21rocsparse_complex_numIfEEEvi20rocsparse_direction_NS_24const_host_device_scalarIT1_EEPKiS8_PKS5_iiSA_S6_PS5_21rocsparse_index_base_b
	.p2align	8
	.type	_ZN9rocsparseL23gebsrmvn_general_kernelILj128ELj32E21rocsparse_complex_numIfEEEvi20rocsparse_direction_NS_24const_host_device_scalarIT1_EEPKiS8_PKS5_iiSA_S6_PS5_21rocsparse_index_base_b,@function
_ZN9rocsparseL23gebsrmvn_general_kernelILj128ELj32E21rocsparse_complex_numIfEEEvi20rocsparse_direction_NS_24const_host_device_scalarIT1_EEPKiS8_PKS5_iiSA_S6_PS5_21rocsparse_index_base_b: ; @_ZN9rocsparseL23gebsrmvn_general_kernelILj128ELj32E21rocsparse_complex_numIfEEEvi20rocsparse_direction_NS_24const_host_device_scalarIT1_EEPKiS8_PKS5_iiSA_S6_PS5_21rocsparse_index_base_b
; %bb.0:
	s_clause 0x2
	s_load_b64 s[8:9], s[0:1], 0x48
	s_load_b64 s[2:3], s[0:1], 0x8
	;; [unrolled: 1-line block ×3, first 2 shown]
	v_mov_b32_e32 v1, 0
	s_add_nc_u64 s[6:7], s[0:1], 8
	s_add_nc_u64 s[10:11], s[0:1], 56
	s_wait_kmcnt 0x0
	s_bitcmp1_b32 s9, 0
	s_cselect_b32 s3, s7, s3
	s_cselect_b32 s2, s6, s2
	;; [unrolled: 1-line block ×4, first 2 shown]
	s_clause 0x1
	flat_load_b64 v[2:3], v1, s[2:3]
	flat_load_b64 v[4:5], v1, s[4:5]
	s_wait_loadcnt_dscnt 0x101
	v_cmp_eq_f32_e32 vcc_lo, 0, v2
	v_cmp_eq_f32_e64 s2, 0, v3
	s_wait_loadcnt_dscnt 0x0
	v_cmp_eq_f32_e64 s3, 1.0, v4
	v_cmp_eq_f32_e64 s4, 0, v5
	s_and_b32 s2, vcc_lo, s2
	s_and_b32 s3, s3, s4
	s_delay_alu instid0(SALU_CYCLE_1) | instskip(NEXT) | instid1(SALU_CYCLE_1)
	s_and_b32 s2, s2, s3
	s_xor_b32 s2, s2, -1
	s_delay_alu instid0(SALU_CYCLE_1)
	s_and_saveexec_b32 s3, s2
	s_cbranch_execz .LBB110_20
; %bb.1:
	s_load_b64 s[10:11], s[0:1], 0x28
	v_lshrrev_b32_e32 v11, 5, v0
	s_wait_kmcnt 0x0
	s_delay_alu instid0(VALU_DEP_1)
	v_cmp_gt_i32_e32 vcc_lo, s10, v11
	s_and_b32 exec_lo, exec_lo, vcc_lo
	s_cbranch_execz .LBB110_20
; %bb.2:
	s_clause 0x1
	s_load_b128 s[4:7], s[0:1], 0x10
	s_load_b32 s20, s[0:1], 0x4
	s_bfe_u32 s2, ttmp6, 0x4000c
	s_and_b32 s3, ttmp6, 15
	s_add_co_i32 s2, s2, 1
	s_getreg_b32 s9, hwreg(HW_REG_IB_STS2, 6, 4)
	s_mul_i32 s2, ttmp9, s2
	v_and_b32_e32 v12, 31, v0
	s_add_co_i32 s3, s3, s2
	s_cmp_eq_u32 s9, 0
	v_mbcnt_lo_u32_b32 v0, -1, 0
	s_cselect_b32 s22, ttmp9, s3
	s_mov_b32 s9, 0
	s_ashr_i32 s23, s22, 31
	s_mul_i32 s21, s10, s22
	s_lshl_b64 s[2:3], s[22:23], 2
	v_xor_b32_e32 v7, 4, v0
	v_xor_b32_e32 v6, 8, v0
	;; [unrolled: 1-line block ×3, first 2 shown]
	s_mul_i32 s23, s11, s10
	s_wait_kmcnt 0x0
	s_add_nc_u64 s[2:3], s[4:5], s[2:3]
	s_load_b64 s[18:19], s[2:3], 0x0
	s_clause 0x2
	s_load_b64 s[4:5], s[0:1], 0x20
	s_load_b64 s[12:13], s[0:1], 0x30
	;; [unrolled: 1-line block ×3, first 2 shown]
	v_cmp_gt_i32_e32 vcc_lo, 32, v1
	s_wait_xcnt 0x0
	v_cmp_eq_f32_e64 s2, 0, v5
	v_cndmask_b32_e32 v1, v0, v1, vcc_lo
	v_cmp_gt_i32_e32 vcc_lo, 32, v6
	v_cmp_gt_i32_e64 s0, s11, v12
	v_cmp_eq_u32_e64 s1, 31, v12
	s_delay_alu instid0(VALU_DEP_4) | instskip(SKIP_2) | instid1(VALU_DEP_3)
	v_dual_cndmask_b32 v6, v0, v6 :: v_dual_lshlrev_b32 v13, 2, v1
	v_xor_b32_e32 v8, 2, v0
	v_cmp_gt_i32_e32 vcc_lo, 32, v7
	v_lshlrev_b32_e32 v14, 2, v6
	s_wait_kmcnt 0x0
	s_sub_co_i32 s16, s18, s8
	v_cndmask_b32_e32 v7, v0, v7, vcc_lo
	v_mad_u32 v1, s10, s16, v11
	v_xor_b32_e32 v9, 1, v0
	v_cmp_gt_i32_e32 vcc_lo, 32, v8
	s_sub_co_i32 s17, s19, s8
	v_lshlrev_b32_e32 v15, 2, v7
	s_cmp_lt_i32 s18, s19
	v_xor_b32_e32 v6, 0x80000000, v5
	v_cndmask_b32_e32 v8, v0, v8, vcc_lo
	v_cmp_gt_i32_e32 vcc_lo, 32, v9
	v_mov_b32_e32 v7, v4
	s_cselect_b32 s18, -1, 0
	v_mul_lo_u32 v18, s11, v1
	v_dual_mov_b32 v1, v2 :: v_dual_cndmask_b32 v0, v0, v9
	v_cmp_eq_f32_e32 vcc_lo, 0, v4
	v_lshlrev_b32_e32 v16, 2, v8
	s_cmp_lg_u32 s20, 0
	s_delay_alu instid0(VALU_DEP_3)
	v_lshlrev_b32_e32 v17, 2, v0
	v_xor_b32_e32 v0, 0x80000000, v3
	s_cselect_b32 s19, -1, 0
	s_and_b32 s20, vcc_lo, s2
	s_lshl_b32 s22, s11, 2
	s_branch .LBB110_4
.LBB110_3:                              ;   in Loop: Header=BB110_4 Depth=1
	s_wait_xcnt 0x0
	s_or_b32 exec_lo, exec_lo, s2
	v_dual_add_nc_u32 v11, 4, v11 :: v_dual_add_nc_u32 v18, s22, v18
	s_delay_alu instid0(VALU_DEP_1) | instskip(SKIP_1) | instid1(SALU_CYCLE_1)
	v_cmp_le_i32_e32 vcc_lo, s10, v11
	s_or_b32 s9, vcc_lo, s9
	s_and_not1_b32 exec_lo, exec_lo, s9
	s_cbranch_execz .LBB110_20
.LBB110_4:                              ; =>This Loop Header: Depth=1
                                        ;     Child Loop BB110_8 Depth 2
                                        ;       Child Loop BB110_11 Depth 3
	v_mov_b64_e32 v[8:9], 0
	s_and_not1_b32 vcc_lo, exec_lo, s18
	s_cbranch_vccnz .LBB110_15
; %bb.5:                                ;   in Loop: Header=BB110_4 Depth=1
	s_wait_dscnt 0x1
	v_mov_b32_e32 v10, v18
	s_mov_b32 s2, s16
	s_branch .LBB110_8
.LBB110_6:                              ;   in Loop: Header=BB110_8 Depth=2
	s_or_b32 exec_lo, exec_lo, s25
.LBB110_7:                              ;   in Loop: Header=BB110_8 Depth=2
	s_delay_alu instid0(SALU_CYCLE_1) | instskip(SKIP_2) | instid1(SALU_CYCLE_1)
	s_or_b32 exec_lo, exec_lo, s24
	v_add_nc_u32_e32 v10, s23, v10
	s_add_co_i32 s2, s2, 1
	s_cmp_ge_i32 s2, s17
	s_cbranch_scc1 .LBB110_15
.LBB110_8:                              ;   Parent Loop BB110_4 Depth=1
                                        ; =>  This Loop Header: Depth=2
                                        ;       Child Loop BB110_11 Depth 3
	s_and_saveexec_b32 s24, s0
	s_cbranch_execz .LBB110_7
; %bb.9:                                ;   in Loop: Header=BB110_8 Depth=2
	s_ashr_i32 s3, s2, 31
	s_wait_dscnt 0x0
	v_mov_b32_e32 v19, v12
	s_lshl_b64 s[26:27], s[2:3], 2
	s_mov_b32 s25, 0
	s_add_nc_u64 s[26:27], s[6:7], s[26:27]
	s_load_b32 s3, s[26:27], 0x0
	s_wait_kmcnt 0x0
	s_wait_xcnt 0x0
	s_sub_co_i32 s26, s3, s8
	s_mul_i32 s3, s2, s11
	s_mul_i32 s26, s26, s11
	s_branch .LBB110_11
.LBB110_10:                             ;   in Loop: Header=BB110_11 Depth=3
	v_dual_add_nc_u32 v21, s26, v19 :: v_dual_add_nc_u32 v19, 32, v19
	global_load_b64 v[22:23], v21, s[12:13] scale_offset
	global_load_b64 v[24:25], v20, s[4:5] scale_offset
	v_cmp_le_i32_e32 vcc_lo, s11, v19
	s_or_b32 s25, vcc_lo, s25
	s_wait_loadcnt 0x0
	v_pk_fma_f32 v[8:9], v[24:25], v[22:23], v[8:9] op_sel_hi:[1,0,1]
	s_delay_alu instid0(VALU_DEP_1)
	v_pk_fma_f32 v[8:9], v[24:25], v[22:23], v[8:9] op_sel:[1,1,0] op_sel_hi:[0,1,1] neg_lo:[1,0,0]
	s_wait_xcnt 0x0
	s_and_not1_b32 exec_lo, exec_lo, s25
	s_cbranch_execz .LBB110_6
.LBB110_11:                             ;   Parent Loop BB110_4 Depth=1
                                        ;     Parent Loop BB110_8 Depth=2
                                        ; =>    This Inner Loop Header: Depth=3
	s_and_b32 vcc_lo, exec_lo, s19
	s_cbranch_vccz .LBB110_13
; %bb.12:                               ;   in Loop: Header=BB110_11 Depth=3
	v_add_nc_u32_e32 v20, s3, v19
	s_delay_alu instid0(VALU_DEP_1)
	v_mad_u32 v20, v20, s10, v11
	s_cbranch_execnz .LBB110_10
	s_branch .LBB110_14
.LBB110_13:                             ;   in Loop: Header=BB110_11 Depth=3
                                        ; implicit-def: $vgpr20
.LBB110_14:                             ;   in Loop: Header=BB110_11 Depth=3
	v_add_nc_u32_e32 v20, v10, v19
	s_branch .LBB110_10
.LBB110_15:                             ;   in Loop: Header=BB110_4 Depth=1
	s_wait_dscnt 0x1
	ds_bpermute_b32 v10, v13, v8
	s_wait_dscnt 0x1
	ds_bpermute_b32 v19, v13, v9
	s_wait_dscnt 0x0
	v_dual_add_f32 v8, v8, v10 :: v_dual_add_f32 v9, v9, v19
	ds_bpermute_b32 v10, v14, v8
	ds_bpermute_b32 v19, v14, v9
	s_wait_dscnt 0x0
	v_dual_add_f32 v8, v8, v10 :: v_dual_add_f32 v9, v9, v19
	ds_bpermute_b32 v10, v15, v8
	;; [unrolled: 4-line block ×4, first 2 shown]
	ds_bpermute_b32 v19, v17, v9
	s_and_saveexec_b32 s2, s1
	s_cbranch_execz .LBB110_3
; %bb.16:                               ;   in Loop: Header=BB110_4 Depth=1
	s_wait_dscnt 0x0
	v_dual_add_f32 v8, v8, v10 :: v_dual_add_f32 v10, v9, v19
	v_add_nc_u32_e32 v9, s21, v11
	s_and_saveexec_b32 s3, s20
	s_delay_alu instid0(SALU_CYCLE_1)
	s_xor_b32 s3, exec_lo, s3
	s_cbranch_execz .LBB110_18
; %bb.17:                               ;   in Loop: Header=BB110_4 Depth=1
	v_pk_mul_f32 v[20:21], v[10:11], v[0:1] op_sel_hi:[0,1]
                                        ; implicit-def: $vgpr10
	s_delay_alu instid0(VALU_DEP_1)
	v_pk_fma_f32 v[20:21], v[2:3], v[8:9], v[20:21] op_sel_hi:[1,0,1]
                                        ; implicit-def: $vgpr8
	global_store_b64 v9, v[20:21], s[14:15] scale_offset
                                        ; implicit-def: $vgpr9
.LBB110_18:                             ;   in Loop: Header=BB110_4 Depth=1
	s_wait_xcnt 0x0
	s_and_not1_saveexec_b32 s3, s3
	s_cbranch_execz .LBB110_3
; %bb.19:                               ;   in Loop: Header=BB110_4 Depth=1
	global_load_b64 v[20:21], v9, s[14:15] scale_offset
	v_pk_mul_f32 v[22:23], v[10:11], v[0:1] op_sel_hi:[0,1]
	s_delay_alu instid0(VALU_DEP_1) | instskip(SKIP_1) | instid1(VALU_DEP_1)
	v_pk_fma_f32 v[22:23], v[2:3], v[8:9], v[22:23] op_sel_hi:[1,0,1]
	s_wait_loadcnt 0x0
	v_pk_fma_f32 v[22:23], v[4:5], v[20:21], v[22:23] op_sel_hi:[1,0,1]
	s_delay_alu instid0(VALU_DEP_1)
	v_pk_fma_f32 v[20:21], v[6:7], v[20:21], v[22:23] op_sel:[0,1,0]
	global_store_b64 v9, v[20:21], s[14:15] scale_offset
	s_branch .LBB110_3
.LBB110_20:
	s_endpgm
	.section	.rodata,"a",@progbits
	.p2align	6, 0x0
	.amdhsa_kernel _ZN9rocsparseL23gebsrmvn_general_kernelILj128ELj32E21rocsparse_complex_numIfEEEvi20rocsparse_direction_NS_24const_host_device_scalarIT1_EEPKiS8_PKS5_iiSA_S6_PS5_21rocsparse_index_base_b
		.amdhsa_group_segment_fixed_size 0
		.amdhsa_private_segment_fixed_size 0
		.amdhsa_kernarg_size 80
		.amdhsa_user_sgpr_count 2
		.amdhsa_user_sgpr_dispatch_ptr 0
		.amdhsa_user_sgpr_queue_ptr 0
		.amdhsa_user_sgpr_kernarg_segment_ptr 1
		.amdhsa_user_sgpr_dispatch_id 0
		.amdhsa_user_sgpr_kernarg_preload_length 0
		.amdhsa_user_sgpr_kernarg_preload_offset 0
		.amdhsa_user_sgpr_private_segment_size 0
		.amdhsa_wavefront_size32 1
		.amdhsa_uses_dynamic_stack 0
		.amdhsa_enable_private_segment 0
		.amdhsa_system_sgpr_workgroup_id_x 1
		.amdhsa_system_sgpr_workgroup_id_y 0
		.amdhsa_system_sgpr_workgroup_id_z 0
		.amdhsa_system_sgpr_workgroup_info 0
		.amdhsa_system_vgpr_workitem_id 0
		.amdhsa_next_free_vgpr 26
		.amdhsa_next_free_sgpr 28
		.amdhsa_named_barrier_count 0
		.amdhsa_reserve_vcc 1
		.amdhsa_float_round_mode_32 0
		.amdhsa_float_round_mode_16_64 0
		.amdhsa_float_denorm_mode_32 3
		.amdhsa_float_denorm_mode_16_64 3
		.amdhsa_fp16_overflow 0
		.amdhsa_memory_ordered 1
		.amdhsa_forward_progress 1
		.amdhsa_inst_pref_size 9
		.amdhsa_round_robin_scheduling 0
		.amdhsa_exception_fp_ieee_invalid_op 0
		.amdhsa_exception_fp_denorm_src 0
		.amdhsa_exception_fp_ieee_div_zero 0
		.amdhsa_exception_fp_ieee_overflow 0
		.amdhsa_exception_fp_ieee_underflow 0
		.amdhsa_exception_fp_ieee_inexact 0
		.amdhsa_exception_int_div_zero 0
	.end_amdhsa_kernel
	.section	.text._ZN9rocsparseL23gebsrmvn_general_kernelILj128ELj32E21rocsparse_complex_numIfEEEvi20rocsparse_direction_NS_24const_host_device_scalarIT1_EEPKiS8_PKS5_iiSA_S6_PS5_21rocsparse_index_base_b,"axG",@progbits,_ZN9rocsparseL23gebsrmvn_general_kernelILj128ELj32E21rocsparse_complex_numIfEEEvi20rocsparse_direction_NS_24const_host_device_scalarIT1_EEPKiS8_PKS5_iiSA_S6_PS5_21rocsparse_index_base_b,comdat
.Lfunc_end110:
	.size	_ZN9rocsparseL23gebsrmvn_general_kernelILj128ELj32E21rocsparse_complex_numIfEEEvi20rocsparse_direction_NS_24const_host_device_scalarIT1_EEPKiS8_PKS5_iiSA_S6_PS5_21rocsparse_index_base_b, .Lfunc_end110-_ZN9rocsparseL23gebsrmvn_general_kernelILj128ELj32E21rocsparse_complex_numIfEEEvi20rocsparse_direction_NS_24const_host_device_scalarIT1_EEPKiS8_PKS5_iiSA_S6_PS5_21rocsparse_index_base_b
                                        ; -- End function
	.set _ZN9rocsparseL23gebsrmvn_general_kernelILj128ELj32E21rocsparse_complex_numIfEEEvi20rocsparse_direction_NS_24const_host_device_scalarIT1_EEPKiS8_PKS5_iiSA_S6_PS5_21rocsparse_index_base_b.num_vgpr, 26
	.set _ZN9rocsparseL23gebsrmvn_general_kernelILj128ELj32E21rocsparse_complex_numIfEEEvi20rocsparse_direction_NS_24const_host_device_scalarIT1_EEPKiS8_PKS5_iiSA_S6_PS5_21rocsparse_index_base_b.num_agpr, 0
	.set _ZN9rocsparseL23gebsrmvn_general_kernelILj128ELj32E21rocsparse_complex_numIfEEEvi20rocsparse_direction_NS_24const_host_device_scalarIT1_EEPKiS8_PKS5_iiSA_S6_PS5_21rocsparse_index_base_b.numbered_sgpr, 28
	.set _ZN9rocsparseL23gebsrmvn_general_kernelILj128ELj32E21rocsparse_complex_numIfEEEvi20rocsparse_direction_NS_24const_host_device_scalarIT1_EEPKiS8_PKS5_iiSA_S6_PS5_21rocsparse_index_base_b.num_named_barrier, 0
	.set _ZN9rocsparseL23gebsrmvn_general_kernelILj128ELj32E21rocsparse_complex_numIfEEEvi20rocsparse_direction_NS_24const_host_device_scalarIT1_EEPKiS8_PKS5_iiSA_S6_PS5_21rocsparse_index_base_b.private_seg_size, 0
	.set _ZN9rocsparseL23gebsrmvn_general_kernelILj128ELj32E21rocsparse_complex_numIfEEEvi20rocsparse_direction_NS_24const_host_device_scalarIT1_EEPKiS8_PKS5_iiSA_S6_PS5_21rocsparse_index_base_b.uses_vcc, 1
	.set _ZN9rocsparseL23gebsrmvn_general_kernelILj128ELj32E21rocsparse_complex_numIfEEEvi20rocsparse_direction_NS_24const_host_device_scalarIT1_EEPKiS8_PKS5_iiSA_S6_PS5_21rocsparse_index_base_b.uses_flat_scratch, 1
	.set _ZN9rocsparseL23gebsrmvn_general_kernelILj128ELj32E21rocsparse_complex_numIfEEEvi20rocsparse_direction_NS_24const_host_device_scalarIT1_EEPKiS8_PKS5_iiSA_S6_PS5_21rocsparse_index_base_b.has_dyn_sized_stack, 0
	.set _ZN9rocsparseL23gebsrmvn_general_kernelILj128ELj32E21rocsparse_complex_numIfEEEvi20rocsparse_direction_NS_24const_host_device_scalarIT1_EEPKiS8_PKS5_iiSA_S6_PS5_21rocsparse_index_base_b.has_recursion, 0
	.set _ZN9rocsparseL23gebsrmvn_general_kernelILj128ELj32E21rocsparse_complex_numIfEEEvi20rocsparse_direction_NS_24const_host_device_scalarIT1_EEPKiS8_PKS5_iiSA_S6_PS5_21rocsparse_index_base_b.has_indirect_call, 0
	.section	.AMDGPU.csdata,"",@progbits
; Kernel info:
; codeLenInByte = 1104
; TotalNumSgprs: 30
; NumVgprs: 26
; ScratchSize: 0
; MemoryBound: 0
; FloatMode: 240
; IeeeMode: 1
; LDSByteSize: 0 bytes/workgroup (compile time only)
; SGPRBlocks: 0
; VGPRBlocks: 1
; NumSGPRsForWavesPerEU: 30
; NumVGPRsForWavesPerEU: 26
; NamedBarCnt: 0
; Occupancy: 16
; WaveLimiterHint : 1
; COMPUTE_PGM_RSRC2:SCRATCH_EN: 0
; COMPUTE_PGM_RSRC2:USER_SGPR: 2
; COMPUTE_PGM_RSRC2:TRAP_HANDLER: 0
; COMPUTE_PGM_RSRC2:TGID_X_EN: 1
; COMPUTE_PGM_RSRC2:TGID_Y_EN: 0
; COMPUTE_PGM_RSRC2:TGID_Z_EN: 0
; COMPUTE_PGM_RSRC2:TIDIG_COMP_CNT: 0
	.section	.text._ZN9rocsparseL19gebsrmvn_4xn_kernelILj128ELj1ELj4E21rocsparse_complex_numIdEEEvi20rocsparse_direction_NS_24const_host_device_scalarIT2_EEPKiS8_PKS5_SA_S6_PS5_21rocsparse_index_base_b,"axG",@progbits,_ZN9rocsparseL19gebsrmvn_4xn_kernelILj128ELj1ELj4E21rocsparse_complex_numIdEEEvi20rocsparse_direction_NS_24const_host_device_scalarIT2_EEPKiS8_PKS5_SA_S6_PS5_21rocsparse_index_base_b,comdat
	.globl	_ZN9rocsparseL19gebsrmvn_4xn_kernelILj128ELj1ELj4E21rocsparse_complex_numIdEEEvi20rocsparse_direction_NS_24const_host_device_scalarIT2_EEPKiS8_PKS5_SA_S6_PS5_21rocsparse_index_base_b ; -- Begin function _ZN9rocsparseL19gebsrmvn_4xn_kernelILj128ELj1ELj4E21rocsparse_complex_numIdEEEvi20rocsparse_direction_NS_24const_host_device_scalarIT2_EEPKiS8_PKS5_SA_S6_PS5_21rocsparse_index_base_b
	.p2align	8
	.type	_ZN9rocsparseL19gebsrmvn_4xn_kernelILj128ELj1ELj4E21rocsparse_complex_numIdEEEvi20rocsparse_direction_NS_24const_host_device_scalarIT2_EEPKiS8_PKS5_SA_S6_PS5_21rocsparse_index_base_b,@function
_ZN9rocsparseL19gebsrmvn_4xn_kernelILj128ELj1ELj4E21rocsparse_complex_numIdEEEvi20rocsparse_direction_NS_24const_host_device_scalarIT2_EEPKiS8_PKS5_SA_S6_PS5_21rocsparse_index_base_b: ; @_ZN9rocsparseL19gebsrmvn_4xn_kernelILj128ELj1ELj4E21rocsparse_complex_numIdEEEvi20rocsparse_direction_NS_24const_host_device_scalarIT2_EEPKiS8_PKS5_SA_S6_PS5_21rocsparse_index_base_b
; %bb.0:
	s_clause 0x1
	s_load_b64 s[12:13], s[0:1], 0x50
	s_load_b64 s[2:3], s[0:1], 0x8
	v_mov_b32_e32 v1, 0
	s_add_nc_u64 s[4:5], s[0:1], 8
	s_load_b64 s[6:7], s[0:1], 0x38
	s_wait_kmcnt 0x0
	s_bitcmp1_b32 s13, 0
	s_cselect_b32 s3, s5, s3
	s_cselect_b32 s2, s4, s2
	flat_load_b128 v[2:5], v1, s[2:3]
	s_wait_xcnt 0x0
	s_add_nc_u64 s[2:3], s[0:1], 56
	s_delay_alu instid0(SALU_CYCLE_1)
	s_cselect_b32 s3, s3, s7
	s_cselect_b32 s2, s2, s6
	flat_load_b128 v[6:9], v1, s[2:3]
	s_wait_loadcnt_dscnt 0x101
	v_cmp_eq_f64_e32 vcc_lo, 0, v[2:3]
	s_wait_xcnt 0x0
	v_cmp_eq_f64_e64 s2, 0, v[4:5]
	s_and_b32 s4, vcc_lo, s2
	s_mov_b32 s2, -1
	s_and_saveexec_b32 s3, s4
	s_cbranch_execz .LBB111_2
; %bb.1:
	s_wait_loadcnt_dscnt 0x0
	v_cmp_neq_f64_e32 vcc_lo, 1.0, v[6:7]
	v_cmp_neq_f64_e64 s2, 0, v[8:9]
	s_or_b32 s2, vcc_lo, s2
	s_delay_alu instid0(SALU_CYCLE_1)
	s_or_not1_b32 s2, s2, exec_lo
.LBB111_2:
	s_or_b32 exec_lo, exec_lo, s3
	s_and_saveexec_b32 s3, s2
	s_cbranch_execz .LBB111_21
; %bb.3:
	s_load_b64 s[2:3], s[0:1], 0x0
	s_bfe_u32 s4, ttmp6, 0x4000c
	s_and_b32 s5, ttmp6, 15
	s_add_co_i32 s4, s4, 1
	s_getreg_b32 s6, hwreg(HW_REG_IB_STS2, 6, 4)
	s_mul_i32 s4, ttmp9, s4
	v_lshrrev_b32_e32 v1, 2, v0
	s_add_co_i32 s5, s5, s4
	s_cmp_eq_u32 s6, 0
	s_cselect_b32 s4, ttmp9, s5
	s_delay_alu instid0(VALU_DEP_1) | instid1(SALU_CYCLE_1)
	v_lshl_or_b32 v10, s4, 5, v1
	s_wait_kmcnt 0x0
	s_delay_alu instid0(VALU_DEP_1)
	v_cmp_gt_i32_e32 vcc_lo, s2, v10
	s_and_b32 exec_lo, exec_lo, vcc_lo
	s_cbranch_execz .LBB111_21
; %bb.4:
	s_load_b256 s[4:11], s[0:1], 0x18
	v_ashrrev_i32_e32 v11, 31, v10
	s_cmp_lg_u32 s3, 0
	s_wait_kmcnt 0x0
	s_delay_alu instid0(VALU_DEP_1)
	v_lshl_add_u64 v[12:13], v[10:11], 2, s[4:5]
	v_and_b32_e32 v11, 3, v0
	global_load_b64 v[12:13], v[12:13], off
	s_wait_loadcnt 0x0
	v_subrev_nc_u32_e32 v0, s12, v12
	v_subrev_nc_u32_e32 v26, s12, v13
	s_delay_alu instid0(VALU_DEP_2) | instskip(NEXT) | instid1(VALU_DEP_1)
	v_add_nc_u32_e32 v27, v0, v11
	v_cmp_lt_i32_e64 s2, v27, v26
	s_cbranch_scc0 .LBB111_10
; %bb.5:
	v_mov_b64_e32 v[0:1], 0
	v_mov_b64_e32 v[14:15], 0
	;; [unrolled: 1-line block ×8, first 2 shown]
	s_and_saveexec_b32 s3, s2
	s_cbranch_execz .LBB111_9
; %bb.6:
	v_mov_b64_e32 v[0:1], 0
	v_mov_b64_e32 v[14:15], 0
	;; [unrolled: 1-line block ×8, first 2 shown]
	v_dual_mov_b32 v29, v27 :: v_dual_lshlrev_b32 v28, 2, v27
	s_mov_b32 s4, 0
.LBB111_7:                              ; =>This Inner Loop Header: Depth=1
	global_load_b32 v46, v29, s[6:7] scale_offset
	s_clause 0x3
	global_load_b128 v[30:33], v28, s[8:9] offset:48 scale_offset
	global_load_b128 v[34:37], v28, s[8:9] offset:32 scale_offset
	;; [unrolled: 1-line block ×3, first 2 shown]
	global_load_b128 v[42:45], v28, s[8:9] scale_offset
	s_wait_xcnt 0x0
	v_dual_add_nc_u32 v29, 4, v29 :: v_dual_add_nc_u32 v28, 16, v28
	s_delay_alu instid0(VALU_DEP_1)
	v_cmp_ge_i32_e32 vcc_lo, v29, v26
	s_or_b32 s4, vcc_lo, s4
	s_wait_loadcnt 0x4
	v_subrev_nc_u32_e32 v46, s12, v46
	global_load_b128 v[46:49], v46, s[10:11] scale_offset
	s_wait_loadcnt 0x0
	v_fmac_f64_e32 v[14:15], v[42:43], v[46:47]
	v_fmac_f64_e32 v[0:1], v[44:45], v[46:47]
	;; [unrolled: 1-line block ×8, first 2 shown]
	v_fma_f64 v[14:15], -v[44:45], v[48:49], v[14:15]
	v_fmac_f64_e32 v[0:1], v[42:43], v[48:49]
	v_fma_f64 v[22:23], -v[40:41], v[48:49], v[22:23]
	v_fmac_f64_e32 v[24:25], v[38:39], v[48:49]
	;; [unrolled: 2-line block ×4, first 2 shown]
	s_and_not1_b32 exec_lo, exec_lo, s4
	s_cbranch_execnz .LBB111_7
; %bb.8:
	s_or_b32 exec_lo, exec_lo, s4
.LBB111_9:
	s_delay_alu instid0(SALU_CYCLE_1)
	s_or_b32 exec_lo, exec_lo, s3
	s_cbranch_execz .LBB111_11
	s_branch .LBB111_16
.LBB111_10:
                                        ; implicit-def: $vgpr0_vgpr1
                                        ; implicit-def: $vgpr14_vgpr15
                                        ; implicit-def: $vgpr12_vgpr13
                                        ; implicit-def: $vgpr16_vgpr17
                                        ; implicit-def: $vgpr18_vgpr19
                                        ; implicit-def: $vgpr20_vgpr21
                                        ; implicit-def: $vgpr22_vgpr23
                                        ; implicit-def: $vgpr24_vgpr25
.LBB111_11:
	v_mov_b64_e32 v[0:1], 0
	v_mov_b64_e32 v[14:15], 0
	;; [unrolled: 1-line block ×8, first 2 shown]
	s_and_saveexec_b32 s3, s2
	s_cbranch_execz .LBB111_15
; %bb.12:
	v_mov_b64_e32 v[0:1], 0
	v_mov_b64_e32 v[14:15], 0
	;; [unrolled: 1-line block ×8, first 2 shown]
	v_lshlrev_b32_e32 v28, 2, v27
	s_mov_b32 s2, 0
.LBB111_13:                             ; =>This Inner Loop Header: Depth=1
	global_load_b32 v29, v27, s[6:7] scale_offset
	s_clause 0x3
	global_load_b128 v[30:33], v28, s[8:9] offset:48 scale_offset
	global_load_b128 v[34:37], v28, s[8:9] offset:32 scale_offset
	global_load_b128 v[38:41], v28, s[8:9] offset:16 scale_offset
	global_load_b128 v[42:45], v28, s[8:9] scale_offset
	s_wait_xcnt 0x0
	v_dual_add_nc_u32 v28, 16, v28 :: v_dual_add_nc_u32 v27, 4, v27
	s_delay_alu instid0(VALU_DEP_1)
	v_cmp_ge_i32_e32 vcc_lo, v27, v26
	s_or_b32 s2, vcc_lo, s2
	s_wait_loadcnt 0x4
	v_subrev_nc_u32_e32 v29, s12, v29
	global_load_b128 v[46:49], v29, s[10:11] scale_offset
	s_wait_loadcnt 0x0
	v_fmac_f64_e32 v[14:15], v[42:43], v[46:47]
	v_fmac_f64_e32 v[0:1], v[44:45], v[46:47]
	v_fmac_f64_e32 v[22:23], v[38:39], v[46:47]
	v_fmac_f64_e32 v[24:25], v[40:41], v[46:47]
	v_fmac_f64_e32 v[18:19], v[34:35], v[46:47]
	v_fmac_f64_e32 v[20:21], v[36:37], v[46:47]
	v_fmac_f64_e32 v[12:13], v[30:31], v[46:47]
	v_fmac_f64_e32 v[16:17], v[32:33], v[46:47]
	v_fma_f64 v[14:15], -v[44:45], v[48:49], v[14:15]
	v_fmac_f64_e32 v[0:1], v[42:43], v[48:49]
	v_fma_f64 v[22:23], -v[40:41], v[48:49], v[22:23]
	v_fmac_f64_e32 v[24:25], v[38:39], v[48:49]
	;; [unrolled: 2-line block ×4, first 2 shown]
	s_and_not1_b32 exec_lo, exec_lo, s2
	s_cbranch_execnz .LBB111_13
; %bb.14:
	s_or_b32 exec_lo, exec_lo, s2
.LBB111_15:
	s_delay_alu instid0(SALU_CYCLE_1)
	s_or_b32 exec_lo, exec_lo, s3
.LBB111_16:
	v_mbcnt_lo_u32_b32 v46, -1, 0
	s_delay_alu instid0(VALU_DEP_1) | instskip(NEXT) | instid1(VALU_DEP_1)
	v_xor_b32_e32 v26, 2, v46
	v_cmp_gt_i32_e32 vcc_lo, 32, v26
	v_cndmask_b32_e32 v26, v46, v26, vcc_lo
	s_delay_alu instid0(VALU_DEP_1)
	v_lshlrev_b32_e32 v30, 2, v26
	ds_bpermute_b32 v40, v30, v20
	ds_bpermute_b32 v41, v30, v21
	s_wait_dscnt 0x0
	v_add_f64_e32 v[20:21], v[20:21], v[40:41]
	ds_bpermute_b32 v28, v30, v0
	ds_bpermute_b32 v29, v30, v1
	;; [unrolled: 1-line block ×14, first 2 shown]
	s_wait_dscnt 0xc
	v_dual_add_f64 v[30:31], v[0:1], v[28:29] :: v_dual_bitop2_b32 v0, 1, v46 bitop3:0x14
	s_wait_dscnt 0x8
	v_add_f64_e32 v[28:29], v[22:23], v[34:35]
	s_delay_alu instid0(VALU_DEP_2)
	v_cmp_gt_i32_e32 vcc_lo, 32, v0
	s_wait_dscnt 0x6
	v_add_f64_e32 v[22:23], v[24:25], v[36:37]
	v_cndmask_b32_e32 v0, v46, v0, vcc_lo
	v_add_f64_e32 v[32:33], v[14:15], v[26:27]
	s_wait_dscnt 0x4
	v_add_f64_e32 v[14:15], v[18:19], v[38:39]
	s_wait_dscnt 0x2
	v_add_f64_e32 v[18:19], v[12:13], v[42:43]
	s_wait_dscnt 0x0
	v_add_f64_e32 v[26:27], v[16:17], v[44:45]
	v_lshlrev_b32_e32 v35, 2, v0
	v_cmp_eq_u32_e32 vcc_lo, 3, v11
	ds_bpermute_b32 v36, v35, v20
	ds_bpermute_b32 v37, v35, v21
	;; [unrolled: 1-line block ×16, first 2 shown]
	s_and_b32 exec_lo, exec_lo, vcc_lo
	s_cbranch_execz .LBB111_21
; %bb.17:
	v_cmp_eq_f64_e32 vcc_lo, 0, v[6:7]
	v_cmp_eq_f64_e64 s2, 0, v[8:9]
	s_wait_dscnt 0x6
	v_add_f64_e32 v[0:1], v[32:33], v[0:1]
	v_add_f64_e32 v[24:25], v[30:31], v[24:25]
	;; [unrolled: 1-line block ×4, first 2 shown]
	s_wait_dscnt 0x4
	v_add_f64_e32 v[14:15], v[14:15], v[38:39]
	v_add_f64_e32 v[20:21], v[20:21], v[36:37]
	s_wait_dscnt 0x2
	v_add_f64_e32 v[16:17], v[18:19], v[16:17]
	s_wait_dscnt 0x0
	v_add_f64_e32 v[18:19], v[26:27], v[34:35]
	s_load_b64 s[0:1], s[0:1], 0x48
	s_and_b32 s2, vcc_lo, s2
	s_delay_alu instid0(SALU_CYCLE_1) | instskip(NEXT) | instid1(SALU_CYCLE_1)
	s_and_saveexec_b32 s3, s2
	s_xor_b32 s2, exec_lo, s3
	s_cbranch_execz .LBB111_19
; %bb.18:
	v_mul_f64_e64 v[6:7], v[24:25], -v[4:5]
	v_mul_f64_e32 v[8:9], v[2:3], v[24:25]
	v_mul_f64_e64 v[24:25], v[22:23], -v[4:5]
	v_mul_f64_e32 v[26:27], v[2:3], v[22:23]
	;; [unrolled: 2-line block ×4, first 2 shown]
                                        ; implicit-def: $vgpr18_vgpr19
	v_fmac_f64_e32 v[6:7], v[2:3], v[0:1]
	v_fmac_f64_e32 v[8:9], v[4:5], v[0:1]
	;; [unrolled: 1-line block ×8, first 2 shown]
	v_lshlrev_b32_e32 v0, 2, v10
                                        ; implicit-def: $vgpr10
                                        ; implicit-def: $vgpr12_vgpr13
                                        ; implicit-def: $vgpr14_vgpr15
                                        ; implicit-def: $vgpr16_vgpr17
                                        ; implicit-def: $vgpr4_vgpr5
	s_wait_kmcnt 0x0
	s_clause 0x3
	global_store_b128 v0, v[6:9], s[0:1] scale_offset
	global_store_b128 v0, v[24:27], s[0:1] offset:16 scale_offset
	global_store_b128 v0, v[28:31], s[0:1] offset:32 scale_offset
	;; [unrolled: 1-line block ×3, first 2 shown]
                                        ; implicit-def: $vgpr0_vgpr1
                                        ; implicit-def: $vgpr24_vgpr25
                                        ; implicit-def: $vgpr22_vgpr23
                                        ; implicit-def: $vgpr20_vgpr21
                                        ; implicit-def: $vgpr8_vgpr9
.LBB111_19:
	s_wait_xcnt 0x0
	s_and_not1_saveexec_b32 s2, s2
	s_cbranch_execz .LBB111_21
; %bb.20:
	v_dual_mul_f64 v[42:43], v[24:25], -v[4:5] :: v_dual_lshlrev_b32 v52, 2, v10
	v_mul_f64_e32 v[24:25], v[2:3], v[24:25]
	v_mul_f64_e64 v[46:47], v[22:23], -v[4:5]
	v_mul_f64_e32 v[44:45], v[2:3], v[22:23]
	s_wait_kmcnt 0x0
	s_clause 0x3
	global_load_b128 v[26:29], v52, s[0:1] scale_offset
	global_load_b128 v[30:33], v52, s[0:1] offset:16 scale_offset
	global_load_b128 v[34:37], v52, s[0:1] offset:32 scale_offset
	;; [unrolled: 1-line block ×3, first 2 shown]
	v_mul_f64_e64 v[48:49], v[20:21], -v[4:5]
	v_mul_f64_e32 v[20:21], v[2:3], v[20:21]
	v_mul_f64_e64 v[50:51], v[18:19], -v[4:5]
	v_mul_f64_e32 v[10:11], v[2:3], v[18:19]
	v_fmac_f64_e32 v[42:43], v[2:3], v[0:1]
	v_fmac_f64_e32 v[24:25], v[4:5], v[0:1]
	;; [unrolled: 1-line block ×8, first 2 shown]
	s_wait_loadcnt 0x3
	v_fmac_f64_e32 v[42:43], v[6:7], v[26:27]
	v_fmac_f64_e32 v[24:25], v[8:9], v[26:27]
	s_wait_loadcnt 0x2
	v_fmac_f64_e32 v[46:47], v[6:7], v[30:31]
	v_fmac_f64_e32 v[44:45], v[8:9], v[30:31]
	;; [unrolled: 3-line block ×4, first 2 shown]
	v_fma_f64 v[22:23], -v[8:9], v[28:29], v[42:43]
	v_fmac_f64_e32 v[24:25], v[6:7], v[28:29]
	v_fma_f64 v[42:43], -v[8:9], v[32:33], v[46:47]
	v_fmac_f64_e32 v[44:45], v[6:7], v[32:33]
	;; [unrolled: 2-line block ×4, first 2 shown]
	s_clause 0x3
	global_store_b128 v52, v[22:25], s[0:1] scale_offset
	global_store_b128 v52, v[42:45], s[0:1] offset:16 scale_offset
	global_store_b128 v52, v[18:21], s[0:1] offset:32 scale_offset
	global_store_b128 v52, v[8:11], s[0:1] offset:48 scale_offset
.LBB111_21:
	s_endpgm
	.section	.rodata,"a",@progbits
	.p2align	6, 0x0
	.amdhsa_kernel _ZN9rocsparseL19gebsrmvn_4xn_kernelILj128ELj1ELj4E21rocsparse_complex_numIdEEEvi20rocsparse_direction_NS_24const_host_device_scalarIT2_EEPKiS8_PKS5_SA_S6_PS5_21rocsparse_index_base_b
		.amdhsa_group_segment_fixed_size 0
		.amdhsa_private_segment_fixed_size 0
		.amdhsa_kernarg_size 88
		.amdhsa_user_sgpr_count 2
		.amdhsa_user_sgpr_dispatch_ptr 0
		.amdhsa_user_sgpr_queue_ptr 0
		.amdhsa_user_sgpr_kernarg_segment_ptr 1
		.amdhsa_user_sgpr_dispatch_id 0
		.amdhsa_user_sgpr_kernarg_preload_length 0
		.amdhsa_user_sgpr_kernarg_preload_offset 0
		.amdhsa_user_sgpr_private_segment_size 0
		.amdhsa_wavefront_size32 1
		.amdhsa_uses_dynamic_stack 0
		.amdhsa_enable_private_segment 0
		.amdhsa_system_sgpr_workgroup_id_x 1
		.amdhsa_system_sgpr_workgroup_id_y 0
		.amdhsa_system_sgpr_workgroup_id_z 0
		.amdhsa_system_sgpr_workgroup_info 0
		.amdhsa_system_vgpr_workitem_id 0
		.amdhsa_next_free_vgpr 53
		.amdhsa_next_free_sgpr 14
		.amdhsa_named_barrier_count 0
		.amdhsa_reserve_vcc 1
		.amdhsa_float_round_mode_32 0
		.amdhsa_float_round_mode_16_64 0
		.amdhsa_float_denorm_mode_32 3
		.amdhsa_float_denorm_mode_16_64 3
		.amdhsa_fp16_overflow 0
		.amdhsa_memory_ordered 1
		.amdhsa_forward_progress 1
		.amdhsa_inst_pref_size 15
		.amdhsa_round_robin_scheduling 0
		.amdhsa_exception_fp_ieee_invalid_op 0
		.amdhsa_exception_fp_denorm_src 0
		.amdhsa_exception_fp_ieee_div_zero 0
		.amdhsa_exception_fp_ieee_overflow 0
		.amdhsa_exception_fp_ieee_underflow 0
		.amdhsa_exception_fp_ieee_inexact 0
		.amdhsa_exception_int_div_zero 0
	.end_amdhsa_kernel
	.section	.text._ZN9rocsparseL19gebsrmvn_4xn_kernelILj128ELj1ELj4E21rocsparse_complex_numIdEEEvi20rocsparse_direction_NS_24const_host_device_scalarIT2_EEPKiS8_PKS5_SA_S6_PS5_21rocsparse_index_base_b,"axG",@progbits,_ZN9rocsparseL19gebsrmvn_4xn_kernelILj128ELj1ELj4E21rocsparse_complex_numIdEEEvi20rocsparse_direction_NS_24const_host_device_scalarIT2_EEPKiS8_PKS5_SA_S6_PS5_21rocsparse_index_base_b,comdat
.Lfunc_end111:
	.size	_ZN9rocsparseL19gebsrmvn_4xn_kernelILj128ELj1ELj4E21rocsparse_complex_numIdEEEvi20rocsparse_direction_NS_24const_host_device_scalarIT2_EEPKiS8_PKS5_SA_S6_PS5_21rocsparse_index_base_b, .Lfunc_end111-_ZN9rocsparseL19gebsrmvn_4xn_kernelILj128ELj1ELj4E21rocsparse_complex_numIdEEEvi20rocsparse_direction_NS_24const_host_device_scalarIT2_EEPKiS8_PKS5_SA_S6_PS5_21rocsparse_index_base_b
                                        ; -- End function
	.set _ZN9rocsparseL19gebsrmvn_4xn_kernelILj128ELj1ELj4E21rocsparse_complex_numIdEEEvi20rocsparse_direction_NS_24const_host_device_scalarIT2_EEPKiS8_PKS5_SA_S6_PS5_21rocsparse_index_base_b.num_vgpr, 53
	.set _ZN9rocsparseL19gebsrmvn_4xn_kernelILj128ELj1ELj4E21rocsparse_complex_numIdEEEvi20rocsparse_direction_NS_24const_host_device_scalarIT2_EEPKiS8_PKS5_SA_S6_PS5_21rocsparse_index_base_b.num_agpr, 0
	.set _ZN9rocsparseL19gebsrmvn_4xn_kernelILj128ELj1ELj4E21rocsparse_complex_numIdEEEvi20rocsparse_direction_NS_24const_host_device_scalarIT2_EEPKiS8_PKS5_SA_S6_PS5_21rocsparse_index_base_b.numbered_sgpr, 14
	.set _ZN9rocsparseL19gebsrmvn_4xn_kernelILj128ELj1ELj4E21rocsparse_complex_numIdEEEvi20rocsparse_direction_NS_24const_host_device_scalarIT2_EEPKiS8_PKS5_SA_S6_PS5_21rocsparse_index_base_b.num_named_barrier, 0
	.set _ZN9rocsparseL19gebsrmvn_4xn_kernelILj128ELj1ELj4E21rocsparse_complex_numIdEEEvi20rocsparse_direction_NS_24const_host_device_scalarIT2_EEPKiS8_PKS5_SA_S6_PS5_21rocsparse_index_base_b.private_seg_size, 0
	.set _ZN9rocsparseL19gebsrmvn_4xn_kernelILj128ELj1ELj4E21rocsparse_complex_numIdEEEvi20rocsparse_direction_NS_24const_host_device_scalarIT2_EEPKiS8_PKS5_SA_S6_PS5_21rocsparse_index_base_b.uses_vcc, 1
	.set _ZN9rocsparseL19gebsrmvn_4xn_kernelILj128ELj1ELj4E21rocsparse_complex_numIdEEEvi20rocsparse_direction_NS_24const_host_device_scalarIT2_EEPKiS8_PKS5_SA_S6_PS5_21rocsparse_index_base_b.uses_flat_scratch, 0
	.set _ZN9rocsparseL19gebsrmvn_4xn_kernelILj128ELj1ELj4E21rocsparse_complex_numIdEEEvi20rocsparse_direction_NS_24const_host_device_scalarIT2_EEPKiS8_PKS5_SA_S6_PS5_21rocsparse_index_base_b.has_dyn_sized_stack, 0
	.set _ZN9rocsparseL19gebsrmvn_4xn_kernelILj128ELj1ELj4E21rocsparse_complex_numIdEEEvi20rocsparse_direction_NS_24const_host_device_scalarIT2_EEPKiS8_PKS5_SA_S6_PS5_21rocsparse_index_base_b.has_recursion, 0
	.set _ZN9rocsparseL19gebsrmvn_4xn_kernelILj128ELj1ELj4E21rocsparse_complex_numIdEEEvi20rocsparse_direction_NS_24const_host_device_scalarIT2_EEPKiS8_PKS5_SA_S6_PS5_21rocsparse_index_base_b.has_indirect_call, 0
	.section	.AMDGPU.csdata,"",@progbits
; Kernel info:
; codeLenInByte = 1852
; TotalNumSgprs: 16
; NumVgprs: 53
; ScratchSize: 0
; MemoryBound: 0
; FloatMode: 240
; IeeeMode: 1
; LDSByteSize: 0 bytes/workgroup (compile time only)
; SGPRBlocks: 0
; VGPRBlocks: 3
; NumSGPRsForWavesPerEU: 16
; NumVGPRsForWavesPerEU: 53
; NamedBarCnt: 0
; Occupancy: 16
; WaveLimiterHint : 1
; COMPUTE_PGM_RSRC2:SCRATCH_EN: 0
; COMPUTE_PGM_RSRC2:USER_SGPR: 2
; COMPUTE_PGM_RSRC2:TRAP_HANDLER: 0
; COMPUTE_PGM_RSRC2:TGID_X_EN: 1
; COMPUTE_PGM_RSRC2:TGID_Y_EN: 0
; COMPUTE_PGM_RSRC2:TGID_Z_EN: 0
; COMPUTE_PGM_RSRC2:TIDIG_COMP_CNT: 0
	.section	.text._ZN9rocsparseL19gebsrmvn_4xn_kernelILj128ELj1ELj8E21rocsparse_complex_numIdEEEvi20rocsparse_direction_NS_24const_host_device_scalarIT2_EEPKiS8_PKS5_SA_S6_PS5_21rocsparse_index_base_b,"axG",@progbits,_ZN9rocsparseL19gebsrmvn_4xn_kernelILj128ELj1ELj8E21rocsparse_complex_numIdEEEvi20rocsparse_direction_NS_24const_host_device_scalarIT2_EEPKiS8_PKS5_SA_S6_PS5_21rocsparse_index_base_b,comdat
	.globl	_ZN9rocsparseL19gebsrmvn_4xn_kernelILj128ELj1ELj8E21rocsparse_complex_numIdEEEvi20rocsparse_direction_NS_24const_host_device_scalarIT2_EEPKiS8_PKS5_SA_S6_PS5_21rocsparse_index_base_b ; -- Begin function _ZN9rocsparseL19gebsrmvn_4xn_kernelILj128ELj1ELj8E21rocsparse_complex_numIdEEEvi20rocsparse_direction_NS_24const_host_device_scalarIT2_EEPKiS8_PKS5_SA_S6_PS5_21rocsparse_index_base_b
	.p2align	8
	.type	_ZN9rocsparseL19gebsrmvn_4xn_kernelILj128ELj1ELj8E21rocsparse_complex_numIdEEEvi20rocsparse_direction_NS_24const_host_device_scalarIT2_EEPKiS8_PKS5_SA_S6_PS5_21rocsparse_index_base_b,@function
_ZN9rocsparseL19gebsrmvn_4xn_kernelILj128ELj1ELj8E21rocsparse_complex_numIdEEEvi20rocsparse_direction_NS_24const_host_device_scalarIT2_EEPKiS8_PKS5_SA_S6_PS5_21rocsparse_index_base_b: ; @_ZN9rocsparseL19gebsrmvn_4xn_kernelILj128ELj1ELj8E21rocsparse_complex_numIdEEEvi20rocsparse_direction_NS_24const_host_device_scalarIT2_EEPKiS8_PKS5_SA_S6_PS5_21rocsparse_index_base_b
; %bb.0:
	s_clause 0x1
	s_load_b64 s[12:13], s[0:1], 0x50
	s_load_b64 s[2:3], s[0:1], 0x8
	v_mov_b32_e32 v1, 0
	s_add_nc_u64 s[4:5], s[0:1], 8
	s_load_b64 s[6:7], s[0:1], 0x38
	s_wait_kmcnt 0x0
	s_bitcmp1_b32 s13, 0
	s_cselect_b32 s3, s5, s3
	s_cselect_b32 s2, s4, s2
	flat_load_b128 v[2:5], v1, s[2:3]
	s_wait_xcnt 0x0
	s_add_nc_u64 s[2:3], s[0:1], 56
	s_delay_alu instid0(SALU_CYCLE_1)
	s_cselect_b32 s3, s3, s7
	s_cselect_b32 s2, s2, s6
	flat_load_b128 v[6:9], v1, s[2:3]
	s_wait_loadcnt_dscnt 0x101
	v_cmp_eq_f64_e32 vcc_lo, 0, v[2:3]
	s_wait_xcnt 0x0
	v_cmp_eq_f64_e64 s2, 0, v[4:5]
	s_and_b32 s4, vcc_lo, s2
	s_mov_b32 s2, -1
	s_and_saveexec_b32 s3, s4
	s_cbranch_execz .LBB112_2
; %bb.1:
	s_wait_loadcnt_dscnt 0x0
	v_cmp_neq_f64_e32 vcc_lo, 1.0, v[6:7]
	v_cmp_neq_f64_e64 s2, 0, v[8:9]
	s_or_b32 s2, vcc_lo, s2
	s_delay_alu instid0(SALU_CYCLE_1)
	s_or_not1_b32 s2, s2, exec_lo
.LBB112_2:
	s_or_b32 exec_lo, exec_lo, s3
	s_and_saveexec_b32 s3, s2
	s_cbranch_execz .LBB112_21
; %bb.3:
	s_load_b64 s[2:3], s[0:1], 0x0
	s_bfe_u32 s4, ttmp6, 0x4000c
	s_and_b32 s5, ttmp6, 15
	s_add_co_i32 s4, s4, 1
	s_getreg_b32 s6, hwreg(HW_REG_IB_STS2, 6, 4)
	s_mul_i32 s4, ttmp9, s4
	v_lshrrev_b32_e32 v1, 3, v0
	s_add_co_i32 s5, s5, s4
	s_cmp_eq_u32 s6, 0
	s_cselect_b32 s4, ttmp9, s5
	s_delay_alu instid0(VALU_DEP_1) | instid1(SALU_CYCLE_1)
	v_lshl_or_b32 v10, s4, 4, v1
	s_wait_kmcnt 0x0
	s_delay_alu instid0(VALU_DEP_1)
	v_cmp_gt_i32_e32 vcc_lo, s2, v10
	s_and_b32 exec_lo, exec_lo, vcc_lo
	s_cbranch_execz .LBB112_21
; %bb.4:
	s_load_b256 s[4:11], s[0:1], 0x18
	v_ashrrev_i32_e32 v11, 31, v10
	s_cmp_lg_u32 s3, 0
	s_wait_kmcnt 0x0
	s_delay_alu instid0(VALU_DEP_1)
	v_lshl_add_u64 v[12:13], v[10:11], 2, s[4:5]
	v_and_b32_e32 v11, 7, v0
	global_load_b64 v[12:13], v[12:13], off
	s_wait_loadcnt 0x0
	v_subrev_nc_u32_e32 v0, s12, v12
	v_subrev_nc_u32_e32 v26, s12, v13
	s_delay_alu instid0(VALU_DEP_2) | instskip(NEXT) | instid1(VALU_DEP_1)
	v_add_nc_u32_e32 v27, v0, v11
	v_cmp_lt_i32_e64 s2, v27, v26
	s_cbranch_scc0 .LBB112_10
; %bb.5:
	v_mov_b64_e32 v[0:1], 0
	v_mov_b64_e32 v[14:15], 0
	;; [unrolled: 1-line block ×8, first 2 shown]
	s_and_saveexec_b32 s3, s2
	s_cbranch_execz .LBB112_9
; %bb.6:
	v_mov_b64_e32 v[0:1], 0
	v_mov_b64_e32 v[14:15], 0
	;; [unrolled: 1-line block ×8, first 2 shown]
	v_dual_mov_b32 v29, v27 :: v_dual_lshlrev_b32 v28, 2, v27
	s_mov_b32 s4, 0
.LBB112_7:                              ; =>This Inner Loop Header: Depth=1
	global_load_b32 v46, v29, s[6:7] scale_offset
	s_clause 0x3
	global_load_b128 v[30:33], v28, s[8:9] offset:48 scale_offset
	global_load_b128 v[34:37], v28, s[8:9] offset:32 scale_offset
	;; [unrolled: 1-line block ×3, first 2 shown]
	global_load_b128 v[42:45], v28, s[8:9] scale_offset
	s_wait_xcnt 0x0
	v_dual_add_nc_u32 v29, 8, v29 :: v_dual_add_nc_u32 v28, 32, v28
	s_delay_alu instid0(VALU_DEP_1)
	v_cmp_ge_i32_e32 vcc_lo, v29, v26
	s_or_b32 s4, vcc_lo, s4
	s_wait_loadcnt 0x4
	v_subrev_nc_u32_e32 v46, s12, v46
	global_load_b128 v[46:49], v46, s[10:11] scale_offset
	s_wait_loadcnt 0x0
	v_fmac_f64_e32 v[14:15], v[42:43], v[46:47]
	v_fmac_f64_e32 v[0:1], v[44:45], v[46:47]
	;; [unrolled: 1-line block ×8, first 2 shown]
	v_fma_f64 v[14:15], -v[44:45], v[48:49], v[14:15]
	v_fmac_f64_e32 v[0:1], v[42:43], v[48:49]
	v_fma_f64 v[22:23], -v[40:41], v[48:49], v[22:23]
	v_fmac_f64_e32 v[24:25], v[38:39], v[48:49]
	v_fma_f64 v[18:19], -v[36:37], v[48:49], v[18:19]
	v_fmac_f64_e32 v[20:21], v[34:35], v[48:49]
	v_fma_f64 v[12:13], -v[32:33], v[48:49], v[12:13]
	v_fmac_f64_e32 v[16:17], v[30:31], v[48:49]
	s_and_not1_b32 exec_lo, exec_lo, s4
	s_cbranch_execnz .LBB112_7
; %bb.8:
	s_or_b32 exec_lo, exec_lo, s4
.LBB112_9:
	s_delay_alu instid0(SALU_CYCLE_1)
	s_or_b32 exec_lo, exec_lo, s3
	s_cbranch_execz .LBB112_11
	s_branch .LBB112_16
.LBB112_10:
                                        ; implicit-def: $vgpr0_vgpr1
                                        ; implicit-def: $vgpr14_vgpr15
                                        ; implicit-def: $vgpr12_vgpr13
                                        ; implicit-def: $vgpr16_vgpr17
                                        ; implicit-def: $vgpr18_vgpr19
                                        ; implicit-def: $vgpr20_vgpr21
                                        ; implicit-def: $vgpr22_vgpr23
                                        ; implicit-def: $vgpr24_vgpr25
.LBB112_11:
	v_mov_b64_e32 v[0:1], 0
	v_mov_b64_e32 v[14:15], 0
	;; [unrolled: 1-line block ×8, first 2 shown]
	s_and_saveexec_b32 s3, s2
	s_cbranch_execz .LBB112_15
; %bb.12:
	v_mov_b64_e32 v[0:1], 0
	v_mov_b64_e32 v[14:15], 0
	;; [unrolled: 1-line block ×8, first 2 shown]
	v_lshlrev_b32_e32 v28, 2, v27
	s_mov_b32 s2, 0
.LBB112_13:                             ; =>This Inner Loop Header: Depth=1
	global_load_b32 v29, v27, s[6:7] scale_offset
	s_clause 0x3
	global_load_b128 v[30:33], v28, s[8:9] offset:48 scale_offset
	global_load_b128 v[34:37], v28, s[8:9] offset:32 scale_offset
	;; [unrolled: 1-line block ×3, first 2 shown]
	global_load_b128 v[42:45], v28, s[8:9] scale_offset
	s_wait_xcnt 0x0
	v_dual_add_nc_u32 v28, 32, v28 :: v_dual_add_nc_u32 v27, 8, v27
	s_delay_alu instid0(VALU_DEP_1)
	v_cmp_ge_i32_e32 vcc_lo, v27, v26
	s_or_b32 s2, vcc_lo, s2
	s_wait_loadcnt 0x4
	v_subrev_nc_u32_e32 v29, s12, v29
	global_load_b128 v[46:49], v29, s[10:11] scale_offset
	s_wait_loadcnt 0x0
	v_fmac_f64_e32 v[14:15], v[42:43], v[46:47]
	v_fmac_f64_e32 v[0:1], v[44:45], v[46:47]
	;; [unrolled: 1-line block ×8, first 2 shown]
	v_fma_f64 v[14:15], -v[44:45], v[48:49], v[14:15]
	v_fmac_f64_e32 v[0:1], v[42:43], v[48:49]
	v_fma_f64 v[22:23], -v[40:41], v[48:49], v[22:23]
	v_fmac_f64_e32 v[24:25], v[38:39], v[48:49]
	;; [unrolled: 2-line block ×4, first 2 shown]
	s_and_not1_b32 exec_lo, exec_lo, s2
	s_cbranch_execnz .LBB112_13
; %bb.14:
	s_or_b32 exec_lo, exec_lo, s2
.LBB112_15:
	s_delay_alu instid0(SALU_CYCLE_1)
	s_or_b32 exec_lo, exec_lo, s3
.LBB112_16:
	v_mbcnt_lo_u32_b32 v44, -1, 0
	s_delay_alu instid0(VALU_DEP_1) | instskip(NEXT) | instid1(VALU_DEP_1)
	v_xor_b32_e32 v26, 4, v44
	v_cmp_gt_i32_e32 vcc_lo, 32, v26
	v_cndmask_b32_e32 v26, v44, v26, vcc_lo
	s_delay_alu instid0(VALU_DEP_1)
	v_lshlrev_b32_e32 v41, 2, v26
	ds_bpermute_b32 v26, v41, v14
	ds_bpermute_b32 v27, v41, v15
	;; [unrolled: 1-line block ×4, first 2 shown]
	s_wait_dscnt 0x2
	v_add_f64_e32 v[14:15], v[14:15], v[26:27]
	s_wait_dscnt 0x0
	v_add_f64_e32 v[26:27], v[0:1], v[28:29]
	ds_bpermute_b32 v30, v41, v22
	ds_bpermute_b32 v31, v41, v23
	;; [unrolled: 1-line block ×12, first 2 shown]
	v_xor_b32_e32 v0, 2, v44
	s_delay_alu instid0(VALU_DEP_1)
	v_cmp_gt_i32_e32 vcc_lo, 32, v0
	s_wait_dscnt 0xa
	v_dual_add_f64 v[22:23], v[22:23], v[30:31] :: v_dual_cndmask_b32 v0, v44, v0, vcc_lo
	s_wait_dscnt 0x8
	v_add_f64_e32 v[28:29], v[24:25], v[32:33]
	s_wait_dscnt 0x6
	s_delay_alu instid0(VALU_DEP_2)
	v_dual_add_f64 v[18:19], v[18:19], v[34:35] :: v_dual_lshlrev_b32 v24, 2, v0
	s_wait_dscnt 0x4
	v_add_f64_e32 v[20:21], v[20:21], v[36:37]
	s_wait_dscnt 0x2
	v_add_f64_e32 v[30:31], v[12:13], v[38:39]
	;; [unrolled: 2-line block ×3, first 2 shown]
	ds_bpermute_b32 v12, v24, v26
	ds_bpermute_b32 v13, v24, v27
	;; [unrolled: 1-line block ×16, first 2 shown]
	s_wait_dscnt 0xe
	v_add_f64_e32 v[24:25], v[26:27], v[12:13]
	v_xor_b32_e32 v26, 1, v44
	s_delay_alu instid0(VALU_DEP_1)
	v_cmp_gt_i32_e32 vcc_lo, 32, v26
	s_wait_dscnt 0xc
	v_add_f64_e32 v[0:1], v[14:15], v[0:1]
	s_wait_dscnt 0xa
	v_add_f64_e32 v[12:13], v[22:23], v[16:17]
	;; [unrolled: 2-line block ×3, first 2 shown]
	s_wait_dscnt 0x6
	v_dual_add_f64 v[14:15], v[18:19], v[36:37] :: v_dual_cndmask_b32 v26, v44, v26, vcc_lo
	v_cmp_eq_u32_e32 vcc_lo, 7, v11
	s_delay_alu instid0(VALU_DEP_2)
	v_lshlrev_b32_e32 v29, 2, v26
	s_wait_dscnt 0x4
	v_add_f64_e32 v[20:21], v[20:21], v[38:39]
	s_wait_dscnt 0x2
	v_add_f64_e32 v[16:17], v[30:31], v[40:41]
	;; [unrolled: 2-line block ×3, first 2 shown]
	ds_bpermute_b32 v38, v29, v24
	ds_bpermute_b32 v39, v29, v25
	;; [unrolled: 1-line block ×16, first 2 shown]
	s_and_b32 exec_lo, exec_lo, vcc_lo
	s_cbranch_execz .LBB112_21
; %bb.17:
	v_cmp_eq_f64_e32 vcc_lo, 0, v[6:7]
	v_cmp_eq_f64_e64 s2, 0, v[8:9]
	s_wait_dscnt 0xc
	v_add_f64_e32 v[0:1], v[0:1], v[40:41]
	v_add_f64_e32 v[24:25], v[24:25], v[38:39]
	s_wait_dscnt 0xa
	v_add_f64_e32 v[12:13], v[12:13], v[36:37]
	s_wait_dscnt 0x8
	;; [unrolled: 2-line block ×6, first 2 shown]
	v_add_f64_e32 v[18:19], v[18:19], v[28:29]
	s_load_b64 s[0:1], s[0:1], 0x48
	s_and_b32 s2, vcc_lo, s2
	s_delay_alu instid0(SALU_CYCLE_1) | instskip(NEXT) | instid1(SALU_CYCLE_1)
	s_and_saveexec_b32 s3, s2
	s_xor_b32 s2, exec_lo, s3
	s_cbranch_execz .LBB112_19
; %bb.18:
	v_mul_f64_e64 v[6:7], v[24:25], -v[4:5]
	v_mul_f64_e32 v[8:9], v[2:3], v[24:25]
	v_mul_f64_e64 v[24:25], v[22:23], -v[4:5]
	v_mul_f64_e32 v[26:27], v[2:3], v[22:23]
	;; [unrolled: 2-line block ×4, first 2 shown]
                                        ; implicit-def: $vgpr18_vgpr19
	v_fmac_f64_e32 v[6:7], v[2:3], v[0:1]
	v_fmac_f64_e32 v[8:9], v[4:5], v[0:1]
	;; [unrolled: 1-line block ×8, first 2 shown]
	v_lshlrev_b32_e32 v0, 2, v10
                                        ; implicit-def: $vgpr10
                                        ; implicit-def: $vgpr12_vgpr13
                                        ; implicit-def: $vgpr14_vgpr15
                                        ; implicit-def: $vgpr16_vgpr17
                                        ; implicit-def: $vgpr4_vgpr5
	s_wait_kmcnt 0x0
	s_clause 0x3
	global_store_b128 v0, v[6:9], s[0:1] scale_offset
	global_store_b128 v0, v[24:27], s[0:1] offset:16 scale_offset
	global_store_b128 v0, v[28:31], s[0:1] offset:32 scale_offset
	;; [unrolled: 1-line block ×3, first 2 shown]
                                        ; implicit-def: $vgpr0_vgpr1
                                        ; implicit-def: $vgpr24_vgpr25
                                        ; implicit-def: $vgpr22_vgpr23
                                        ; implicit-def: $vgpr20_vgpr21
                                        ; implicit-def: $vgpr8_vgpr9
.LBB112_19:
	s_wait_xcnt 0x0
	s_and_not1_saveexec_b32 s2, s2
	s_cbranch_execz .LBB112_21
; %bb.20:
	v_dual_mul_f64 v[42:43], v[24:25], -v[4:5] :: v_dual_lshlrev_b32 v52, 2, v10
	v_mul_f64_e32 v[24:25], v[2:3], v[24:25]
	v_mul_f64_e64 v[46:47], v[22:23], -v[4:5]
	v_mul_f64_e32 v[44:45], v[2:3], v[22:23]
	s_wait_kmcnt 0x0
	s_clause 0x3
	global_load_b128 v[26:29], v52, s[0:1] scale_offset
	global_load_b128 v[30:33], v52, s[0:1] offset:16 scale_offset
	global_load_b128 v[34:37], v52, s[0:1] offset:32 scale_offset
	;; [unrolled: 1-line block ×3, first 2 shown]
	v_mul_f64_e64 v[48:49], v[20:21], -v[4:5]
	v_mul_f64_e32 v[20:21], v[2:3], v[20:21]
	v_mul_f64_e64 v[50:51], v[18:19], -v[4:5]
	v_mul_f64_e32 v[10:11], v[2:3], v[18:19]
	v_fmac_f64_e32 v[42:43], v[2:3], v[0:1]
	v_fmac_f64_e32 v[24:25], v[4:5], v[0:1]
	;; [unrolled: 1-line block ×8, first 2 shown]
	s_wait_loadcnt 0x3
	v_fmac_f64_e32 v[42:43], v[6:7], v[26:27]
	v_fmac_f64_e32 v[24:25], v[8:9], v[26:27]
	s_wait_loadcnt 0x2
	v_fmac_f64_e32 v[46:47], v[6:7], v[30:31]
	v_fmac_f64_e32 v[44:45], v[8:9], v[30:31]
	;; [unrolled: 3-line block ×4, first 2 shown]
	v_fma_f64 v[22:23], -v[8:9], v[28:29], v[42:43]
	v_fmac_f64_e32 v[24:25], v[6:7], v[28:29]
	v_fma_f64 v[42:43], -v[8:9], v[32:33], v[46:47]
	v_fmac_f64_e32 v[44:45], v[6:7], v[32:33]
	;; [unrolled: 2-line block ×4, first 2 shown]
	s_clause 0x3
	global_store_b128 v52, v[22:25], s[0:1] scale_offset
	global_store_b128 v52, v[42:45], s[0:1] offset:16 scale_offset
	global_store_b128 v52, v[18:21], s[0:1] offset:32 scale_offset
	;; [unrolled: 1-line block ×3, first 2 shown]
.LBB112_21:
	s_endpgm
	.section	.rodata,"a",@progbits
	.p2align	6, 0x0
	.amdhsa_kernel _ZN9rocsparseL19gebsrmvn_4xn_kernelILj128ELj1ELj8E21rocsparse_complex_numIdEEEvi20rocsparse_direction_NS_24const_host_device_scalarIT2_EEPKiS8_PKS5_SA_S6_PS5_21rocsparse_index_base_b
		.amdhsa_group_segment_fixed_size 0
		.amdhsa_private_segment_fixed_size 0
		.amdhsa_kernarg_size 88
		.amdhsa_user_sgpr_count 2
		.amdhsa_user_sgpr_dispatch_ptr 0
		.amdhsa_user_sgpr_queue_ptr 0
		.amdhsa_user_sgpr_kernarg_segment_ptr 1
		.amdhsa_user_sgpr_dispatch_id 0
		.amdhsa_user_sgpr_kernarg_preload_length 0
		.amdhsa_user_sgpr_kernarg_preload_offset 0
		.amdhsa_user_sgpr_private_segment_size 0
		.amdhsa_wavefront_size32 1
		.amdhsa_uses_dynamic_stack 0
		.amdhsa_enable_private_segment 0
		.amdhsa_system_sgpr_workgroup_id_x 1
		.amdhsa_system_sgpr_workgroup_id_y 0
		.amdhsa_system_sgpr_workgroup_id_z 0
		.amdhsa_system_sgpr_workgroup_info 0
		.amdhsa_system_vgpr_workitem_id 0
		.amdhsa_next_free_vgpr 53
		.amdhsa_next_free_sgpr 14
		.amdhsa_named_barrier_count 0
		.amdhsa_reserve_vcc 1
		.amdhsa_float_round_mode_32 0
		.amdhsa_float_round_mode_16_64 0
		.amdhsa_float_denorm_mode_32 3
		.amdhsa_float_denorm_mode_16_64 3
		.amdhsa_fp16_overflow 0
		.amdhsa_memory_ordered 1
		.amdhsa_forward_progress 1
		.amdhsa_inst_pref_size 17
		.amdhsa_round_robin_scheduling 0
		.amdhsa_exception_fp_ieee_invalid_op 0
		.amdhsa_exception_fp_denorm_src 0
		.amdhsa_exception_fp_ieee_div_zero 0
		.amdhsa_exception_fp_ieee_overflow 0
		.amdhsa_exception_fp_ieee_underflow 0
		.amdhsa_exception_fp_ieee_inexact 0
		.amdhsa_exception_int_div_zero 0
	.end_amdhsa_kernel
	.section	.text._ZN9rocsparseL19gebsrmvn_4xn_kernelILj128ELj1ELj8E21rocsparse_complex_numIdEEEvi20rocsparse_direction_NS_24const_host_device_scalarIT2_EEPKiS8_PKS5_SA_S6_PS5_21rocsparse_index_base_b,"axG",@progbits,_ZN9rocsparseL19gebsrmvn_4xn_kernelILj128ELj1ELj8E21rocsparse_complex_numIdEEEvi20rocsparse_direction_NS_24const_host_device_scalarIT2_EEPKiS8_PKS5_SA_S6_PS5_21rocsparse_index_base_b,comdat
.Lfunc_end112:
	.size	_ZN9rocsparseL19gebsrmvn_4xn_kernelILj128ELj1ELj8E21rocsparse_complex_numIdEEEvi20rocsparse_direction_NS_24const_host_device_scalarIT2_EEPKiS8_PKS5_SA_S6_PS5_21rocsparse_index_base_b, .Lfunc_end112-_ZN9rocsparseL19gebsrmvn_4xn_kernelILj128ELj1ELj8E21rocsparse_complex_numIdEEEvi20rocsparse_direction_NS_24const_host_device_scalarIT2_EEPKiS8_PKS5_SA_S6_PS5_21rocsparse_index_base_b
                                        ; -- End function
	.set _ZN9rocsparseL19gebsrmvn_4xn_kernelILj128ELj1ELj8E21rocsparse_complex_numIdEEEvi20rocsparse_direction_NS_24const_host_device_scalarIT2_EEPKiS8_PKS5_SA_S6_PS5_21rocsparse_index_base_b.num_vgpr, 53
	.set _ZN9rocsparseL19gebsrmvn_4xn_kernelILj128ELj1ELj8E21rocsparse_complex_numIdEEEvi20rocsparse_direction_NS_24const_host_device_scalarIT2_EEPKiS8_PKS5_SA_S6_PS5_21rocsparse_index_base_b.num_agpr, 0
	.set _ZN9rocsparseL19gebsrmvn_4xn_kernelILj128ELj1ELj8E21rocsparse_complex_numIdEEEvi20rocsparse_direction_NS_24const_host_device_scalarIT2_EEPKiS8_PKS5_SA_S6_PS5_21rocsparse_index_base_b.numbered_sgpr, 14
	.set _ZN9rocsparseL19gebsrmvn_4xn_kernelILj128ELj1ELj8E21rocsparse_complex_numIdEEEvi20rocsparse_direction_NS_24const_host_device_scalarIT2_EEPKiS8_PKS5_SA_S6_PS5_21rocsparse_index_base_b.num_named_barrier, 0
	.set _ZN9rocsparseL19gebsrmvn_4xn_kernelILj128ELj1ELj8E21rocsparse_complex_numIdEEEvi20rocsparse_direction_NS_24const_host_device_scalarIT2_EEPKiS8_PKS5_SA_S6_PS5_21rocsparse_index_base_b.private_seg_size, 0
	.set _ZN9rocsparseL19gebsrmvn_4xn_kernelILj128ELj1ELj8E21rocsparse_complex_numIdEEEvi20rocsparse_direction_NS_24const_host_device_scalarIT2_EEPKiS8_PKS5_SA_S6_PS5_21rocsparse_index_base_b.uses_vcc, 1
	.set _ZN9rocsparseL19gebsrmvn_4xn_kernelILj128ELj1ELj8E21rocsparse_complex_numIdEEEvi20rocsparse_direction_NS_24const_host_device_scalarIT2_EEPKiS8_PKS5_SA_S6_PS5_21rocsparse_index_base_b.uses_flat_scratch, 0
	.set _ZN9rocsparseL19gebsrmvn_4xn_kernelILj128ELj1ELj8E21rocsparse_complex_numIdEEEvi20rocsparse_direction_NS_24const_host_device_scalarIT2_EEPKiS8_PKS5_SA_S6_PS5_21rocsparse_index_base_b.has_dyn_sized_stack, 0
	.set _ZN9rocsparseL19gebsrmvn_4xn_kernelILj128ELj1ELj8E21rocsparse_complex_numIdEEEvi20rocsparse_direction_NS_24const_host_device_scalarIT2_EEPKiS8_PKS5_SA_S6_PS5_21rocsparse_index_base_b.has_recursion, 0
	.set _ZN9rocsparseL19gebsrmvn_4xn_kernelILj128ELj1ELj8E21rocsparse_complex_numIdEEEvi20rocsparse_direction_NS_24const_host_device_scalarIT2_EEPKiS8_PKS5_SA_S6_PS5_21rocsparse_index_base_b.has_indirect_call, 0
	.section	.AMDGPU.csdata,"",@progbits
; Kernel info:
; codeLenInByte = 2096
; TotalNumSgprs: 16
; NumVgprs: 53
; ScratchSize: 0
; MemoryBound: 0
; FloatMode: 240
; IeeeMode: 1
; LDSByteSize: 0 bytes/workgroup (compile time only)
; SGPRBlocks: 0
; VGPRBlocks: 3
; NumSGPRsForWavesPerEU: 16
; NumVGPRsForWavesPerEU: 53
; NamedBarCnt: 0
; Occupancy: 16
; WaveLimiterHint : 1
; COMPUTE_PGM_RSRC2:SCRATCH_EN: 0
; COMPUTE_PGM_RSRC2:USER_SGPR: 2
; COMPUTE_PGM_RSRC2:TRAP_HANDLER: 0
; COMPUTE_PGM_RSRC2:TGID_X_EN: 1
; COMPUTE_PGM_RSRC2:TGID_Y_EN: 0
; COMPUTE_PGM_RSRC2:TGID_Z_EN: 0
; COMPUTE_PGM_RSRC2:TIDIG_COMP_CNT: 0
	.section	.text._ZN9rocsparseL19gebsrmvn_4xn_kernelILj128ELj1ELj16E21rocsparse_complex_numIdEEEvi20rocsparse_direction_NS_24const_host_device_scalarIT2_EEPKiS8_PKS5_SA_S6_PS5_21rocsparse_index_base_b,"axG",@progbits,_ZN9rocsparseL19gebsrmvn_4xn_kernelILj128ELj1ELj16E21rocsparse_complex_numIdEEEvi20rocsparse_direction_NS_24const_host_device_scalarIT2_EEPKiS8_PKS5_SA_S6_PS5_21rocsparse_index_base_b,comdat
	.globl	_ZN9rocsparseL19gebsrmvn_4xn_kernelILj128ELj1ELj16E21rocsparse_complex_numIdEEEvi20rocsparse_direction_NS_24const_host_device_scalarIT2_EEPKiS8_PKS5_SA_S6_PS5_21rocsparse_index_base_b ; -- Begin function _ZN9rocsparseL19gebsrmvn_4xn_kernelILj128ELj1ELj16E21rocsparse_complex_numIdEEEvi20rocsparse_direction_NS_24const_host_device_scalarIT2_EEPKiS8_PKS5_SA_S6_PS5_21rocsparse_index_base_b
	.p2align	8
	.type	_ZN9rocsparseL19gebsrmvn_4xn_kernelILj128ELj1ELj16E21rocsparse_complex_numIdEEEvi20rocsparse_direction_NS_24const_host_device_scalarIT2_EEPKiS8_PKS5_SA_S6_PS5_21rocsparse_index_base_b,@function
_ZN9rocsparseL19gebsrmvn_4xn_kernelILj128ELj1ELj16E21rocsparse_complex_numIdEEEvi20rocsparse_direction_NS_24const_host_device_scalarIT2_EEPKiS8_PKS5_SA_S6_PS5_21rocsparse_index_base_b: ; @_ZN9rocsparseL19gebsrmvn_4xn_kernelILj128ELj1ELj16E21rocsparse_complex_numIdEEEvi20rocsparse_direction_NS_24const_host_device_scalarIT2_EEPKiS8_PKS5_SA_S6_PS5_21rocsparse_index_base_b
; %bb.0:
	s_clause 0x1
	s_load_b64 s[12:13], s[0:1], 0x50
	s_load_b64 s[2:3], s[0:1], 0x8
	v_mov_b32_e32 v1, 0
	s_add_nc_u64 s[4:5], s[0:1], 8
	s_load_b64 s[6:7], s[0:1], 0x38
	s_wait_kmcnt 0x0
	s_bitcmp1_b32 s13, 0
	s_cselect_b32 s3, s5, s3
	s_cselect_b32 s2, s4, s2
	flat_load_b128 v[2:5], v1, s[2:3]
	s_wait_xcnt 0x0
	s_add_nc_u64 s[2:3], s[0:1], 56
	s_delay_alu instid0(SALU_CYCLE_1)
	s_cselect_b32 s3, s3, s7
	s_cselect_b32 s2, s2, s6
	flat_load_b128 v[6:9], v1, s[2:3]
	s_wait_loadcnt_dscnt 0x101
	v_cmp_eq_f64_e32 vcc_lo, 0, v[2:3]
	s_wait_xcnt 0x0
	v_cmp_eq_f64_e64 s2, 0, v[4:5]
	s_and_b32 s4, vcc_lo, s2
	s_mov_b32 s2, -1
	s_and_saveexec_b32 s3, s4
	s_cbranch_execz .LBB113_2
; %bb.1:
	s_wait_loadcnt_dscnt 0x0
	v_cmp_neq_f64_e32 vcc_lo, 1.0, v[6:7]
	v_cmp_neq_f64_e64 s2, 0, v[8:9]
	s_or_b32 s2, vcc_lo, s2
	s_delay_alu instid0(SALU_CYCLE_1)
	s_or_not1_b32 s2, s2, exec_lo
.LBB113_2:
	s_or_b32 exec_lo, exec_lo, s3
	s_and_saveexec_b32 s3, s2
	s_cbranch_execz .LBB113_21
; %bb.3:
	s_load_b64 s[2:3], s[0:1], 0x0
	s_bfe_u32 s4, ttmp6, 0x4000c
	s_and_b32 s5, ttmp6, 15
	s_add_co_i32 s4, s4, 1
	s_getreg_b32 s6, hwreg(HW_REG_IB_STS2, 6, 4)
	s_mul_i32 s4, ttmp9, s4
	v_lshrrev_b32_e32 v1, 4, v0
	s_add_co_i32 s5, s5, s4
	s_cmp_eq_u32 s6, 0
	s_cselect_b32 s4, ttmp9, s5
	s_delay_alu instid0(VALU_DEP_1) | instid1(SALU_CYCLE_1)
	v_lshl_or_b32 v10, s4, 3, v1
	s_wait_kmcnt 0x0
	s_delay_alu instid0(VALU_DEP_1)
	v_cmp_gt_i32_e32 vcc_lo, s2, v10
	s_and_b32 exec_lo, exec_lo, vcc_lo
	s_cbranch_execz .LBB113_21
; %bb.4:
	s_load_b256 s[4:11], s[0:1], 0x18
	v_ashrrev_i32_e32 v11, 31, v10
	s_cmp_lg_u32 s3, 0
	s_wait_kmcnt 0x0
	s_delay_alu instid0(VALU_DEP_1)
	v_lshl_add_u64 v[12:13], v[10:11], 2, s[4:5]
	v_and_b32_e32 v11, 15, v0
	global_load_b64 v[12:13], v[12:13], off
	s_wait_loadcnt 0x0
	v_subrev_nc_u32_e32 v0, s12, v12
	v_subrev_nc_u32_e32 v26, s12, v13
	s_delay_alu instid0(VALU_DEP_2) | instskip(NEXT) | instid1(VALU_DEP_1)
	v_add_nc_u32_e32 v27, v0, v11
	v_cmp_lt_i32_e64 s2, v27, v26
	s_cbranch_scc0 .LBB113_10
; %bb.5:
	v_mov_b64_e32 v[0:1], 0
	v_mov_b64_e32 v[14:15], 0
	;; [unrolled: 1-line block ×8, first 2 shown]
	s_and_saveexec_b32 s3, s2
	s_cbranch_execz .LBB113_9
; %bb.6:
	v_mov_b64_e32 v[0:1], 0
	v_mov_b64_e32 v[14:15], 0
	;; [unrolled: 1-line block ×8, first 2 shown]
	v_dual_mov_b32 v29, v27 :: v_dual_lshlrev_b32 v28, 2, v27
	s_mov_b32 s4, 0
.LBB113_7:                              ; =>This Inner Loop Header: Depth=1
	global_load_b32 v46, v29, s[6:7] scale_offset
	s_clause 0x3
	global_load_b128 v[30:33], v28, s[8:9] offset:48 scale_offset
	global_load_b128 v[34:37], v28, s[8:9] offset:32 scale_offset
	;; [unrolled: 1-line block ×3, first 2 shown]
	global_load_b128 v[42:45], v28, s[8:9] scale_offset
	s_wait_xcnt 0x0
	v_dual_add_nc_u32 v29, 16, v29 :: v_dual_add_nc_u32 v28, 64, v28
	s_delay_alu instid0(VALU_DEP_1)
	v_cmp_ge_i32_e32 vcc_lo, v29, v26
	s_or_b32 s4, vcc_lo, s4
	s_wait_loadcnt 0x4
	v_subrev_nc_u32_e32 v46, s12, v46
	global_load_b128 v[46:49], v46, s[10:11] scale_offset
	s_wait_loadcnt 0x0
	v_fmac_f64_e32 v[14:15], v[42:43], v[46:47]
	v_fmac_f64_e32 v[0:1], v[44:45], v[46:47]
	;; [unrolled: 1-line block ×8, first 2 shown]
	v_fma_f64 v[14:15], -v[44:45], v[48:49], v[14:15]
	v_fmac_f64_e32 v[0:1], v[42:43], v[48:49]
	v_fma_f64 v[22:23], -v[40:41], v[48:49], v[22:23]
	v_fmac_f64_e32 v[24:25], v[38:39], v[48:49]
	v_fma_f64 v[18:19], -v[36:37], v[48:49], v[18:19]
	v_fmac_f64_e32 v[20:21], v[34:35], v[48:49]
	v_fma_f64 v[12:13], -v[32:33], v[48:49], v[12:13]
	v_fmac_f64_e32 v[16:17], v[30:31], v[48:49]
	s_and_not1_b32 exec_lo, exec_lo, s4
	s_cbranch_execnz .LBB113_7
; %bb.8:
	s_or_b32 exec_lo, exec_lo, s4
.LBB113_9:
	s_delay_alu instid0(SALU_CYCLE_1)
	s_or_b32 exec_lo, exec_lo, s3
	s_cbranch_execz .LBB113_11
	s_branch .LBB113_16
.LBB113_10:
                                        ; implicit-def: $vgpr0_vgpr1
                                        ; implicit-def: $vgpr14_vgpr15
                                        ; implicit-def: $vgpr12_vgpr13
                                        ; implicit-def: $vgpr16_vgpr17
                                        ; implicit-def: $vgpr18_vgpr19
                                        ; implicit-def: $vgpr20_vgpr21
                                        ; implicit-def: $vgpr22_vgpr23
                                        ; implicit-def: $vgpr24_vgpr25
.LBB113_11:
	v_mov_b64_e32 v[0:1], 0
	v_mov_b64_e32 v[14:15], 0
	;; [unrolled: 1-line block ×8, first 2 shown]
	s_and_saveexec_b32 s3, s2
	s_cbranch_execz .LBB113_15
; %bb.12:
	v_mov_b64_e32 v[0:1], 0
	v_mov_b64_e32 v[14:15], 0
	;; [unrolled: 1-line block ×8, first 2 shown]
	v_lshlrev_b32_e32 v28, 2, v27
	s_mov_b32 s2, 0
.LBB113_13:                             ; =>This Inner Loop Header: Depth=1
	global_load_b32 v29, v27, s[6:7] scale_offset
	s_clause 0x3
	global_load_b128 v[30:33], v28, s[8:9] offset:48 scale_offset
	global_load_b128 v[34:37], v28, s[8:9] offset:32 scale_offset
	;; [unrolled: 1-line block ×3, first 2 shown]
	global_load_b128 v[42:45], v28, s[8:9] scale_offset
	s_wait_xcnt 0x0
	v_dual_add_nc_u32 v28, 64, v28 :: v_dual_add_nc_u32 v27, 16, v27
	s_delay_alu instid0(VALU_DEP_1)
	v_cmp_ge_i32_e32 vcc_lo, v27, v26
	s_or_b32 s2, vcc_lo, s2
	s_wait_loadcnt 0x4
	v_subrev_nc_u32_e32 v29, s12, v29
	global_load_b128 v[46:49], v29, s[10:11] scale_offset
	s_wait_loadcnt 0x0
	v_fmac_f64_e32 v[14:15], v[42:43], v[46:47]
	v_fmac_f64_e32 v[0:1], v[44:45], v[46:47]
	;; [unrolled: 1-line block ×8, first 2 shown]
	v_fma_f64 v[14:15], -v[44:45], v[48:49], v[14:15]
	v_fmac_f64_e32 v[0:1], v[42:43], v[48:49]
	v_fma_f64 v[22:23], -v[40:41], v[48:49], v[22:23]
	v_fmac_f64_e32 v[24:25], v[38:39], v[48:49]
	;; [unrolled: 2-line block ×4, first 2 shown]
	s_and_not1_b32 exec_lo, exec_lo, s2
	s_cbranch_execnz .LBB113_13
; %bb.14:
	s_or_b32 exec_lo, exec_lo, s2
.LBB113_15:
	s_delay_alu instid0(SALU_CYCLE_1)
	s_or_b32 exec_lo, exec_lo, s3
.LBB113_16:
	v_mbcnt_lo_u32_b32 v44, -1, 0
	s_delay_alu instid0(VALU_DEP_1) | instskip(NEXT) | instid1(VALU_DEP_1)
	v_xor_b32_e32 v26, 8, v44
	v_cmp_gt_i32_e32 vcc_lo, 32, v26
	v_cndmask_b32_e32 v26, v44, v26, vcc_lo
	s_delay_alu instid0(VALU_DEP_1)
	v_lshlrev_b32_e32 v41, 2, v26
	ds_bpermute_b32 v28, v41, v0
	ds_bpermute_b32 v29, v41, v1
	s_wait_dscnt 0x0
	v_add_f64_e32 v[0:1], v[0:1], v[28:29]
	ds_bpermute_b32 v26, v41, v14
	ds_bpermute_b32 v27, v41, v15
	;; [unrolled: 1-line block ×14, first 2 shown]
	s_wait_dscnt 0xc
	v_dual_add_f64 v[14:15], v[14:15], v[26:27] :: v_dual_bitop2_b32 v26, 4, v44 bitop3:0x14
	s_wait_dscnt 0xa
	v_add_f64_e32 v[22:23], v[22:23], v[30:31]
	s_delay_alu instid0(VALU_DEP_2)
	v_cmp_gt_i32_e32 vcc_lo, 32, v26
	s_wait_dscnt 0x4
	v_add_f64_e32 v[20:21], v[20:21], v[36:37]
	v_cndmask_b32_e32 v26, v44, v26, vcc_lo
	v_add_f64_e32 v[24:25], v[24:25], v[32:33]
	s_wait_dscnt 0x0
	s_delay_alu instid0(VALU_DEP_2)
	v_dual_add_f64 v[16:17], v[16:17], v[40:41] :: v_dual_lshlrev_b32 v41, 2, v26
	ds_bpermute_b32 v28, v41, v0
	ds_bpermute_b32 v29, v41, v1
	;; [unrolled: 1-line block ×11, first 2 shown]
	s_wait_dscnt 0x7
	v_add_f64_e32 v[14:15], v[14:15], v[26:27]
	v_add_f64_e32 v[26:27], v[0:1], v[28:29]
	s_wait_dscnt 0x5
	v_dual_add_f64 v[22:23], v[22:23], v[30:31] :: v_dual_bitop2_b32 v0, 2, v44 bitop3:0x14
	s_delay_alu instid0(VALU_DEP_1)
	v_cmp_gt_i32_e32 vcc_lo, 32, v0
	v_add_f64_e32 v[18:19], v[18:19], v[34:35]
	s_wait_dscnt 0x3
	v_add_f64_e32 v[20:21], v[20:21], v[36:37]
	v_cndmask_b32_e32 v0, v44, v0, vcc_lo
	v_add_f64_e32 v[12:13], v[12:13], v[38:39]
	s_wait_dscnt 0x1
	v_add_f64_e32 v[28:29], v[24:25], v[32:33]
	s_delay_alu instid0(VALU_DEP_3)
	v_lshlrev_b32_e32 v24, 2, v0
	ds_bpermute_b32 v0, v24, v14
	ds_bpermute_b32 v1, v24, v15
	;; [unrolled: 1-line block ×7, first 2 shown]
	s_wait_dscnt 0x3
	v_add_f64_e32 v[18:19], v[18:19], v[34:35]
	ds_bpermute_b32 v34, v24, v28
	ds_bpermute_b32 v35, v24, v29
	s_wait_dscnt 0x3
	v_add_f64_e32 v[30:31], v[12:13], v[38:39]
	s_wait_dscnt 0x2
	v_add_f64_e32 v[32:33], v[16:17], v[40:41]
	ds_bpermute_b32 v12, v24, v26
	ds_bpermute_b32 v13, v24, v27
	;; [unrolled: 1-line block ×6, first 2 shown]
	s_wait_dscnt 0x0
	v_add_f64_e32 v[20:21], v[20:21], v[38:39]
	ds_bpermute_b32 v36, v24, v18
	ds_bpermute_b32 v37, v24, v19
	;; [unrolled: 1-line block ×6, first 2 shown]
	v_add_f64_e32 v[24:25], v[26:27], v[12:13]
	v_add_f64_e32 v[12:13], v[22:23], v[16:17]
	v_dual_add_f64 v[22:23], v[28:29], v[34:35] :: v_dual_bitop2_b32 v26, 1, v44 bitop3:0x14
	v_add_f64_e32 v[0:1], v[14:15], v[0:1]
	s_delay_alu instid0(VALU_DEP_2)
	v_cmp_gt_i32_e32 vcc_lo, 32, v26
	s_wait_dscnt 0x4
	v_dual_add_f64 v[14:15], v[18:19], v[36:37] :: v_dual_cndmask_b32 v26, v44, v26, vcc_lo
	v_cmp_eq_u32_e32 vcc_lo, 15, v11
	s_wait_dscnt 0x2
	v_add_f64_e32 v[16:17], v[30:31], v[40:41]
	s_wait_dscnt 0x0
	v_add_f64_e32 v[18:19], v[32:33], v[42:43]
	v_lshlrev_b32_e32 v29, 2, v26
	ds_bpermute_b32 v30, v29, v20
	ds_bpermute_b32 v31, v29, v21
	;; [unrolled: 1-line block ×16, first 2 shown]
	s_and_b32 exec_lo, exec_lo, vcc_lo
	s_cbranch_execz .LBB113_21
; %bb.17:
	v_cmp_eq_f64_e32 vcc_lo, 0, v[6:7]
	v_cmp_eq_f64_e64 s2, 0, v[8:9]
	s_wait_dscnt 0x8
	v_add_f64_e32 v[0:1], v[0:1], v[40:41]
	v_add_f64_e32 v[24:25], v[24:25], v[38:39]
	v_add_f64_e32 v[12:13], v[12:13], v[36:37]
	s_wait_dscnt 0x6
	v_add_f64_e32 v[22:23], v[22:23], v[34:35]
	s_wait_dscnt 0x4
	v_add_f64_e32 v[14:15], v[14:15], v[32:33]
	v_add_f64_e32 v[20:21], v[20:21], v[30:31]
	s_wait_dscnt 0x2
	v_add_f64_e32 v[16:17], v[16:17], v[26:27]
	s_wait_dscnt 0x0
	v_add_f64_e32 v[18:19], v[18:19], v[28:29]
	s_load_b64 s[0:1], s[0:1], 0x48
	s_and_b32 s2, vcc_lo, s2
	s_delay_alu instid0(SALU_CYCLE_1) | instskip(NEXT) | instid1(SALU_CYCLE_1)
	s_and_saveexec_b32 s3, s2
	s_xor_b32 s2, exec_lo, s3
	s_cbranch_execz .LBB113_19
; %bb.18:
	v_mul_f64_e64 v[6:7], v[24:25], -v[4:5]
	v_mul_f64_e32 v[8:9], v[2:3], v[24:25]
	v_mul_f64_e64 v[24:25], v[22:23], -v[4:5]
	v_mul_f64_e32 v[26:27], v[2:3], v[22:23]
	v_mul_f64_e64 v[28:29], v[20:21], -v[4:5]
	v_mul_f64_e32 v[30:31], v[2:3], v[20:21]
	v_mul_f64_e64 v[20:21], v[18:19], -v[4:5]
	v_mul_f64_e32 v[22:23], v[2:3], v[18:19]
                                        ; implicit-def: $vgpr18_vgpr19
	v_fmac_f64_e32 v[6:7], v[2:3], v[0:1]
	v_fmac_f64_e32 v[8:9], v[4:5], v[0:1]
	v_fmac_f64_e32 v[24:25], v[2:3], v[12:13]
	v_fmac_f64_e32 v[26:27], v[4:5], v[12:13]
	v_fmac_f64_e32 v[28:29], v[2:3], v[14:15]
	v_fmac_f64_e32 v[30:31], v[4:5], v[14:15]
	v_fmac_f64_e32 v[20:21], v[2:3], v[16:17]
	v_fmac_f64_e32 v[22:23], v[4:5], v[16:17]
	v_lshlrev_b32_e32 v0, 2, v10
                                        ; implicit-def: $vgpr10
                                        ; implicit-def: $vgpr12_vgpr13
                                        ; implicit-def: $vgpr14_vgpr15
                                        ; implicit-def: $vgpr16_vgpr17
                                        ; implicit-def: $vgpr4_vgpr5
	s_wait_kmcnt 0x0
	s_clause 0x3
	global_store_b128 v0, v[6:9], s[0:1] scale_offset
	global_store_b128 v0, v[24:27], s[0:1] offset:16 scale_offset
	global_store_b128 v0, v[28:31], s[0:1] offset:32 scale_offset
	;; [unrolled: 1-line block ×3, first 2 shown]
                                        ; implicit-def: $vgpr0_vgpr1
                                        ; implicit-def: $vgpr24_vgpr25
                                        ; implicit-def: $vgpr22_vgpr23
                                        ; implicit-def: $vgpr20_vgpr21
                                        ; implicit-def: $vgpr8_vgpr9
.LBB113_19:
	s_wait_xcnt 0x0
	s_and_not1_saveexec_b32 s2, s2
	s_cbranch_execz .LBB113_21
; %bb.20:
	v_dual_mul_f64 v[42:43], v[24:25], -v[4:5] :: v_dual_lshlrev_b32 v52, 2, v10
	v_mul_f64_e32 v[24:25], v[2:3], v[24:25]
	v_mul_f64_e64 v[46:47], v[22:23], -v[4:5]
	v_mul_f64_e32 v[44:45], v[2:3], v[22:23]
	s_wait_kmcnt 0x0
	s_clause 0x3
	global_load_b128 v[26:29], v52, s[0:1] scale_offset
	global_load_b128 v[30:33], v52, s[0:1] offset:16 scale_offset
	global_load_b128 v[34:37], v52, s[0:1] offset:32 scale_offset
	;; [unrolled: 1-line block ×3, first 2 shown]
	v_mul_f64_e64 v[48:49], v[20:21], -v[4:5]
	v_mul_f64_e32 v[20:21], v[2:3], v[20:21]
	v_mul_f64_e64 v[50:51], v[18:19], -v[4:5]
	v_mul_f64_e32 v[10:11], v[2:3], v[18:19]
	v_fmac_f64_e32 v[42:43], v[2:3], v[0:1]
	v_fmac_f64_e32 v[24:25], v[4:5], v[0:1]
	;; [unrolled: 1-line block ×8, first 2 shown]
	s_wait_loadcnt 0x3
	v_fmac_f64_e32 v[42:43], v[6:7], v[26:27]
	v_fmac_f64_e32 v[24:25], v[8:9], v[26:27]
	s_wait_loadcnt 0x2
	v_fmac_f64_e32 v[46:47], v[6:7], v[30:31]
	v_fmac_f64_e32 v[44:45], v[8:9], v[30:31]
	;; [unrolled: 3-line block ×4, first 2 shown]
	v_fma_f64 v[22:23], -v[8:9], v[28:29], v[42:43]
	v_fmac_f64_e32 v[24:25], v[6:7], v[28:29]
	v_fma_f64 v[42:43], -v[8:9], v[32:33], v[46:47]
	v_fmac_f64_e32 v[44:45], v[6:7], v[32:33]
	;; [unrolled: 2-line block ×4, first 2 shown]
	s_clause 0x3
	global_store_b128 v52, v[22:25], s[0:1] scale_offset
	global_store_b128 v52, v[42:45], s[0:1] offset:16 scale_offset
	global_store_b128 v52, v[18:21], s[0:1] offset:32 scale_offset
	;; [unrolled: 1-line block ×3, first 2 shown]
.LBB113_21:
	s_endpgm
	.section	.rodata,"a",@progbits
	.p2align	6, 0x0
	.amdhsa_kernel _ZN9rocsparseL19gebsrmvn_4xn_kernelILj128ELj1ELj16E21rocsparse_complex_numIdEEEvi20rocsparse_direction_NS_24const_host_device_scalarIT2_EEPKiS8_PKS5_SA_S6_PS5_21rocsparse_index_base_b
		.amdhsa_group_segment_fixed_size 0
		.amdhsa_private_segment_fixed_size 0
		.amdhsa_kernarg_size 88
		.amdhsa_user_sgpr_count 2
		.amdhsa_user_sgpr_dispatch_ptr 0
		.amdhsa_user_sgpr_queue_ptr 0
		.amdhsa_user_sgpr_kernarg_segment_ptr 1
		.amdhsa_user_sgpr_dispatch_id 0
		.amdhsa_user_sgpr_kernarg_preload_length 0
		.amdhsa_user_sgpr_kernarg_preload_offset 0
		.amdhsa_user_sgpr_private_segment_size 0
		.amdhsa_wavefront_size32 1
		.amdhsa_uses_dynamic_stack 0
		.amdhsa_enable_private_segment 0
		.amdhsa_system_sgpr_workgroup_id_x 1
		.amdhsa_system_sgpr_workgroup_id_y 0
		.amdhsa_system_sgpr_workgroup_id_z 0
		.amdhsa_system_sgpr_workgroup_info 0
		.amdhsa_system_vgpr_workitem_id 0
		.amdhsa_next_free_vgpr 53
		.amdhsa_next_free_sgpr 14
		.amdhsa_named_barrier_count 0
		.amdhsa_reserve_vcc 1
		.amdhsa_float_round_mode_32 0
		.amdhsa_float_round_mode_16_64 0
		.amdhsa_float_denorm_mode_32 3
		.amdhsa_float_denorm_mode_16_64 3
		.amdhsa_fp16_overflow 0
		.amdhsa_memory_ordered 1
		.amdhsa_forward_progress 1
		.amdhsa_inst_pref_size 18
		.amdhsa_round_robin_scheduling 0
		.amdhsa_exception_fp_ieee_invalid_op 0
		.amdhsa_exception_fp_denorm_src 0
		.amdhsa_exception_fp_ieee_div_zero 0
		.amdhsa_exception_fp_ieee_overflow 0
		.amdhsa_exception_fp_ieee_underflow 0
		.amdhsa_exception_fp_ieee_inexact 0
		.amdhsa_exception_int_div_zero 0
	.end_amdhsa_kernel
	.section	.text._ZN9rocsparseL19gebsrmvn_4xn_kernelILj128ELj1ELj16E21rocsparse_complex_numIdEEEvi20rocsparse_direction_NS_24const_host_device_scalarIT2_EEPKiS8_PKS5_SA_S6_PS5_21rocsparse_index_base_b,"axG",@progbits,_ZN9rocsparseL19gebsrmvn_4xn_kernelILj128ELj1ELj16E21rocsparse_complex_numIdEEEvi20rocsparse_direction_NS_24const_host_device_scalarIT2_EEPKiS8_PKS5_SA_S6_PS5_21rocsparse_index_base_b,comdat
.Lfunc_end113:
	.size	_ZN9rocsparseL19gebsrmvn_4xn_kernelILj128ELj1ELj16E21rocsparse_complex_numIdEEEvi20rocsparse_direction_NS_24const_host_device_scalarIT2_EEPKiS8_PKS5_SA_S6_PS5_21rocsparse_index_base_b, .Lfunc_end113-_ZN9rocsparseL19gebsrmvn_4xn_kernelILj128ELj1ELj16E21rocsparse_complex_numIdEEEvi20rocsparse_direction_NS_24const_host_device_scalarIT2_EEPKiS8_PKS5_SA_S6_PS5_21rocsparse_index_base_b
                                        ; -- End function
	.set _ZN9rocsparseL19gebsrmvn_4xn_kernelILj128ELj1ELj16E21rocsparse_complex_numIdEEEvi20rocsparse_direction_NS_24const_host_device_scalarIT2_EEPKiS8_PKS5_SA_S6_PS5_21rocsparse_index_base_b.num_vgpr, 53
	.set _ZN9rocsparseL19gebsrmvn_4xn_kernelILj128ELj1ELj16E21rocsparse_complex_numIdEEEvi20rocsparse_direction_NS_24const_host_device_scalarIT2_EEPKiS8_PKS5_SA_S6_PS5_21rocsparse_index_base_b.num_agpr, 0
	.set _ZN9rocsparseL19gebsrmvn_4xn_kernelILj128ELj1ELj16E21rocsparse_complex_numIdEEEvi20rocsparse_direction_NS_24const_host_device_scalarIT2_EEPKiS8_PKS5_SA_S6_PS5_21rocsparse_index_base_b.numbered_sgpr, 14
	.set _ZN9rocsparseL19gebsrmvn_4xn_kernelILj128ELj1ELj16E21rocsparse_complex_numIdEEEvi20rocsparse_direction_NS_24const_host_device_scalarIT2_EEPKiS8_PKS5_SA_S6_PS5_21rocsparse_index_base_b.num_named_barrier, 0
	.set _ZN9rocsparseL19gebsrmvn_4xn_kernelILj128ELj1ELj16E21rocsparse_complex_numIdEEEvi20rocsparse_direction_NS_24const_host_device_scalarIT2_EEPKiS8_PKS5_SA_S6_PS5_21rocsparse_index_base_b.private_seg_size, 0
	.set _ZN9rocsparseL19gebsrmvn_4xn_kernelILj128ELj1ELj16E21rocsparse_complex_numIdEEEvi20rocsparse_direction_NS_24const_host_device_scalarIT2_EEPKiS8_PKS5_SA_S6_PS5_21rocsparse_index_base_b.uses_vcc, 1
	.set _ZN9rocsparseL19gebsrmvn_4xn_kernelILj128ELj1ELj16E21rocsparse_complex_numIdEEEvi20rocsparse_direction_NS_24const_host_device_scalarIT2_EEPKiS8_PKS5_SA_S6_PS5_21rocsparse_index_base_b.uses_flat_scratch, 0
	.set _ZN9rocsparseL19gebsrmvn_4xn_kernelILj128ELj1ELj16E21rocsparse_complex_numIdEEEvi20rocsparse_direction_NS_24const_host_device_scalarIT2_EEPKiS8_PKS5_SA_S6_PS5_21rocsparse_index_base_b.has_dyn_sized_stack, 0
	.set _ZN9rocsparseL19gebsrmvn_4xn_kernelILj128ELj1ELj16E21rocsparse_complex_numIdEEEvi20rocsparse_direction_NS_24const_host_device_scalarIT2_EEPKiS8_PKS5_SA_S6_PS5_21rocsparse_index_base_b.has_recursion, 0
	.set _ZN9rocsparseL19gebsrmvn_4xn_kernelILj128ELj1ELj16E21rocsparse_complex_numIdEEEvi20rocsparse_direction_NS_24const_host_device_scalarIT2_EEPKiS8_PKS5_SA_S6_PS5_21rocsparse_index_base_b.has_indirect_call, 0
	.section	.AMDGPU.csdata,"",@progbits
; Kernel info:
; codeLenInByte = 2276
; TotalNumSgprs: 16
; NumVgprs: 53
; ScratchSize: 0
; MemoryBound: 0
; FloatMode: 240
; IeeeMode: 1
; LDSByteSize: 0 bytes/workgroup (compile time only)
; SGPRBlocks: 0
; VGPRBlocks: 3
; NumSGPRsForWavesPerEU: 16
; NumVGPRsForWavesPerEU: 53
; NamedBarCnt: 0
; Occupancy: 16
; WaveLimiterHint : 1
; COMPUTE_PGM_RSRC2:SCRATCH_EN: 0
; COMPUTE_PGM_RSRC2:USER_SGPR: 2
; COMPUTE_PGM_RSRC2:TRAP_HANDLER: 0
; COMPUTE_PGM_RSRC2:TGID_X_EN: 1
; COMPUTE_PGM_RSRC2:TGID_Y_EN: 0
; COMPUTE_PGM_RSRC2:TGID_Z_EN: 0
; COMPUTE_PGM_RSRC2:TIDIG_COMP_CNT: 0
	.section	.text._ZN9rocsparseL19gebsrmvn_4xn_kernelILj128ELj1ELj32E21rocsparse_complex_numIdEEEvi20rocsparse_direction_NS_24const_host_device_scalarIT2_EEPKiS8_PKS5_SA_S6_PS5_21rocsparse_index_base_b,"axG",@progbits,_ZN9rocsparseL19gebsrmvn_4xn_kernelILj128ELj1ELj32E21rocsparse_complex_numIdEEEvi20rocsparse_direction_NS_24const_host_device_scalarIT2_EEPKiS8_PKS5_SA_S6_PS5_21rocsparse_index_base_b,comdat
	.globl	_ZN9rocsparseL19gebsrmvn_4xn_kernelILj128ELj1ELj32E21rocsparse_complex_numIdEEEvi20rocsparse_direction_NS_24const_host_device_scalarIT2_EEPKiS8_PKS5_SA_S6_PS5_21rocsparse_index_base_b ; -- Begin function _ZN9rocsparseL19gebsrmvn_4xn_kernelILj128ELj1ELj32E21rocsparse_complex_numIdEEEvi20rocsparse_direction_NS_24const_host_device_scalarIT2_EEPKiS8_PKS5_SA_S6_PS5_21rocsparse_index_base_b
	.p2align	8
	.type	_ZN9rocsparseL19gebsrmvn_4xn_kernelILj128ELj1ELj32E21rocsparse_complex_numIdEEEvi20rocsparse_direction_NS_24const_host_device_scalarIT2_EEPKiS8_PKS5_SA_S6_PS5_21rocsparse_index_base_b,@function
_ZN9rocsparseL19gebsrmvn_4xn_kernelILj128ELj1ELj32E21rocsparse_complex_numIdEEEvi20rocsparse_direction_NS_24const_host_device_scalarIT2_EEPKiS8_PKS5_SA_S6_PS5_21rocsparse_index_base_b: ; @_ZN9rocsparseL19gebsrmvn_4xn_kernelILj128ELj1ELj32E21rocsparse_complex_numIdEEEvi20rocsparse_direction_NS_24const_host_device_scalarIT2_EEPKiS8_PKS5_SA_S6_PS5_21rocsparse_index_base_b
; %bb.0:
	s_clause 0x1
	s_load_b64 s[12:13], s[0:1], 0x50
	s_load_b64 s[2:3], s[0:1], 0x8
	v_mov_b32_e32 v1, 0
	s_add_nc_u64 s[4:5], s[0:1], 8
	s_load_b64 s[6:7], s[0:1], 0x38
	s_wait_kmcnt 0x0
	s_bitcmp1_b32 s13, 0
	s_cselect_b32 s3, s5, s3
	s_cselect_b32 s2, s4, s2
	flat_load_b128 v[2:5], v1, s[2:3]
	s_wait_xcnt 0x0
	s_add_nc_u64 s[2:3], s[0:1], 56
	s_delay_alu instid0(SALU_CYCLE_1)
	s_cselect_b32 s3, s3, s7
	s_cselect_b32 s2, s2, s6
	flat_load_b128 v[6:9], v1, s[2:3]
	s_wait_loadcnt_dscnt 0x101
	v_cmp_eq_f64_e32 vcc_lo, 0, v[2:3]
	s_wait_xcnt 0x0
	v_cmp_eq_f64_e64 s2, 0, v[4:5]
	s_and_b32 s4, vcc_lo, s2
	s_mov_b32 s2, -1
	s_and_saveexec_b32 s3, s4
	s_cbranch_execz .LBB114_2
; %bb.1:
	s_wait_loadcnt_dscnt 0x0
	v_cmp_neq_f64_e32 vcc_lo, 1.0, v[6:7]
	v_cmp_neq_f64_e64 s2, 0, v[8:9]
	s_or_b32 s2, vcc_lo, s2
	s_delay_alu instid0(SALU_CYCLE_1)
	s_or_not1_b32 s2, s2, exec_lo
.LBB114_2:
	s_or_b32 exec_lo, exec_lo, s3
	s_and_saveexec_b32 s3, s2
	s_cbranch_execz .LBB114_21
; %bb.3:
	s_load_b64 s[2:3], s[0:1], 0x0
	s_bfe_u32 s4, ttmp6, 0x4000c
	s_and_b32 s5, ttmp6, 15
	s_add_co_i32 s4, s4, 1
	s_getreg_b32 s6, hwreg(HW_REG_IB_STS2, 6, 4)
	s_mul_i32 s4, ttmp9, s4
	v_lshrrev_b32_e32 v1, 5, v0
	s_add_co_i32 s5, s5, s4
	s_cmp_eq_u32 s6, 0
	s_cselect_b32 s4, ttmp9, s5
	s_delay_alu instid0(VALU_DEP_1) | instid1(SALU_CYCLE_1)
	v_lshl_or_b32 v10, s4, 2, v1
	s_wait_kmcnt 0x0
	s_delay_alu instid0(VALU_DEP_1)
	v_cmp_gt_i32_e32 vcc_lo, s2, v10
	s_and_b32 exec_lo, exec_lo, vcc_lo
	s_cbranch_execz .LBB114_21
; %bb.4:
	s_load_b256 s[4:11], s[0:1], 0x18
	v_ashrrev_i32_e32 v11, 31, v10
	s_cmp_lg_u32 s3, 0
	s_wait_kmcnt 0x0
	s_delay_alu instid0(VALU_DEP_1)
	v_lshl_add_u64 v[12:13], v[10:11], 2, s[4:5]
	v_and_b32_e32 v11, 31, v0
	global_load_b64 v[12:13], v[12:13], off
	s_wait_loadcnt 0x0
	v_subrev_nc_u32_e32 v0, s12, v12
	v_subrev_nc_u32_e32 v26, s12, v13
	s_delay_alu instid0(VALU_DEP_2) | instskip(NEXT) | instid1(VALU_DEP_1)
	v_add_nc_u32_e32 v27, v0, v11
	v_cmp_lt_i32_e64 s2, v27, v26
	s_cbranch_scc0 .LBB114_10
; %bb.5:
	v_mov_b64_e32 v[0:1], 0
	v_mov_b64_e32 v[14:15], 0
	;; [unrolled: 1-line block ×8, first 2 shown]
	s_and_saveexec_b32 s3, s2
	s_cbranch_execz .LBB114_9
; %bb.6:
	v_mov_b64_e32 v[0:1], 0
	v_mov_b64_e32 v[14:15], 0
	;; [unrolled: 1-line block ×8, first 2 shown]
	v_dual_mov_b32 v29, v27 :: v_dual_lshlrev_b32 v28, 2, v27
	s_mov_b32 s4, 0
.LBB114_7:                              ; =>This Inner Loop Header: Depth=1
	global_load_b32 v46, v29, s[6:7] scale_offset
	s_clause 0x3
	global_load_b128 v[30:33], v28, s[8:9] offset:48 scale_offset
	global_load_b128 v[34:37], v28, s[8:9] offset:32 scale_offset
	;; [unrolled: 1-line block ×3, first 2 shown]
	global_load_b128 v[42:45], v28, s[8:9] scale_offset
	s_wait_xcnt 0x4
	v_add_nc_u32_e32 v29, 32, v29
	s_wait_xcnt 0x0
	v_add_nc_u32_e32 v28, 0x80, v28
	s_delay_alu instid0(VALU_DEP_2)
	v_cmp_ge_i32_e32 vcc_lo, v29, v26
	s_or_b32 s4, vcc_lo, s4
	s_wait_loadcnt 0x4
	v_subrev_nc_u32_e32 v46, s12, v46
	global_load_b128 v[46:49], v46, s[10:11] scale_offset
	s_wait_loadcnt 0x0
	v_fmac_f64_e32 v[14:15], v[42:43], v[46:47]
	v_fmac_f64_e32 v[0:1], v[44:45], v[46:47]
	;; [unrolled: 1-line block ×8, first 2 shown]
	v_fma_f64 v[14:15], -v[44:45], v[48:49], v[14:15]
	v_fmac_f64_e32 v[0:1], v[42:43], v[48:49]
	v_fma_f64 v[22:23], -v[40:41], v[48:49], v[22:23]
	v_fmac_f64_e32 v[24:25], v[38:39], v[48:49]
	;; [unrolled: 2-line block ×4, first 2 shown]
	s_and_not1_b32 exec_lo, exec_lo, s4
	s_cbranch_execnz .LBB114_7
; %bb.8:
	s_or_b32 exec_lo, exec_lo, s4
.LBB114_9:
	s_delay_alu instid0(SALU_CYCLE_1)
	s_or_b32 exec_lo, exec_lo, s3
	s_cbranch_execz .LBB114_11
	s_branch .LBB114_16
.LBB114_10:
                                        ; implicit-def: $vgpr0_vgpr1
                                        ; implicit-def: $vgpr14_vgpr15
                                        ; implicit-def: $vgpr12_vgpr13
                                        ; implicit-def: $vgpr16_vgpr17
                                        ; implicit-def: $vgpr18_vgpr19
                                        ; implicit-def: $vgpr20_vgpr21
                                        ; implicit-def: $vgpr22_vgpr23
                                        ; implicit-def: $vgpr24_vgpr25
.LBB114_11:
	v_mov_b64_e32 v[0:1], 0
	v_mov_b64_e32 v[14:15], 0
	v_mov_b64_e32 v[12:13], 0
	v_mov_b64_e32 v[16:17], 0
	v_mov_b64_e32 v[18:19], 0
	v_mov_b64_e32 v[20:21], 0
	v_mov_b64_e32 v[22:23], 0
	v_mov_b64_e32 v[24:25], 0
	s_and_saveexec_b32 s3, s2
	s_cbranch_execz .LBB114_15
; %bb.12:
	v_mov_b64_e32 v[0:1], 0
	v_mov_b64_e32 v[14:15], 0
	;; [unrolled: 1-line block ×8, first 2 shown]
	v_lshlrev_b32_e32 v28, 2, v27
	s_mov_b32 s2, 0
.LBB114_13:                             ; =>This Inner Loop Header: Depth=1
	global_load_b32 v29, v27, s[6:7] scale_offset
	s_clause 0x3
	global_load_b128 v[30:33], v28, s[8:9] offset:48 scale_offset
	global_load_b128 v[34:37], v28, s[8:9] offset:32 scale_offset
	;; [unrolled: 1-line block ×3, first 2 shown]
	global_load_b128 v[42:45], v28, s[8:9] scale_offset
	s_wait_xcnt 0x0
	v_add_nc_u32_e32 v28, 0x80, v28
	v_add_nc_u32_e32 v27, 32, v27
	s_delay_alu instid0(VALU_DEP_1)
	v_cmp_ge_i32_e32 vcc_lo, v27, v26
	s_or_b32 s2, vcc_lo, s2
	s_wait_loadcnt 0x4
	v_subrev_nc_u32_e32 v29, s12, v29
	global_load_b128 v[46:49], v29, s[10:11] scale_offset
	s_wait_loadcnt 0x0
	v_fmac_f64_e32 v[14:15], v[42:43], v[46:47]
	v_fmac_f64_e32 v[0:1], v[44:45], v[46:47]
	v_fmac_f64_e32 v[22:23], v[38:39], v[46:47]
	v_fmac_f64_e32 v[24:25], v[40:41], v[46:47]
	v_fmac_f64_e32 v[18:19], v[34:35], v[46:47]
	v_fmac_f64_e32 v[20:21], v[36:37], v[46:47]
	v_fmac_f64_e32 v[12:13], v[30:31], v[46:47]
	v_fmac_f64_e32 v[16:17], v[32:33], v[46:47]
	v_fma_f64 v[14:15], -v[44:45], v[48:49], v[14:15]
	v_fmac_f64_e32 v[0:1], v[42:43], v[48:49]
	v_fma_f64 v[22:23], -v[40:41], v[48:49], v[22:23]
	v_fmac_f64_e32 v[24:25], v[38:39], v[48:49]
	;; [unrolled: 2-line block ×4, first 2 shown]
	s_and_not1_b32 exec_lo, exec_lo, s2
	s_cbranch_execnz .LBB114_13
; %bb.14:
	s_or_b32 exec_lo, exec_lo, s2
.LBB114_15:
	s_delay_alu instid0(SALU_CYCLE_1)
	s_or_b32 exec_lo, exec_lo, s3
.LBB114_16:
	v_mbcnt_lo_u32_b32 v44, -1, 0
	s_delay_alu instid0(VALU_DEP_1) | instskip(NEXT) | instid1(VALU_DEP_1)
	v_xor_b32_e32 v26, 16, v44
	v_cmp_gt_i32_e32 vcc_lo, 32, v26
	v_cndmask_b32_e32 v26, v44, v26, vcc_lo
	s_delay_alu instid0(VALU_DEP_1)
	v_lshlrev_b32_e32 v41, 2, v26
	ds_bpermute_b32 v28, v41, v0
	ds_bpermute_b32 v29, v41, v1
	s_wait_dscnt 0x0
	v_add_f64_e32 v[0:1], v[0:1], v[28:29]
	ds_bpermute_b32 v26, v41, v14
	ds_bpermute_b32 v27, v41, v15
	;; [unrolled: 1-line block ×14, first 2 shown]
	s_wait_dscnt 0xc
	v_dual_add_f64 v[14:15], v[14:15], v[26:27] :: v_dual_bitop2_b32 v26, 8, v44 bitop3:0x14
	s_wait_dscnt 0xa
	v_add_f64_e32 v[22:23], v[22:23], v[30:31]
	s_delay_alu instid0(VALU_DEP_2)
	v_cmp_gt_i32_e32 vcc_lo, 32, v26
	s_wait_dscnt 0x6
	v_add_f64_e32 v[18:19], v[18:19], v[34:35]
	s_wait_dscnt 0x2
	v_add_f64_e32 v[12:13], v[12:13], v[38:39]
	v_cndmask_b32_e32 v26, v44, v26, vcc_lo
	v_add_f64_e32 v[24:25], v[24:25], v[32:33]
	s_wait_dscnt 0x0
	s_delay_alu instid0(VALU_DEP_2)
	v_dual_add_f64 v[16:17], v[16:17], v[40:41] :: v_dual_lshlrev_b32 v41, 2, v26
	ds_bpermute_b32 v28, v41, v0
	ds_bpermute_b32 v29, v41, v1
	;; [unrolled: 1-line block ×7, first 2 shown]
	s_wait_dscnt 0x5
	v_add_f64_e32 v[0:1], v[0:1], v[28:29]
	ds_bpermute_b32 v32, v41, v24
	ds_bpermute_b32 v33, v41, v25
	ds_bpermute_b32 v39, v41, v13
	ds_bpermute_b32 v40, v41, v16
	s_wait_dscnt 0x7
	v_dual_add_f64 v[14:15], v[14:15], v[26:27] :: v_dual_bitop2_b32 v26, 4, v44 bitop3:0x14
	ds_bpermute_b32 v34, v41, v18
	ds_bpermute_b32 v35, v41, v19
	s_wait_dscnt 0x7
	v_add_f64_e32 v[22:23], v[22:23], v[30:31]
	v_cmp_gt_i32_e32 vcc_lo, 32, v26
	v_cndmask_b32_e32 v26, v44, v26, vcc_lo
	v_add_f64_e32 v[20:21], v[20:21], v[36:37]
	s_wait_dscnt 0x4
	v_add_f64_e32 v[24:25], v[24:25], v[32:33]
	s_wait_dscnt 0x0
	v_add_f64_e32 v[18:19], v[18:19], v[34:35]
	ds_bpermute_b32 v36, v41, v20
	ds_bpermute_b32 v37, v41, v21
	ds_bpermute_b32 v41, v41, v17
	s_wait_dscnt 0x0
	v_dual_add_f64 v[16:17], v[16:17], v[40:41] :: v_dual_lshlrev_b32 v41, 2, v26
	v_add_f64_e32 v[20:21], v[20:21], v[36:37]
	ds_bpermute_b32 v26, v41, v14
	ds_bpermute_b32 v27, v41, v15
	;; [unrolled: 1-line block ×10, first 2 shown]
	s_wait_dscnt 0x8
	v_add_f64_e32 v[14:15], v[14:15], v[26:27]
	s_wait_dscnt 0x6
	v_add_f64_e32 v[26:27], v[0:1], v[28:29]
	v_xor_b32_e32 v0, 2, v44
	s_wait_dscnt 0x4
	v_add_f64_e32 v[28:29], v[24:25], v[32:33]
	ds_bpermute_b32 v40, v41, v16
	s_wait_dscnt 0x3
	v_add_f64_e32 v[22:23], v[22:23], v[30:31]
	ds_bpermute_b32 v36, v41, v20
	v_cmp_gt_i32_e32 vcc_lo, 32, v0
	ds_bpermute_b32 v37, v41, v21
	s_wait_dscnt 0x3
	v_dual_add_f64 v[18:19], v[18:19], v[34:35] :: v_dual_cndmask_b32 v0, v44, v0, vcc_lo
	s_delay_alu instid0(VALU_DEP_1)
	v_dual_add_f64 v[12:13], v[12:13], v[38:39] :: v_dual_lshlrev_b32 v24, 2, v0
	s_wait_dscnt 0x0
	v_add_f64_e32 v[20:21], v[20:21], v[36:37]
	ds_bpermute_b32 v0, v24, v14
	ds_bpermute_b32 v1, v24, v15
	;; [unrolled: 1-line block ×9, first 2 shown]
	s_wait_dscnt 0x7
	v_add_f64_e32 v[0:1], v[14:15], v[0:1]
	s_wait_dscnt 0x3
	v_add_f64_e32 v[14:15], v[18:19], v[36:37]
	;; [unrolled: 2-line block ×4, first 2 shown]
	ds_bpermute_b32 v12, v24, v26
	ds_bpermute_b32 v13, v24, v27
	;; [unrolled: 1-line block ×6, first 2 shown]
	s_wait_dscnt 0x0
	v_add_f64_e32 v[20:21], v[20:21], v[38:39]
	ds_bpermute_b32 v40, v24, v30
	ds_bpermute_b32 v41, v24, v31
	;; [unrolled: 1-line block ×4, first 2 shown]
	v_add_f64_e32 v[24:25], v[26:27], v[12:13]
	v_add_f64_e32 v[12:13], v[22:23], v[16:17]
	v_dual_add_f64 v[22:23], v[28:29], v[34:35] :: v_dual_bitop2_b32 v26, 1, v44 bitop3:0x14
	s_delay_alu instid0(VALU_DEP_1) | instskip(SKIP_3) | instid1(VALU_DEP_2)
	v_cmp_gt_i32_e32 vcc_lo, 32, v26
	v_cndmask_b32_e32 v26, v44, v26, vcc_lo
	v_cmp_eq_u32_e32 vcc_lo, 31, v11
	s_wait_dscnt 0x2
	v_dual_add_f64 v[16:17], v[30:31], v[40:41] :: v_dual_lshlrev_b32 v29, 2, v26
	s_wait_dscnt 0x0
	v_add_f64_e32 v[18:19], v[32:33], v[42:43]
	ds_bpermute_b32 v40, v29, v0
	ds_bpermute_b32 v41, v29, v1
	ds_bpermute_b32 v32, v29, v14
	ds_bpermute_b32 v33, v29, v15
	ds_bpermute_b32 v30, v29, v20
	ds_bpermute_b32 v31, v29, v21
	ds_bpermute_b32 v38, v29, v24
	ds_bpermute_b32 v39, v29, v25
	ds_bpermute_b32 v36, v29, v12
	ds_bpermute_b32 v37, v29, v13
	ds_bpermute_b32 v34, v29, v22
	ds_bpermute_b32 v35, v29, v23
	ds_bpermute_b32 v26, v29, v16
	ds_bpermute_b32 v27, v29, v17
	ds_bpermute_b32 v28, v29, v18
	ds_bpermute_b32 v29, v29, v19
	s_and_b32 exec_lo, exec_lo, vcc_lo
	s_cbranch_execz .LBB114_21
; %bb.17:
	v_cmp_eq_f64_e32 vcc_lo, 0, v[6:7]
	v_cmp_eq_f64_e64 s2, 0, v[8:9]
	s_wait_dscnt 0xe
	v_add_f64_e32 v[0:1], v[0:1], v[40:41]
	s_wait_dscnt 0x8
	v_add_f64_e32 v[24:25], v[24:25], v[38:39]
	;; [unrolled: 2-line block ×4, first 2 shown]
	v_add_f64_e32 v[14:15], v[14:15], v[32:33]
	v_add_f64_e32 v[20:21], v[20:21], v[30:31]
	s_wait_dscnt 0x2
	v_add_f64_e32 v[16:17], v[16:17], v[26:27]
	s_wait_dscnt 0x0
	v_add_f64_e32 v[18:19], v[18:19], v[28:29]
	s_load_b64 s[0:1], s[0:1], 0x48
	s_and_b32 s2, vcc_lo, s2
	s_delay_alu instid0(SALU_CYCLE_1) | instskip(NEXT) | instid1(SALU_CYCLE_1)
	s_and_saveexec_b32 s3, s2
	s_xor_b32 s2, exec_lo, s3
	s_cbranch_execz .LBB114_19
; %bb.18:
	v_mul_f64_e64 v[6:7], v[24:25], -v[4:5]
	v_mul_f64_e32 v[8:9], v[2:3], v[24:25]
	v_mul_f64_e64 v[24:25], v[22:23], -v[4:5]
	v_mul_f64_e32 v[26:27], v[2:3], v[22:23]
	;; [unrolled: 2-line block ×4, first 2 shown]
                                        ; implicit-def: $vgpr18_vgpr19
	v_fmac_f64_e32 v[6:7], v[2:3], v[0:1]
	v_fmac_f64_e32 v[8:9], v[4:5], v[0:1]
	v_fmac_f64_e32 v[24:25], v[2:3], v[12:13]
	v_fmac_f64_e32 v[26:27], v[4:5], v[12:13]
	v_fmac_f64_e32 v[28:29], v[2:3], v[14:15]
	v_fmac_f64_e32 v[30:31], v[4:5], v[14:15]
	v_fmac_f64_e32 v[20:21], v[2:3], v[16:17]
	v_fmac_f64_e32 v[22:23], v[4:5], v[16:17]
	v_lshlrev_b32_e32 v0, 2, v10
                                        ; implicit-def: $vgpr10
                                        ; implicit-def: $vgpr12_vgpr13
                                        ; implicit-def: $vgpr14_vgpr15
                                        ; implicit-def: $vgpr16_vgpr17
                                        ; implicit-def: $vgpr4_vgpr5
	s_wait_kmcnt 0x0
	s_clause 0x3
	global_store_b128 v0, v[6:9], s[0:1] scale_offset
	global_store_b128 v0, v[24:27], s[0:1] offset:16 scale_offset
	global_store_b128 v0, v[28:31], s[0:1] offset:32 scale_offset
	global_store_b128 v0, v[20:23], s[0:1] offset:48 scale_offset
                                        ; implicit-def: $vgpr0_vgpr1
                                        ; implicit-def: $vgpr24_vgpr25
                                        ; implicit-def: $vgpr22_vgpr23
                                        ; implicit-def: $vgpr20_vgpr21
                                        ; implicit-def: $vgpr8_vgpr9
.LBB114_19:
	s_wait_xcnt 0x0
	s_and_not1_saveexec_b32 s2, s2
	s_cbranch_execz .LBB114_21
; %bb.20:
	v_dual_mul_f64 v[42:43], v[24:25], -v[4:5] :: v_dual_lshlrev_b32 v52, 2, v10
	v_mul_f64_e32 v[24:25], v[2:3], v[24:25]
	v_mul_f64_e64 v[46:47], v[22:23], -v[4:5]
	v_mul_f64_e32 v[44:45], v[2:3], v[22:23]
	s_wait_kmcnt 0x0
	s_clause 0x3
	global_load_b128 v[26:29], v52, s[0:1] scale_offset
	global_load_b128 v[30:33], v52, s[0:1] offset:16 scale_offset
	global_load_b128 v[34:37], v52, s[0:1] offset:32 scale_offset
	;; [unrolled: 1-line block ×3, first 2 shown]
	v_mul_f64_e64 v[48:49], v[20:21], -v[4:5]
	v_mul_f64_e32 v[20:21], v[2:3], v[20:21]
	v_mul_f64_e64 v[50:51], v[18:19], -v[4:5]
	v_mul_f64_e32 v[10:11], v[2:3], v[18:19]
	v_fmac_f64_e32 v[42:43], v[2:3], v[0:1]
	v_fmac_f64_e32 v[24:25], v[4:5], v[0:1]
	v_fmac_f64_e32 v[46:47], v[2:3], v[12:13]
	v_fmac_f64_e32 v[44:45], v[4:5], v[12:13]
	v_fmac_f64_e32 v[48:49], v[2:3], v[14:15]
	v_fmac_f64_e32 v[20:21], v[4:5], v[14:15]
	v_fmac_f64_e32 v[50:51], v[2:3], v[16:17]
	v_fmac_f64_e32 v[10:11], v[4:5], v[16:17]
	s_wait_loadcnt 0x3
	v_fmac_f64_e32 v[42:43], v[6:7], v[26:27]
	v_fmac_f64_e32 v[24:25], v[8:9], v[26:27]
	s_wait_loadcnt 0x2
	v_fmac_f64_e32 v[46:47], v[6:7], v[30:31]
	v_fmac_f64_e32 v[44:45], v[8:9], v[30:31]
	;; [unrolled: 3-line block ×4, first 2 shown]
	v_fma_f64 v[22:23], -v[8:9], v[28:29], v[42:43]
	v_fmac_f64_e32 v[24:25], v[6:7], v[28:29]
	v_fma_f64 v[42:43], -v[8:9], v[32:33], v[46:47]
	v_fmac_f64_e32 v[44:45], v[6:7], v[32:33]
	;; [unrolled: 2-line block ×4, first 2 shown]
	s_clause 0x3
	global_store_b128 v52, v[22:25], s[0:1] scale_offset
	global_store_b128 v52, v[42:45], s[0:1] offset:16 scale_offset
	global_store_b128 v52, v[18:21], s[0:1] offset:32 scale_offset
	;; [unrolled: 1-line block ×3, first 2 shown]
.LBB114_21:
	s_endpgm
	.section	.rodata,"a",@progbits
	.p2align	6, 0x0
	.amdhsa_kernel _ZN9rocsparseL19gebsrmvn_4xn_kernelILj128ELj1ELj32E21rocsparse_complex_numIdEEEvi20rocsparse_direction_NS_24const_host_device_scalarIT2_EEPKiS8_PKS5_SA_S6_PS5_21rocsparse_index_base_b
		.amdhsa_group_segment_fixed_size 0
		.amdhsa_private_segment_fixed_size 0
		.amdhsa_kernarg_size 88
		.amdhsa_user_sgpr_count 2
		.amdhsa_user_sgpr_dispatch_ptr 0
		.amdhsa_user_sgpr_queue_ptr 0
		.amdhsa_user_sgpr_kernarg_segment_ptr 1
		.amdhsa_user_sgpr_dispatch_id 0
		.amdhsa_user_sgpr_kernarg_preload_length 0
		.amdhsa_user_sgpr_kernarg_preload_offset 0
		.amdhsa_user_sgpr_private_segment_size 0
		.amdhsa_wavefront_size32 1
		.amdhsa_uses_dynamic_stack 0
		.amdhsa_enable_private_segment 0
		.amdhsa_system_sgpr_workgroup_id_x 1
		.amdhsa_system_sgpr_workgroup_id_y 0
		.amdhsa_system_sgpr_workgroup_id_z 0
		.amdhsa_system_sgpr_workgroup_info 0
		.amdhsa_system_vgpr_workitem_id 0
		.amdhsa_next_free_vgpr 53
		.amdhsa_next_free_sgpr 14
		.amdhsa_named_barrier_count 0
		.amdhsa_reserve_vcc 1
		.amdhsa_float_round_mode_32 0
		.amdhsa_float_round_mode_16_64 0
		.amdhsa_float_denorm_mode_32 3
		.amdhsa_float_denorm_mode_16_64 3
		.amdhsa_fp16_overflow 0
		.amdhsa_memory_ordered 1
		.amdhsa_forward_progress 1
		.amdhsa_inst_pref_size 20
		.amdhsa_round_robin_scheduling 0
		.amdhsa_exception_fp_ieee_invalid_op 0
		.amdhsa_exception_fp_denorm_src 0
		.amdhsa_exception_fp_ieee_div_zero 0
		.amdhsa_exception_fp_ieee_overflow 0
		.amdhsa_exception_fp_ieee_underflow 0
		.amdhsa_exception_fp_ieee_inexact 0
		.amdhsa_exception_int_div_zero 0
	.end_amdhsa_kernel
	.section	.text._ZN9rocsparseL19gebsrmvn_4xn_kernelILj128ELj1ELj32E21rocsparse_complex_numIdEEEvi20rocsparse_direction_NS_24const_host_device_scalarIT2_EEPKiS8_PKS5_SA_S6_PS5_21rocsparse_index_base_b,"axG",@progbits,_ZN9rocsparseL19gebsrmvn_4xn_kernelILj128ELj1ELj32E21rocsparse_complex_numIdEEEvi20rocsparse_direction_NS_24const_host_device_scalarIT2_EEPKiS8_PKS5_SA_S6_PS5_21rocsparse_index_base_b,comdat
.Lfunc_end114:
	.size	_ZN9rocsparseL19gebsrmvn_4xn_kernelILj128ELj1ELj32E21rocsparse_complex_numIdEEEvi20rocsparse_direction_NS_24const_host_device_scalarIT2_EEPKiS8_PKS5_SA_S6_PS5_21rocsparse_index_base_b, .Lfunc_end114-_ZN9rocsparseL19gebsrmvn_4xn_kernelILj128ELj1ELj32E21rocsparse_complex_numIdEEEvi20rocsparse_direction_NS_24const_host_device_scalarIT2_EEPKiS8_PKS5_SA_S6_PS5_21rocsparse_index_base_b
                                        ; -- End function
	.set _ZN9rocsparseL19gebsrmvn_4xn_kernelILj128ELj1ELj32E21rocsparse_complex_numIdEEEvi20rocsparse_direction_NS_24const_host_device_scalarIT2_EEPKiS8_PKS5_SA_S6_PS5_21rocsparse_index_base_b.num_vgpr, 53
	.set _ZN9rocsparseL19gebsrmvn_4xn_kernelILj128ELj1ELj32E21rocsparse_complex_numIdEEEvi20rocsparse_direction_NS_24const_host_device_scalarIT2_EEPKiS8_PKS5_SA_S6_PS5_21rocsparse_index_base_b.num_agpr, 0
	.set _ZN9rocsparseL19gebsrmvn_4xn_kernelILj128ELj1ELj32E21rocsparse_complex_numIdEEEvi20rocsparse_direction_NS_24const_host_device_scalarIT2_EEPKiS8_PKS5_SA_S6_PS5_21rocsparse_index_base_b.numbered_sgpr, 14
	.set _ZN9rocsparseL19gebsrmvn_4xn_kernelILj128ELj1ELj32E21rocsparse_complex_numIdEEEvi20rocsparse_direction_NS_24const_host_device_scalarIT2_EEPKiS8_PKS5_SA_S6_PS5_21rocsparse_index_base_b.num_named_barrier, 0
	.set _ZN9rocsparseL19gebsrmvn_4xn_kernelILj128ELj1ELj32E21rocsparse_complex_numIdEEEvi20rocsparse_direction_NS_24const_host_device_scalarIT2_EEPKiS8_PKS5_SA_S6_PS5_21rocsparse_index_base_b.private_seg_size, 0
	.set _ZN9rocsparseL19gebsrmvn_4xn_kernelILj128ELj1ELj32E21rocsparse_complex_numIdEEEvi20rocsparse_direction_NS_24const_host_device_scalarIT2_EEPKiS8_PKS5_SA_S6_PS5_21rocsparse_index_base_b.uses_vcc, 1
	.set _ZN9rocsparseL19gebsrmvn_4xn_kernelILj128ELj1ELj32E21rocsparse_complex_numIdEEEvi20rocsparse_direction_NS_24const_host_device_scalarIT2_EEPKiS8_PKS5_SA_S6_PS5_21rocsparse_index_base_b.uses_flat_scratch, 0
	.set _ZN9rocsparseL19gebsrmvn_4xn_kernelILj128ELj1ELj32E21rocsparse_complex_numIdEEEvi20rocsparse_direction_NS_24const_host_device_scalarIT2_EEPKiS8_PKS5_SA_S6_PS5_21rocsparse_index_base_b.has_dyn_sized_stack, 0
	.set _ZN9rocsparseL19gebsrmvn_4xn_kernelILj128ELj1ELj32E21rocsparse_complex_numIdEEEvi20rocsparse_direction_NS_24const_host_device_scalarIT2_EEPKiS8_PKS5_SA_S6_PS5_21rocsparse_index_base_b.has_recursion, 0
	.set _ZN9rocsparseL19gebsrmvn_4xn_kernelILj128ELj1ELj32E21rocsparse_complex_numIdEEEvi20rocsparse_direction_NS_24const_host_device_scalarIT2_EEPKiS8_PKS5_SA_S6_PS5_21rocsparse_index_base_b.has_indirect_call, 0
	.section	.AMDGPU.csdata,"",@progbits
; Kernel info:
; codeLenInByte = 2504
; TotalNumSgprs: 16
; NumVgprs: 53
; ScratchSize: 0
; MemoryBound: 0
; FloatMode: 240
; IeeeMode: 1
; LDSByteSize: 0 bytes/workgroup (compile time only)
; SGPRBlocks: 0
; VGPRBlocks: 3
; NumSGPRsForWavesPerEU: 16
; NumVGPRsForWavesPerEU: 53
; NamedBarCnt: 0
; Occupancy: 16
; WaveLimiterHint : 1
; COMPUTE_PGM_RSRC2:SCRATCH_EN: 0
; COMPUTE_PGM_RSRC2:USER_SGPR: 2
; COMPUTE_PGM_RSRC2:TRAP_HANDLER: 0
; COMPUTE_PGM_RSRC2:TGID_X_EN: 1
; COMPUTE_PGM_RSRC2:TGID_Y_EN: 0
; COMPUTE_PGM_RSRC2:TGID_Z_EN: 0
; COMPUTE_PGM_RSRC2:TIDIG_COMP_CNT: 0
	.section	.text._ZN9rocsparseL19gebsrmvn_4xn_kernelILj128ELj1ELj64E21rocsparse_complex_numIdEEEvi20rocsparse_direction_NS_24const_host_device_scalarIT2_EEPKiS8_PKS5_SA_S6_PS5_21rocsparse_index_base_b,"axG",@progbits,_ZN9rocsparseL19gebsrmvn_4xn_kernelILj128ELj1ELj64E21rocsparse_complex_numIdEEEvi20rocsparse_direction_NS_24const_host_device_scalarIT2_EEPKiS8_PKS5_SA_S6_PS5_21rocsparse_index_base_b,comdat
	.globl	_ZN9rocsparseL19gebsrmvn_4xn_kernelILj128ELj1ELj64E21rocsparse_complex_numIdEEEvi20rocsparse_direction_NS_24const_host_device_scalarIT2_EEPKiS8_PKS5_SA_S6_PS5_21rocsparse_index_base_b ; -- Begin function _ZN9rocsparseL19gebsrmvn_4xn_kernelILj128ELj1ELj64E21rocsparse_complex_numIdEEEvi20rocsparse_direction_NS_24const_host_device_scalarIT2_EEPKiS8_PKS5_SA_S6_PS5_21rocsparse_index_base_b
	.p2align	8
	.type	_ZN9rocsparseL19gebsrmvn_4xn_kernelILj128ELj1ELj64E21rocsparse_complex_numIdEEEvi20rocsparse_direction_NS_24const_host_device_scalarIT2_EEPKiS8_PKS5_SA_S6_PS5_21rocsparse_index_base_b,@function
_ZN9rocsparseL19gebsrmvn_4xn_kernelILj128ELj1ELj64E21rocsparse_complex_numIdEEEvi20rocsparse_direction_NS_24const_host_device_scalarIT2_EEPKiS8_PKS5_SA_S6_PS5_21rocsparse_index_base_b: ; @_ZN9rocsparseL19gebsrmvn_4xn_kernelILj128ELj1ELj64E21rocsparse_complex_numIdEEEvi20rocsparse_direction_NS_24const_host_device_scalarIT2_EEPKiS8_PKS5_SA_S6_PS5_21rocsparse_index_base_b
; %bb.0:
	s_clause 0x1
	s_load_b64 s[12:13], s[0:1], 0x50
	s_load_b64 s[2:3], s[0:1], 0x8
	v_mov_b32_e32 v1, 0
	s_add_nc_u64 s[4:5], s[0:1], 8
	s_load_b64 s[6:7], s[0:1], 0x38
	s_wait_kmcnt 0x0
	s_bitcmp1_b32 s13, 0
	s_cselect_b32 s3, s5, s3
	s_cselect_b32 s2, s4, s2
	flat_load_b128 v[2:5], v1, s[2:3]
	s_wait_xcnt 0x0
	s_add_nc_u64 s[2:3], s[0:1], 56
	s_delay_alu instid0(SALU_CYCLE_1)
	s_cselect_b32 s3, s3, s7
	s_cselect_b32 s2, s2, s6
	flat_load_b128 v[6:9], v1, s[2:3]
	s_wait_loadcnt_dscnt 0x101
	v_cmp_eq_f64_e32 vcc_lo, 0, v[2:3]
	s_wait_xcnt 0x0
	v_cmp_eq_f64_e64 s2, 0, v[4:5]
	s_and_b32 s4, vcc_lo, s2
	s_mov_b32 s2, -1
	s_and_saveexec_b32 s3, s4
	s_cbranch_execz .LBB115_2
; %bb.1:
	s_wait_loadcnt_dscnt 0x0
	v_cmp_neq_f64_e32 vcc_lo, 1.0, v[6:7]
	v_cmp_neq_f64_e64 s2, 0, v[8:9]
	s_or_b32 s2, vcc_lo, s2
	s_delay_alu instid0(SALU_CYCLE_1)
	s_or_not1_b32 s2, s2, exec_lo
.LBB115_2:
	s_or_b32 exec_lo, exec_lo, s3
	s_and_saveexec_b32 s3, s2
	s_cbranch_execz .LBB115_21
; %bb.3:
	s_load_b64 s[2:3], s[0:1], 0x0
	s_bfe_u32 s4, ttmp6, 0x4000c
	s_and_b32 s5, ttmp6, 15
	s_add_co_i32 s4, s4, 1
	s_getreg_b32 s6, hwreg(HW_REG_IB_STS2, 6, 4)
	s_mul_i32 s4, ttmp9, s4
	v_lshrrev_b32_e32 v1, 6, v0
	s_add_co_i32 s5, s5, s4
	s_cmp_eq_u32 s6, 0
	s_cselect_b32 s4, ttmp9, s5
	s_delay_alu instid0(VALU_DEP_1) | instid1(SALU_CYCLE_1)
	v_lshl_or_b32 v10, s4, 1, v1
	s_wait_kmcnt 0x0
	s_delay_alu instid0(VALU_DEP_1)
	v_cmp_gt_i32_e32 vcc_lo, s2, v10
	s_and_b32 exec_lo, exec_lo, vcc_lo
	s_cbranch_execz .LBB115_21
; %bb.4:
	s_load_b256 s[4:11], s[0:1], 0x18
	v_ashrrev_i32_e32 v11, 31, v10
	s_cmp_lg_u32 s3, 0
	s_wait_kmcnt 0x0
	s_delay_alu instid0(VALU_DEP_1)
	v_lshl_add_u64 v[12:13], v[10:11], 2, s[4:5]
	v_and_b32_e32 v11, 63, v0
	global_load_b64 v[12:13], v[12:13], off
	s_wait_loadcnt 0x0
	v_subrev_nc_u32_e32 v0, s12, v12
	v_subrev_nc_u32_e32 v26, s12, v13
	s_delay_alu instid0(VALU_DEP_2) | instskip(NEXT) | instid1(VALU_DEP_1)
	v_add_nc_u32_e32 v27, v0, v11
	v_cmp_lt_i32_e64 s2, v27, v26
	s_cbranch_scc0 .LBB115_10
; %bb.5:
	v_mov_b64_e32 v[0:1], 0
	v_mov_b64_e32 v[14:15], 0
	;; [unrolled: 1-line block ×8, first 2 shown]
	s_and_saveexec_b32 s3, s2
	s_cbranch_execz .LBB115_9
; %bb.6:
	v_mov_b64_e32 v[0:1], 0
	v_mov_b64_e32 v[14:15], 0
	;; [unrolled: 1-line block ×8, first 2 shown]
	v_dual_mov_b32 v29, v27 :: v_dual_lshlrev_b32 v28, 2, v27
	s_mov_b32 s4, 0
.LBB115_7:                              ; =>This Inner Loop Header: Depth=1
	global_load_b32 v46, v29, s[6:7] scale_offset
	s_clause 0x3
	global_load_b128 v[30:33], v28, s[8:9] offset:48 scale_offset
	global_load_b128 v[34:37], v28, s[8:9] offset:32 scale_offset
	;; [unrolled: 1-line block ×3, first 2 shown]
	global_load_b128 v[42:45], v28, s[8:9] scale_offset
	s_wait_xcnt 0x4
	v_add_nc_u32_e32 v29, 64, v29
	s_wait_xcnt 0x0
	v_add_nc_u32_e32 v28, 0x100, v28
	s_delay_alu instid0(VALU_DEP_2)
	v_cmp_ge_i32_e32 vcc_lo, v29, v26
	s_or_b32 s4, vcc_lo, s4
	s_wait_loadcnt 0x4
	v_subrev_nc_u32_e32 v46, s12, v46
	global_load_b128 v[46:49], v46, s[10:11] scale_offset
	s_wait_loadcnt 0x0
	v_fmac_f64_e32 v[14:15], v[42:43], v[46:47]
	v_fmac_f64_e32 v[0:1], v[44:45], v[46:47]
	;; [unrolled: 1-line block ×8, first 2 shown]
	v_fma_f64 v[14:15], -v[44:45], v[48:49], v[14:15]
	v_fmac_f64_e32 v[0:1], v[42:43], v[48:49]
	v_fma_f64 v[22:23], -v[40:41], v[48:49], v[22:23]
	v_fmac_f64_e32 v[24:25], v[38:39], v[48:49]
	;; [unrolled: 2-line block ×4, first 2 shown]
	s_and_not1_b32 exec_lo, exec_lo, s4
	s_cbranch_execnz .LBB115_7
; %bb.8:
	s_or_b32 exec_lo, exec_lo, s4
.LBB115_9:
	s_delay_alu instid0(SALU_CYCLE_1)
	s_or_b32 exec_lo, exec_lo, s3
	s_cbranch_execz .LBB115_11
	s_branch .LBB115_16
.LBB115_10:
                                        ; implicit-def: $vgpr0_vgpr1
                                        ; implicit-def: $vgpr14_vgpr15
                                        ; implicit-def: $vgpr12_vgpr13
                                        ; implicit-def: $vgpr16_vgpr17
                                        ; implicit-def: $vgpr18_vgpr19
                                        ; implicit-def: $vgpr20_vgpr21
                                        ; implicit-def: $vgpr22_vgpr23
                                        ; implicit-def: $vgpr24_vgpr25
.LBB115_11:
	v_mov_b64_e32 v[0:1], 0
	v_mov_b64_e32 v[14:15], 0
	;; [unrolled: 1-line block ×8, first 2 shown]
	s_and_saveexec_b32 s3, s2
	s_cbranch_execz .LBB115_15
; %bb.12:
	v_mov_b64_e32 v[0:1], 0
	v_mov_b64_e32 v[14:15], 0
	;; [unrolled: 1-line block ×8, first 2 shown]
	v_lshlrev_b32_e32 v28, 2, v27
	s_mov_b32 s2, 0
.LBB115_13:                             ; =>This Inner Loop Header: Depth=1
	global_load_b32 v29, v27, s[6:7] scale_offset
	s_clause 0x3
	global_load_b128 v[30:33], v28, s[8:9] offset:48 scale_offset
	global_load_b128 v[34:37], v28, s[8:9] offset:32 scale_offset
	;; [unrolled: 1-line block ×3, first 2 shown]
	global_load_b128 v[42:45], v28, s[8:9] scale_offset
	s_wait_xcnt 0x0
	v_add_nc_u32_e32 v28, 0x100, v28
	v_add_nc_u32_e32 v27, 64, v27
	s_delay_alu instid0(VALU_DEP_1)
	v_cmp_ge_i32_e32 vcc_lo, v27, v26
	s_or_b32 s2, vcc_lo, s2
	s_wait_loadcnt 0x4
	v_subrev_nc_u32_e32 v29, s12, v29
	global_load_b128 v[46:49], v29, s[10:11] scale_offset
	s_wait_loadcnt 0x0
	v_fmac_f64_e32 v[14:15], v[42:43], v[46:47]
	v_fmac_f64_e32 v[0:1], v[44:45], v[46:47]
	;; [unrolled: 1-line block ×8, first 2 shown]
	v_fma_f64 v[14:15], -v[44:45], v[48:49], v[14:15]
	v_fmac_f64_e32 v[0:1], v[42:43], v[48:49]
	v_fma_f64 v[22:23], -v[40:41], v[48:49], v[22:23]
	v_fmac_f64_e32 v[24:25], v[38:39], v[48:49]
	;; [unrolled: 2-line block ×4, first 2 shown]
	s_and_not1_b32 exec_lo, exec_lo, s2
	s_cbranch_execnz .LBB115_13
; %bb.14:
	s_or_b32 exec_lo, exec_lo, s2
.LBB115_15:
	s_delay_alu instid0(SALU_CYCLE_1)
	s_or_b32 exec_lo, exec_lo, s3
.LBB115_16:
	v_mbcnt_lo_u32_b32 v44, -1, 0
	s_delay_alu instid0(VALU_DEP_1) | instskip(NEXT) | instid1(VALU_DEP_1)
	v_or_b32_e32 v26, 32, v44
	v_cmp_gt_i32_e32 vcc_lo, 32, v26
	v_cndmask_b32_e32 v26, v44, v26, vcc_lo
	s_delay_alu instid0(VALU_DEP_1)
	v_lshlrev_b32_e32 v41, 2, v26
	ds_bpermute_b32 v28, v41, v0
	ds_bpermute_b32 v29, v41, v1
	s_wait_dscnt 0x0
	v_add_f64_e32 v[0:1], v[0:1], v[28:29]
	ds_bpermute_b32 v26, v41, v14
	ds_bpermute_b32 v27, v41, v15
	ds_bpermute_b32 v30, v41, v22
	ds_bpermute_b32 v31, v41, v23
	ds_bpermute_b32 v32, v41, v24
	ds_bpermute_b32 v33, v41, v25
	ds_bpermute_b32 v34, v41, v18
	ds_bpermute_b32 v35, v41, v19
	ds_bpermute_b32 v36, v41, v20
	ds_bpermute_b32 v37, v41, v21
	ds_bpermute_b32 v38, v41, v12
	ds_bpermute_b32 v39, v41, v13
	ds_bpermute_b32 v40, v41, v16
	ds_bpermute_b32 v41, v41, v17
	s_wait_dscnt 0xc
	v_dual_add_f64 v[14:15], v[14:15], v[26:27] :: v_dual_bitop2_b32 v26, 16, v44 bitop3:0x14
	s_wait_dscnt 0xa
	v_add_f64_e32 v[22:23], v[22:23], v[30:31]
	s_delay_alu instid0(VALU_DEP_2)
	v_cmp_gt_i32_e32 vcc_lo, 32, v26
	s_wait_dscnt 0x6
	v_add_f64_e32 v[18:19], v[18:19], v[34:35]
	s_wait_dscnt 0x2
	v_add_f64_e32 v[12:13], v[12:13], v[38:39]
	v_cndmask_b32_e32 v26, v44, v26, vcc_lo
	v_add_f64_e32 v[24:25], v[24:25], v[32:33]
	s_wait_dscnt 0x0
	s_delay_alu instid0(VALU_DEP_2)
	v_dual_add_f64 v[16:17], v[16:17], v[40:41] :: v_dual_lshlrev_b32 v41, 2, v26
	ds_bpermute_b32 v28, v41, v0
	ds_bpermute_b32 v29, v41, v1
	;; [unrolled: 1-line block ×11, first 2 shown]
	s_wait_dscnt 0x9
	v_add_f64_e32 v[0:1], v[0:1], v[28:29]
	s_wait_dscnt 0x7
	v_dual_add_f64 v[14:15], v[14:15], v[26:27] :: v_dual_bitop2_b32 v26, 8, v44 bitop3:0x14
	ds_bpermute_b32 v34, v41, v18
	ds_bpermute_b32 v35, v41, v19
	s_wait_dscnt 0x7
	v_add_f64_e32 v[22:23], v[22:23], v[30:31]
	v_cmp_gt_i32_e32 vcc_lo, 32, v26
	v_cndmask_b32_e32 v26, v44, v26, vcc_lo
	v_add_f64_e32 v[20:21], v[20:21], v[36:37]
	s_wait_dscnt 0x3
	v_add_f64_e32 v[24:25], v[24:25], v[32:33]
	s_wait_dscnt 0x0
	v_add_f64_e32 v[18:19], v[18:19], v[34:35]
	ds_bpermute_b32 v36, v41, v20
	ds_bpermute_b32 v37, v41, v21
	;; [unrolled: 1-line block ×3, first 2 shown]
	s_wait_dscnt 0x0
	v_dual_add_f64 v[16:17], v[16:17], v[40:41] :: v_dual_lshlrev_b32 v41, 2, v26
	v_add_f64_e32 v[20:21], v[20:21], v[36:37]
	ds_bpermute_b32 v26, v41, v14
	ds_bpermute_b32 v27, v41, v15
	;; [unrolled: 1-line block ×10, first 2 shown]
	s_wait_dscnt 0x8
	v_dual_add_f64 v[14:15], v[14:15], v[26:27] :: v_dual_bitop2_b32 v26, 4, v44 bitop3:0x14
	v_add_f64_e32 v[12:13], v[12:13], v[38:39]
	s_wait_dscnt 0x6
	v_add_f64_e32 v[0:1], v[0:1], v[28:29]
	s_wait_dscnt 0x4
	v_add_f64_e32 v[22:23], v[22:23], v[30:31]
	ds_bpermute_b32 v40, v41, v16
	s_wait_dscnt 0x3
	v_add_f64_e32 v[24:25], v[24:25], v[32:33]
	ds_bpermute_b32 v36, v41, v20
	ds_bpermute_b32 v37, v41, v21
	s_wait_dscnt 0x3
	v_add_f64_e32 v[18:19], v[18:19], v[34:35]
	v_cmp_gt_i32_e32 vcc_lo, 32, v26
	v_cndmask_b32_e32 v26, v44, v26, vcc_lo
	s_wait_dscnt 0x0
	v_add_f64_e32 v[20:21], v[20:21], v[36:37]
	ds_bpermute_b32 v38, v41, v12
	ds_bpermute_b32 v39, v41, v13
	;; [unrolled: 1-line block ×3, first 2 shown]
	s_wait_dscnt 0x1
	v_add_f64_e32 v[12:13], v[12:13], v[38:39]
	s_wait_dscnt 0x0
	v_dual_add_f64 v[16:17], v[16:17], v[40:41] :: v_dual_lshlrev_b32 v41, 2, v26
	ds_bpermute_b32 v26, v41, v14
	ds_bpermute_b32 v27, v41, v15
	;; [unrolled: 1-line block ×12, first 2 shown]
	s_wait_dscnt 0xa
	v_add_f64_e32 v[14:15], v[14:15], v[26:27]
	s_wait_dscnt 0x8
	v_add_f64_e32 v[26:27], v[0:1], v[28:29]
	v_xor_b32_e32 v0, 2, v44
	ds_bpermute_b32 v38, v41, v12
	ds_bpermute_b32 v39, v41, v13
	;; [unrolled: 1-line block ×4, first 2 shown]
	s_wait_dscnt 0xa
	v_add_f64_e32 v[22:23], v[22:23], v[30:31]
	s_wait_dscnt 0x8
	v_add_f64_e32 v[28:29], v[24:25], v[32:33]
	;; [unrolled: 2-line block ×4, first 2 shown]
	v_cmp_gt_i32_e32 vcc_lo, 32, v0
	v_cndmask_b32_e32 v0, v44, v0, vcc_lo
	s_wait_dscnt 0x2
	s_delay_alu instid0(VALU_DEP_1)
	v_dual_add_f64 v[30:31], v[12:13], v[38:39] :: v_dual_lshlrev_b32 v24, 2, v0
	s_wait_dscnt 0x0
	v_add_f64_e32 v[32:33], v[16:17], v[40:41]
	ds_bpermute_b32 v0, v24, v14
	ds_bpermute_b32 v1, v24, v15
	;; [unrolled: 1-line block ×12, first 2 shown]
	s_wait_dscnt 0xa
	v_add_f64_e32 v[0:1], v[14:15], v[0:1]
	ds_bpermute_b32 v40, v24, v30
	ds_bpermute_b32 v41, v24, v31
	;; [unrolled: 1-line block ×4, first 2 shown]
	s_wait_dscnt 0xc
	v_add_f64_e32 v[24:25], v[26:27], v[12:13]
	s_wait_dscnt 0xa
	v_add_f64_e32 v[12:13], v[22:23], v[16:17]
	s_wait_dscnt 0x8
	v_dual_add_f64 v[22:23], v[28:29], v[34:35] :: v_dual_bitop2_b32 v26, 1, v44 bitop3:0x14
	s_wait_dscnt 0x6
	v_add_f64_e32 v[14:15], v[18:19], v[36:37]
	s_wait_dscnt 0x4
	v_add_f64_e32 v[20:21], v[20:21], v[38:39]
	v_cmp_gt_i32_e32 vcc_lo, 32, v26
	v_cndmask_b32_e32 v26, v44, v26, vcc_lo
	v_cmp_eq_u32_e32 vcc_lo, 63, v11
	s_wait_dscnt 0x2
	s_delay_alu instid0(VALU_DEP_2)
	v_dual_add_f64 v[16:17], v[30:31], v[40:41] :: v_dual_lshlrev_b32 v29, 2, v26
	s_wait_dscnt 0x0
	v_add_f64_e32 v[18:19], v[32:33], v[42:43]
	ds_bpermute_b32 v40, v29, v0
	ds_bpermute_b32 v41, v29, v1
	;; [unrolled: 1-line block ×16, first 2 shown]
	s_and_b32 exec_lo, exec_lo, vcc_lo
	s_cbranch_execz .LBB115_21
; %bb.17:
	v_cmp_eq_f64_e32 vcc_lo, 0, v[6:7]
	v_cmp_eq_f64_e64 s2, 0, v[8:9]
	s_wait_dscnt 0xe
	v_add_f64_e32 v[0:1], v[0:1], v[40:41]
	s_wait_dscnt 0xc
	v_add_f64_e32 v[24:25], v[24:25], v[38:39]
	;; [unrolled: 2-line block ×8, first 2 shown]
	s_load_b64 s[0:1], s[0:1], 0x48
	s_and_b32 s2, vcc_lo, s2
	s_delay_alu instid0(SALU_CYCLE_1) | instskip(NEXT) | instid1(SALU_CYCLE_1)
	s_and_saveexec_b32 s3, s2
	s_xor_b32 s2, exec_lo, s3
	s_cbranch_execz .LBB115_19
; %bb.18:
	v_mul_f64_e64 v[6:7], v[24:25], -v[4:5]
	v_mul_f64_e32 v[8:9], v[2:3], v[24:25]
	v_mul_f64_e64 v[24:25], v[22:23], -v[4:5]
	v_mul_f64_e32 v[26:27], v[2:3], v[22:23]
	;; [unrolled: 2-line block ×4, first 2 shown]
                                        ; implicit-def: $vgpr18_vgpr19
	v_fmac_f64_e32 v[6:7], v[2:3], v[0:1]
	v_fmac_f64_e32 v[8:9], v[4:5], v[0:1]
	;; [unrolled: 1-line block ×8, first 2 shown]
	v_lshlrev_b32_e32 v0, 2, v10
                                        ; implicit-def: $vgpr10
                                        ; implicit-def: $vgpr12_vgpr13
                                        ; implicit-def: $vgpr14_vgpr15
                                        ; implicit-def: $vgpr16_vgpr17
                                        ; implicit-def: $vgpr4_vgpr5
	s_wait_kmcnt 0x0
	s_clause 0x3
	global_store_b128 v0, v[6:9], s[0:1] scale_offset
	global_store_b128 v0, v[24:27], s[0:1] offset:16 scale_offset
	global_store_b128 v0, v[28:31], s[0:1] offset:32 scale_offset
	;; [unrolled: 1-line block ×3, first 2 shown]
                                        ; implicit-def: $vgpr0_vgpr1
                                        ; implicit-def: $vgpr24_vgpr25
                                        ; implicit-def: $vgpr22_vgpr23
                                        ; implicit-def: $vgpr20_vgpr21
                                        ; implicit-def: $vgpr8_vgpr9
.LBB115_19:
	s_wait_xcnt 0x0
	s_and_not1_saveexec_b32 s2, s2
	s_cbranch_execz .LBB115_21
; %bb.20:
	v_dual_mul_f64 v[42:43], v[24:25], -v[4:5] :: v_dual_lshlrev_b32 v52, 2, v10
	v_mul_f64_e32 v[24:25], v[2:3], v[24:25]
	v_mul_f64_e64 v[46:47], v[22:23], -v[4:5]
	v_mul_f64_e32 v[44:45], v[2:3], v[22:23]
	s_wait_kmcnt 0x0
	s_clause 0x3
	global_load_b128 v[26:29], v52, s[0:1] scale_offset
	global_load_b128 v[30:33], v52, s[0:1] offset:16 scale_offset
	global_load_b128 v[34:37], v52, s[0:1] offset:32 scale_offset
	;; [unrolled: 1-line block ×3, first 2 shown]
	v_mul_f64_e64 v[48:49], v[20:21], -v[4:5]
	v_mul_f64_e32 v[20:21], v[2:3], v[20:21]
	v_mul_f64_e64 v[50:51], v[18:19], -v[4:5]
	v_mul_f64_e32 v[10:11], v[2:3], v[18:19]
	v_fmac_f64_e32 v[42:43], v[2:3], v[0:1]
	v_fmac_f64_e32 v[24:25], v[4:5], v[0:1]
	;; [unrolled: 1-line block ×8, first 2 shown]
	s_wait_loadcnt 0x3
	v_fmac_f64_e32 v[42:43], v[6:7], v[26:27]
	v_fmac_f64_e32 v[24:25], v[8:9], v[26:27]
	s_wait_loadcnt 0x2
	v_fmac_f64_e32 v[46:47], v[6:7], v[30:31]
	v_fmac_f64_e32 v[44:45], v[8:9], v[30:31]
	;; [unrolled: 3-line block ×4, first 2 shown]
	v_fma_f64 v[22:23], -v[8:9], v[28:29], v[42:43]
	v_fmac_f64_e32 v[24:25], v[6:7], v[28:29]
	v_fma_f64 v[42:43], -v[8:9], v[32:33], v[46:47]
	v_fmac_f64_e32 v[44:45], v[6:7], v[32:33]
	;; [unrolled: 2-line block ×4, first 2 shown]
	s_clause 0x3
	global_store_b128 v52, v[22:25], s[0:1] scale_offset
	global_store_b128 v52, v[42:45], s[0:1] offset:16 scale_offset
	global_store_b128 v52, v[18:21], s[0:1] offset:32 scale_offset
	;; [unrolled: 1-line block ×3, first 2 shown]
.LBB115_21:
	s_endpgm
	.section	.rodata,"a",@progbits
	.p2align	6, 0x0
	.amdhsa_kernel _ZN9rocsparseL19gebsrmvn_4xn_kernelILj128ELj1ELj64E21rocsparse_complex_numIdEEEvi20rocsparse_direction_NS_24const_host_device_scalarIT2_EEPKiS8_PKS5_SA_S6_PS5_21rocsparse_index_base_b
		.amdhsa_group_segment_fixed_size 0
		.amdhsa_private_segment_fixed_size 0
		.amdhsa_kernarg_size 88
		.amdhsa_user_sgpr_count 2
		.amdhsa_user_sgpr_dispatch_ptr 0
		.amdhsa_user_sgpr_queue_ptr 0
		.amdhsa_user_sgpr_kernarg_segment_ptr 1
		.amdhsa_user_sgpr_dispatch_id 0
		.amdhsa_user_sgpr_kernarg_preload_length 0
		.amdhsa_user_sgpr_kernarg_preload_offset 0
		.amdhsa_user_sgpr_private_segment_size 0
		.amdhsa_wavefront_size32 1
		.amdhsa_uses_dynamic_stack 0
		.amdhsa_enable_private_segment 0
		.amdhsa_system_sgpr_workgroup_id_x 1
		.amdhsa_system_sgpr_workgroup_id_y 0
		.amdhsa_system_sgpr_workgroup_id_z 0
		.amdhsa_system_sgpr_workgroup_info 0
		.amdhsa_system_vgpr_workitem_id 0
		.amdhsa_next_free_vgpr 53
		.amdhsa_next_free_sgpr 14
		.amdhsa_named_barrier_count 0
		.amdhsa_reserve_vcc 1
		.amdhsa_float_round_mode_32 0
		.amdhsa_float_round_mode_16_64 0
		.amdhsa_float_denorm_mode_32 3
		.amdhsa_float_denorm_mode_16_64 3
		.amdhsa_fp16_overflow 0
		.amdhsa_memory_ordered 1
		.amdhsa_forward_progress 1
		.amdhsa_inst_pref_size 22
		.amdhsa_round_robin_scheduling 0
		.amdhsa_exception_fp_ieee_invalid_op 0
		.amdhsa_exception_fp_denorm_src 0
		.amdhsa_exception_fp_ieee_div_zero 0
		.amdhsa_exception_fp_ieee_overflow 0
		.amdhsa_exception_fp_ieee_underflow 0
		.amdhsa_exception_fp_ieee_inexact 0
		.amdhsa_exception_int_div_zero 0
	.end_amdhsa_kernel
	.section	.text._ZN9rocsparseL19gebsrmvn_4xn_kernelILj128ELj1ELj64E21rocsparse_complex_numIdEEEvi20rocsparse_direction_NS_24const_host_device_scalarIT2_EEPKiS8_PKS5_SA_S6_PS5_21rocsparse_index_base_b,"axG",@progbits,_ZN9rocsparseL19gebsrmvn_4xn_kernelILj128ELj1ELj64E21rocsparse_complex_numIdEEEvi20rocsparse_direction_NS_24const_host_device_scalarIT2_EEPKiS8_PKS5_SA_S6_PS5_21rocsparse_index_base_b,comdat
.Lfunc_end115:
	.size	_ZN9rocsparseL19gebsrmvn_4xn_kernelILj128ELj1ELj64E21rocsparse_complex_numIdEEEvi20rocsparse_direction_NS_24const_host_device_scalarIT2_EEPKiS8_PKS5_SA_S6_PS5_21rocsparse_index_base_b, .Lfunc_end115-_ZN9rocsparseL19gebsrmvn_4xn_kernelILj128ELj1ELj64E21rocsparse_complex_numIdEEEvi20rocsparse_direction_NS_24const_host_device_scalarIT2_EEPKiS8_PKS5_SA_S6_PS5_21rocsparse_index_base_b
                                        ; -- End function
	.set _ZN9rocsparseL19gebsrmvn_4xn_kernelILj128ELj1ELj64E21rocsparse_complex_numIdEEEvi20rocsparse_direction_NS_24const_host_device_scalarIT2_EEPKiS8_PKS5_SA_S6_PS5_21rocsparse_index_base_b.num_vgpr, 53
	.set _ZN9rocsparseL19gebsrmvn_4xn_kernelILj128ELj1ELj64E21rocsparse_complex_numIdEEEvi20rocsparse_direction_NS_24const_host_device_scalarIT2_EEPKiS8_PKS5_SA_S6_PS5_21rocsparse_index_base_b.num_agpr, 0
	.set _ZN9rocsparseL19gebsrmvn_4xn_kernelILj128ELj1ELj64E21rocsparse_complex_numIdEEEvi20rocsparse_direction_NS_24const_host_device_scalarIT2_EEPKiS8_PKS5_SA_S6_PS5_21rocsparse_index_base_b.numbered_sgpr, 14
	.set _ZN9rocsparseL19gebsrmvn_4xn_kernelILj128ELj1ELj64E21rocsparse_complex_numIdEEEvi20rocsparse_direction_NS_24const_host_device_scalarIT2_EEPKiS8_PKS5_SA_S6_PS5_21rocsparse_index_base_b.num_named_barrier, 0
	.set _ZN9rocsparseL19gebsrmvn_4xn_kernelILj128ELj1ELj64E21rocsparse_complex_numIdEEEvi20rocsparse_direction_NS_24const_host_device_scalarIT2_EEPKiS8_PKS5_SA_S6_PS5_21rocsparse_index_base_b.private_seg_size, 0
	.set _ZN9rocsparseL19gebsrmvn_4xn_kernelILj128ELj1ELj64E21rocsparse_complex_numIdEEEvi20rocsparse_direction_NS_24const_host_device_scalarIT2_EEPKiS8_PKS5_SA_S6_PS5_21rocsparse_index_base_b.uses_vcc, 1
	.set _ZN9rocsparseL19gebsrmvn_4xn_kernelILj128ELj1ELj64E21rocsparse_complex_numIdEEEvi20rocsparse_direction_NS_24const_host_device_scalarIT2_EEPKiS8_PKS5_SA_S6_PS5_21rocsparse_index_base_b.uses_flat_scratch, 0
	.set _ZN9rocsparseL19gebsrmvn_4xn_kernelILj128ELj1ELj64E21rocsparse_complex_numIdEEEvi20rocsparse_direction_NS_24const_host_device_scalarIT2_EEPKiS8_PKS5_SA_S6_PS5_21rocsparse_index_base_b.has_dyn_sized_stack, 0
	.set _ZN9rocsparseL19gebsrmvn_4xn_kernelILj128ELj1ELj64E21rocsparse_complex_numIdEEEvi20rocsparse_direction_NS_24const_host_device_scalarIT2_EEPKiS8_PKS5_SA_S6_PS5_21rocsparse_index_base_b.has_recursion, 0
	.set _ZN9rocsparseL19gebsrmvn_4xn_kernelILj128ELj1ELj64E21rocsparse_complex_numIdEEEvi20rocsparse_direction_NS_24const_host_device_scalarIT2_EEPKiS8_PKS5_SA_S6_PS5_21rocsparse_index_base_b.has_indirect_call, 0
	.section	.AMDGPU.csdata,"",@progbits
; Kernel info:
; codeLenInByte = 2736
; TotalNumSgprs: 16
; NumVgprs: 53
; ScratchSize: 0
; MemoryBound: 0
; FloatMode: 240
; IeeeMode: 1
; LDSByteSize: 0 bytes/workgroup (compile time only)
; SGPRBlocks: 0
; VGPRBlocks: 3
; NumSGPRsForWavesPerEU: 16
; NumVGPRsForWavesPerEU: 53
; NamedBarCnt: 0
; Occupancy: 16
; WaveLimiterHint : 1
; COMPUTE_PGM_RSRC2:SCRATCH_EN: 0
; COMPUTE_PGM_RSRC2:USER_SGPR: 2
; COMPUTE_PGM_RSRC2:TRAP_HANDLER: 0
; COMPUTE_PGM_RSRC2:TGID_X_EN: 1
; COMPUTE_PGM_RSRC2:TGID_Y_EN: 0
; COMPUTE_PGM_RSRC2:TGID_Z_EN: 0
; COMPUTE_PGM_RSRC2:TIDIG_COMP_CNT: 0
	.section	.text._ZN9rocsparseL19gebsrmvn_4xn_kernelILj128ELj2ELj4E21rocsparse_complex_numIdEEEvi20rocsparse_direction_NS_24const_host_device_scalarIT2_EEPKiS8_PKS5_SA_S6_PS5_21rocsparse_index_base_b,"axG",@progbits,_ZN9rocsparseL19gebsrmvn_4xn_kernelILj128ELj2ELj4E21rocsparse_complex_numIdEEEvi20rocsparse_direction_NS_24const_host_device_scalarIT2_EEPKiS8_PKS5_SA_S6_PS5_21rocsparse_index_base_b,comdat
	.globl	_ZN9rocsparseL19gebsrmvn_4xn_kernelILj128ELj2ELj4E21rocsparse_complex_numIdEEEvi20rocsparse_direction_NS_24const_host_device_scalarIT2_EEPKiS8_PKS5_SA_S6_PS5_21rocsparse_index_base_b ; -- Begin function _ZN9rocsparseL19gebsrmvn_4xn_kernelILj128ELj2ELj4E21rocsparse_complex_numIdEEEvi20rocsparse_direction_NS_24const_host_device_scalarIT2_EEPKiS8_PKS5_SA_S6_PS5_21rocsparse_index_base_b
	.p2align	8
	.type	_ZN9rocsparseL19gebsrmvn_4xn_kernelILj128ELj2ELj4E21rocsparse_complex_numIdEEEvi20rocsparse_direction_NS_24const_host_device_scalarIT2_EEPKiS8_PKS5_SA_S6_PS5_21rocsparse_index_base_b,@function
_ZN9rocsparseL19gebsrmvn_4xn_kernelILj128ELj2ELj4E21rocsparse_complex_numIdEEEvi20rocsparse_direction_NS_24const_host_device_scalarIT2_EEPKiS8_PKS5_SA_S6_PS5_21rocsparse_index_base_b: ; @_ZN9rocsparseL19gebsrmvn_4xn_kernelILj128ELj2ELj4E21rocsparse_complex_numIdEEEvi20rocsparse_direction_NS_24const_host_device_scalarIT2_EEPKiS8_PKS5_SA_S6_PS5_21rocsparse_index_base_b
; %bb.0:
	s_clause 0x1
	s_load_b64 s[12:13], s[0:1], 0x50
	s_load_b64 s[2:3], s[0:1], 0x8
	v_mov_b32_e32 v1, 0
	s_add_nc_u64 s[4:5], s[0:1], 8
	s_load_b64 s[6:7], s[0:1], 0x38
	s_wait_kmcnt 0x0
	s_bitcmp1_b32 s13, 0
	s_cselect_b32 s3, s5, s3
	s_cselect_b32 s2, s4, s2
	flat_load_b128 v[2:5], v1, s[2:3]
	s_wait_xcnt 0x0
	s_add_nc_u64 s[2:3], s[0:1], 56
	s_delay_alu instid0(SALU_CYCLE_1)
	s_cselect_b32 s3, s3, s7
	s_cselect_b32 s2, s2, s6
	flat_load_b128 v[6:9], v1, s[2:3]
	s_wait_loadcnt_dscnt 0x101
	v_cmp_eq_f64_e32 vcc_lo, 0, v[2:3]
	s_wait_xcnt 0x0
	v_cmp_eq_f64_e64 s2, 0, v[4:5]
	s_and_b32 s4, vcc_lo, s2
	s_mov_b32 s2, -1
	s_and_saveexec_b32 s3, s4
	s_cbranch_execz .LBB116_2
; %bb.1:
	s_wait_loadcnt_dscnt 0x0
	v_cmp_neq_f64_e32 vcc_lo, 1.0, v[6:7]
	v_cmp_neq_f64_e64 s2, 0, v[8:9]
	s_or_b32 s2, vcc_lo, s2
	s_delay_alu instid0(SALU_CYCLE_1)
	s_or_not1_b32 s2, s2, exec_lo
.LBB116_2:
	s_or_b32 exec_lo, exec_lo, s3
	s_and_saveexec_b32 s3, s2
	s_cbranch_execz .LBB116_21
; %bb.3:
	s_load_b64 s[2:3], s[0:1], 0x0
	s_bfe_u32 s4, ttmp6, 0x4000c
	s_and_b32 s5, ttmp6, 15
	s_add_co_i32 s4, s4, 1
	s_getreg_b32 s6, hwreg(HW_REG_IB_STS2, 6, 4)
	s_mul_i32 s4, ttmp9, s4
	v_lshrrev_b32_e32 v1, 2, v0
	s_add_co_i32 s5, s5, s4
	s_cmp_eq_u32 s6, 0
	s_cselect_b32 s4, ttmp9, s5
	s_delay_alu instid0(VALU_DEP_1) | instid1(SALU_CYCLE_1)
	v_lshl_or_b32 v10, s4, 5, v1
	s_wait_kmcnt 0x0
	s_delay_alu instid0(VALU_DEP_1)
	v_cmp_gt_i32_e32 vcc_lo, s2, v10
	s_and_b32 exec_lo, exec_lo, vcc_lo
	s_cbranch_execz .LBB116_21
; %bb.4:
	s_load_b256 s[4:11], s[0:1], 0x18
	v_ashrrev_i32_e32 v11, 31, v10
	s_cmp_lg_u32 s3, 0
	s_wait_kmcnt 0x0
	s_delay_alu instid0(VALU_DEP_1)
	v_lshl_add_u64 v[12:13], v[10:11], 2, s[4:5]
	v_and_b32_e32 v11, 3, v0
	global_load_b64 v[12:13], v[12:13], off
	s_wait_loadcnt 0x0
	v_subrev_nc_u32_e32 v0, s12, v12
	v_subrev_nc_u32_e32 v26, s12, v13
	s_delay_alu instid0(VALU_DEP_2) | instskip(NEXT) | instid1(VALU_DEP_1)
	v_add_nc_u32_e32 v27, v0, v11
	v_cmp_lt_i32_e64 s2, v27, v26
	s_cbranch_scc0 .LBB116_10
; %bb.5:
	v_mov_b64_e32 v[0:1], 0
	v_mov_b64_e32 v[20:21], 0
	;; [unrolled: 1-line block ×8, first 2 shown]
	s_and_saveexec_b32 s3, s2
	s_cbranch_execz .LBB116_9
; %bb.6:
	v_mov_b64_e32 v[0:1], 0
	v_mov_b64_e32 v[20:21], 0
	;; [unrolled: 1-line block ×8, first 2 shown]
	v_dual_mov_b32 v29, v27 :: v_dual_lshlrev_b32 v28, 3, v27
	s_mov_b32 s4, 0
.LBB116_7:                              ; =>This Inner Loop Header: Depth=1
	global_load_b32 v46, v29, s[6:7] scale_offset
	s_clause 0x3
	global_load_b128 v[30:33], v28, s[8:9] offset:48 scale_offset
	global_load_b128 v[34:37], v28, s[8:9] offset:32 scale_offset
	;; [unrolled: 1-line block ×3, first 2 shown]
	global_load_b128 v[42:45], v28, s[8:9] scale_offset
	s_wait_xcnt 0x4
	v_add_nc_u32_e32 v29, 4, v29
	s_wait_loadcnt 0x4
	v_subrev_nc_u32_e32 v46, s12, v46
	s_delay_alu instid0(VALU_DEP_1)
	v_lshlrev_b32_e32 v70, 1, v46
	s_clause 0x1
	global_load_b128 v[46:49], v70, s[10:11] scale_offset
	global_load_b128 v[50:53], v70, s[10:11] offset:16 scale_offset
	s_clause 0x3
	global_load_b128 v[54:57], v28, s[8:9] offset:64 scale_offset
	global_load_b128 v[58:61], v28, s[8:9] offset:80 scale_offset
	;; [unrolled: 1-line block ×4, first 2 shown]
	s_wait_xcnt 0x0
	v_add_nc_u32_e32 v28, 32, v28
	v_cmp_ge_i32_e32 vcc_lo, v29, v26
	s_or_b32 s4, vcc_lo, s4
	s_wait_loadcnt 0x5
	v_fmac_f64_e32 v[20:21], v[42:43], v[46:47]
	v_fmac_f64_e32 v[0:1], v[44:45], v[46:47]
	;; [unrolled: 1-line block ×8, first 2 shown]
	v_fma_f64 v[20:21], -v[44:45], v[48:49], v[20:21]
	v_fmac_f64_e32 v[0:1], v[42:43], v[48:49]
	v_fma_f64 v[24:25], -v[40:41], v[48:49], v[24:25]
	v_fmac_f64_e32 v[16:17], v[38:39], v[48:49]
	;; [unrolled: 2-line block ×4, first 2 shown]
	s_wait_loadcnt 0x3
	v_fmac_f64_e32 v[20:21], v[54:55], v[50:51]
	v_fmac_f64_e32 v[0:1], v[56:57], v[50:51]
	s_wait_loadcnt 0x2
	v_fmac_f64_e32 v[24:25], v[58:59], v[50:51]
	v_fmac_f64_e32 v[16:17], v[60:61], v[50:51]
	;; [unrolled: 3-line block ×4, first 2 shown]
	v_fma_f64 v[20:21], -v[56:57], v[52:53], v[20:21]
	v_fmac_f64_e32 v[0:1], v[54:55], v[52:53]
	v_fma_f64 v[24:25], -v[60:61], v[52:53], v[24:25]
	v_fmac_f64_e32 v[16:17], v[58:59], v[52:53]
	;; [unrolled: 2-line block ×4, first 2 shown]
	s_and_not1_b32 exec_lo, exec_lo, s4
	s_cbranch_execnz .LBB116_7
; %bb.8:
	s_or_b32 exec_lo, exec_lo, s4
.LBB116_9:
	s_delay_alu instid0(SALU_CYCLE_1)
	s_or_b32 exec_lo, exec_lo, s3
	s_cbranch_execz .LBB116_11
	s_branch .LBB116_16
.LBB116_10:
                                        ; implicit-def: $vgpr0_vgpr1
                                        ; implicit-def: $vgpr20_vgpr21
                                        ; implicit-def: $vgpr18_vgpr19
                                        ; implicit-def: $vgpr12_vgpr13
                                        ; implicit-def: $vgpr22_vgpr23
                                        ; implicit-def: $vgpr14_vgpr15
                                        ; implicit-def: $vgpr24_vgpr25
                                        ; implicit-def: $vgpr16_vgpr17
.LBB116_11:
	v_mov_b64_e32 v[0:1], 0
	v_mov_b64_e32 v[20:21], 0
	;; [unrolled: 1-line block ×8, first 2 shown]
	s_and_saveexec_b32 s3, s2
	s_cbranch_execz .LBB116_15
; %bb.12:
	v_mov_b64_e32 v[0:1], 0
	v_mov_b64_e32 v[20:21], 0
	;; [unrolled: 1-line block ×8, first 2 shown]
	v_lshlrev_b32_e32 v28, 3, v27
	s_mov_b32 s2, 0
.LBB116_13:                             ; =>This Inner Loop Header: Depth=1
	global_load_b32 v29, v27, s[6:7] scale_offset
	s_clause 0x7
	global_load_b128 v[30:33], v28, s[8:9] offset:48 scale_offset
	global_load_b128 v[34:37], v28, s[8:9] offset:32 scale_offset
	;; [unrolled: 1-line block ×3, first 2 shown]
	global_load_b128 v[42:45], v28, s[8:9] scale_offset
	global_load_b128 v[46:49], v28, s[8:9] offset:112 scale_offset
	global_load_b128 v[50:53], v28, s[8:9] offset:96 scale_offset
	global_load_b128 v[54:57], v28, s[8:9] offset:80 scale_offset
	global_load_b128 v[58:61], v28, s[8:9] offset:64 scale_offset
	s_wait_xcnt 0x0
	v_dual_add_nc_u32 v28, 32, v28 :: v_dual_add_nc_u32 v27, 4, v27
	s_delay_alu instid0(VALU_DEP_1) | instskip(SKIP_3) | instid1(VALU_DEP_1)
	v_cmp_ge_i32_e32 vcc_lo, v27, v26
	s_or_b32 s2, vcc_lo, s2
	s_wait_loadcnt 0x8
	v_subrev_nc_u32_e32 v29, s12, v29
	v_lshlrev_b32_e32 v29, 1, v29
	s_clause 0x1
	global_load_b128 v[62:65], v29, s[10:11] scale_offset
	global_load_b128 v[66:69], v29, s[10:11] offset:16 scale_offset
	s_wait_loadcnt 0x1
	v_fmac_f64_e32 v[20:21], v[42:43], v[62:63]
	v_fmac_f64_e32 v[0:1], v[44:45], v[62:63]
	;; [unrolled: 1-line block ×8, first 2 shown]
	v_fma_f64 v[20:21], -v[44:45], v[64:65], v[20:21]
	v_fmac_f64_e32 v[0:1], v[42:43], v[64:65]
	v_fma_f64 v[24:25], -v[36:37], v[64:65], v[24:25]
	v_fmac_f64_e32 v[16:17], v[34:35], v[64:65]
	;; [unrolled: 2-line block ×4, first 2 shown]
	s_wait_loadcnt 0x0
	v_fmac_f64_e32 v[20:21], v[38:39], v[66:67]
	v_fmac_f64_e32 v[0:1], v[40:41], v[66:67]
	;; [unrolled: 1-line block ×8, first 2 shown]
	v_fma_f64 v[20:21], -v[40:41], v[68:69], v[20:21]
	v_fmac_f64_e32 v[0:1], v[38:39], v[68:69]
	v_fma_f64 v[24:25], -v[32:33], v[68:69], v[24:25]
	v_fmac_f64_e32 v[16:17], v[30:31], v[68:69]
	;; [unrolled: 2-line block ×4, first 2 shown]
	s_and_not1_b32 exec_lo, exec_lo, s2
	s_cbranch_execnz .LBB116_13
; %bb.14:
	s_or_b32 exec_lo, exec_lo, s2
.LBB116_15:
	s_delay_alu instid0(SALU_CYCLE_1)
	s_or_b32 exec_lo, exec_lo, s3
.LBB116_16:
	v_mbcnt_lo_u32_b32 v46, -1, 0
	s_delay_alu instid0(VALU_DEP_1) | instskip(NEXT) | instid1(VALU_DEP_1)
	v_xor_b32_e32 v26, 2, v46
	v_cmp_gt_i32_e32 vcc_lo, 32, v26
	v_cndmask_b32_e32 v26, v46, v26, vcc_lo
	s_delay_alu instid0(VALU_DEP_1)
	v_lshlrev_b32_e32 v32, 2, v26
	ds_bpermute_b32 v26, v32, v20
	ds_bpermute_b32 v27, v32, v21
	;; [unrolled: 1-line block ×4, first 2 shown]
	s_wait_dscnt 0x2
	v_add_f64_e32 v[34:35], v[20:21], v[26:27]
	s_wait_dscnt 0x0
	v_add_f64_e32 v[20:21], v[14:15], v[40:41]
	ds_bpermute_b32 v28, v32, v0
	ds_bpermute_b32 v29, v32, v1
	;; [unrolled: 1-line block ×12, first 2 shown]
	s_wait_dscnt 0xa
	v_dual_add_f64 v[32:33], v[0:1], v[28:29] :: v_dual_bitop2_b32 v0, 1, v46 bitop3:0x14
	s_wait_dscnt 0x8
	v_add_f64_e32 v[28:29], v[16:17], v[36:37]
	s_wait_dscnt 0x6
	v_add_f64_e32 v[16:17], v[18:19], v[42:43]
	;; [unrolled: 2-line block ×3, first 2 shown]
	v_cmp_gt_i32_e32 vcc_lo, 32, v0
	s_wait_dscnt 0x0
	v_add_f64_e32 v[26:27], v[22:23], v[38:39]
	v_dual_add_f64 v[30:31], v[24:25], v[30:31] :: v_dual_cndmask_b32 v0, v46, v0, vcc_lo
	v_cmp_eq_u32_e32 vcc_lo, 3, v11
	s_delay_alu instid0(VALU_DEP_2)
	v_lshlrev_b32_e32 v39, 2, v0
	ds_bpermute_b32 v0, v39, v34
	ds_bpermute_b32 v1, v39, v35
	;; [unrolled: 1-line block ×16, first 2 shown]
	s_and_b32 exec_lo, exec_lo, vcc_lo
	s_cbranch_execz .LBB116_21
; %bb.17:
	v_cmp_eq_f64_e32 vcc_lo, 0, v[6:7]
	v_cmp_eq_f64_e64 s2, 0, v[8:9]
	s_wait_dscnt 0xe
	v_add_f64_e32 v[0:1], v[34:35], v[0:1]
	s_wait_dscnt 0xa
	v_add_f64_e32 v[24:25], v[32:33], v[24:25]
	;; [unrolled: 2-line block ×3, first 2 shown]
	v_add_f64_e32 v[22:23], v[28:29], v[22:23]
	v_add_f64_e32 v[14:15], v[26:27], v[14:15]
	v_add_f64_e32 v[20:21], v[20:21], v[40:41]
	v_add_f64_e32 v[16:17], v[16:17], v[36:37]
	s_wait_dscnt 0x0
	v_add_f64_e32 v[18:19], v[18:19], v[38:39]
	s_load_b64 s[0:1], s[0:1], 0x48
	s_and_b32 s2, vcc_lo, s2
	s_delay_alu instid0(SALU_CYCLE_1) | instskip(NEXT) | instid1(SALU_CYCLE_1)
	s_and_saveexec_b32 s3, s2
	s_xor_b32 s2, exec_lo, s3
	s_cbranch_execz .LBB116_19
; %bb.18:
	v_mul_f64_e64 v[6:7], v[24:25], -v[4:5]
	v_mul_f64_e32 v[8:9], v[2:3], v[24:25]
	v_mul_f64_e64 v[24:25], v[22:23], -v[4:5]
	v_mul_f64_e32 v[26:27], v[2:3], v[22:23]
	;; [unrolled: 2-line block ×4, first 2 shown]
                                        ; implicit-def: $vgpr18_vgpr19
	v_fmac_f64_e32 v[6:7], v[2:3], v[0:1]
	v_fmac_f64_e32 v[8:9], v[4:5], v[0:1]
	;; [unrolled: 1-line block ×8, first 2 shown]
	v_lshlrev_b32_e32 v0, 2, v10
                                        ; implicit-def: $vgpr10
                                        ; implicit-def: $vgpr12_vgpr13
                                        ; implicit-def: $vgpr14_vgpr15
                                        ; implicit-def: $vgpr16_vgpr17
                                        ; implicit-def: $vgpr4_vgpr5
	s_wait_kmcnt 0x0
	s_clause 0x3
	global_store_b128 v0, v[6:9], s[0:1] scale_offset
	global_store_b128 v0, v[24:27], s[0:1] offset:16 scale_offset
	global_store_b128 v0, v[28:31], s[0:1] offset:32 scale_offset
	;; [unrolled: 1-line block ×3, first 2 shown]
                                        ; implicit-def: $vgpr0_vgpr1
                                        ; implicit-def: $vgpr24_vgpr25
                                        ; implicit-def: $vgpr22_vgpr23
                                        ; implicit-def: $vgpr20_vgpr21
                                        ; implicit-def: $vgpr8_vgpr9
.LBB116_19:
	s_wait_xcnt 0x0
	s_and_not1_saveexec_b32 s2, s2
	s_cbranch_execz .LBB116_21
; %bb.20:
	v_dual_mul_f64 v[42:43], v[24:25], -v[4:5] :: v_dual_lshlrev_b32 v52, 2, v10
	v_mul_f64_e32 v[24:25], v[2:3], v[24:25]
	v_mul_f64_e64 v[46:47], v[22:23], -v[4:5]
	v_mul_f64_e32 v[44:45], v[2:3], v[22:23]
	s_wait_kmcnt 0x0
	s_clause 0x3
	global_load_b128 v[26:29], v52, s[0:1] scale_offset
	global_load_b128 v[30:33], v52, s[0:1] offset:16 scale_offset
	global_load_b128 v[34:37], v52, s[0:1] offset:32 scale_offset
	;; [unrolled: 1-line block ×3, first 2 shown]
	v_mul_f64_e64 v[48:49], v[20:21], -v[4:5]
	v_mul_f64_e32 v[20:21], v[2:3], v[20:21]
	v_mul_f64_e64 v[50:51], v[18:19], -v[4:5]
	v_mul_f64_e32 v[10:11], v[2:3], v[18:19]
	v_fmac_f64_e32 v[42:43], v[2:3], v[0:1]
	v_fmac_f64_e32 v[24:25], v[4:5], v[0:1]
	;; [unrolled: 1-line block ×8, first 2 shown]
	s_wait_loadcnt 0x3
	v_fmac_f64_e32 v[42:43], v[6:7], v[26:27]
	v_fmac_f64_e32 v[24:25], v[8:9], v[26:27]
	s_wait_loadcnt 0x2
	v_fmac_f64_e32 v[46:47], v[6:7], v[30:31]
	v_fmac_f64_e32 v[44:45], v[8:9], v[30:31]
	;; [unrolled: 3-line block ×4, first 2 shown]
	v_fma_f64 v[22:23], -v[8:9], v[28:29], v[42:43]
	v_fmac_f64_e32 v[24:25], v[6:7], v[28:29]
	v_fma_f64 v[42:43], -v[8:9], v[32:33], v[46:47]
	v_fmac_f64_e32 v[44:45], v[6:7], v[32:33]
	;; [unrolled: 2-line block ×4, first 2 shown]
	s_clause 0x3
	global_store_b128 v52, v[22:25], s[0:1] scale_offset
	global_store_b128 v52, v[42:45], s[0:1] offset:16 scale_offset
	global_store_b128 v52, v[18:21], s[0:1] offset:32 scale_offset
	;; [unrolled: 1-line block ×3, first 2 shown]
.LBB116_21:
	s_sendmsg sendmsg(MSG_DEALLOC_VGPRS)
	s_endpgm
	.section	.rodata,"a",@progbits
	.p2align	6, 0x0
	.amdhsa_kernel _ZN9rocsparseL19gebsrmvn_4xn_kernelILj128ELj2ELj4E21rocsparse_complex_numIdEEEvi20rocsparse_direction_NS_24const_host_device_scalarIT2_EEPKiS8_PKS5_SA_S6_PS5_21rocsparse_index_base_b
		.amdhsa_group_segment_fixed_size 0
		.amdhsa_private_segment_fixed_size 0
		.amdhsa_kernarg_size 88
		.amdhsa_user_sgpr_count 2
		.amdhsa_user_sgpr_dispatch_ptr 0
		.amdhsa_user_sgpr_queue_ptr 0
		.amdhsa_user_sgpr_kernarg_segment_ptr 1
		.amdhsa_user_sgpr_dispatch_id 0
		.amdhsa_user_sgpr_kernarg_preload_length 0
		.amdhsa_user_sgpr_kernarg_preload_offset 0
		.amdhsa_user_sgpr_private_segment_size 0
		.amdhsa_wavefront_size32 1
		.amdhsa_uses_dynamic_stack 0
		.amdhsa_enable_private_segment 0
		.amdhsa_system_sgpr_workgroup_id_x 1
		.amdhsa_system_sgpr_workgroup_id_y 0
		.amdhsa_system_sgpr_workgroup_id_z 0
		.amdhsa_system_sgpr_workgroup_info 0
		.amdhsa_system_vgpr_workitem_id 0
		.amdhsa_next_free_vgpr 71
		.amdhsa_next_free_sgpr 14
		.amdhsa_named_barrier_count 0
		.amdhsa_reserve_vcc 1
		.amdhsa_float_round_mode_32 0
		.amdhsa_float_round_mode_16_64 0
		.amdhsa_float_denorm_mode_32 3
		.amdhsa_float_denorm_mode_16_64 3
		.amdhsa_fp16_overflow 0
		.amdhsa_memory_ordered 1
		.amdhsa_forward_progress 1
		.amdhsa_inst_pref_size 18
		.amdhsa_round_robin_scheduling 0
		.amdhsa_exception_fp_ieee_invalid_op 0
		.amdhsa_exception_fp_denorm_src 0
		.amdhsa_exception_fp_ieee_div_zero 0
		.amdhsa_exception_fp_ieee_overflow 0
		.amdhsa_exception_fp_ieee_underflow 0
		.amdhsa_exception_fp_ieee_inexact 0
		.amdhsa_exception_int_div_zero 0
	.end_amdhsa_kernel
	.section	.text._ZN9rocsparseL19gebsrmvn_4xn_kernelILj128ELj2ELj4E21rocsparse_complex_numIdEEEvi20rocsparse_direction_NS_24const_host_device_scalarIT2_EEPKiS8_PKS5_SA_S6_PS5_21rocsparse_index_base_b,"axG",@progbits,_ZN9rocsparseL19gebsrmvn_4xn_kernelILj128ELj2ELj4E21rocsparse_complex_numIdEEEvi20rocsparse_direction_NS_24const_host_device_scalarIT2_EEPKiS8_PKS5_SA_S6_PS5_21rocsparse_index_base_b,comdat
.Lfunc_end116:
	.size	_ZN9rocsparseL19gebsrmvn_4xn_kernelILj128ELj2ELj4E21rocsparse_complex_numIdEEEvi20rocsparse_direction_NS_24const_host_device_scalarIT2_EEPKiS8_PKS5_SA_S6_PS5_21rocsparse_index_base_b, .Lfunc_end116-_ZN9rocsparseL19gebsrmvn_4xn_kernelILj128ELj2ELj4E21rocsparse_complex_numIdEEEvi20rocsparse_direction_NS_24const_host_device_scalarIT2_EEPKiS8_PKS5_SA_S6_PS5_21rocsparse_index_base_b
                                        ; -- End function
	.set _ZN9rocsparseL19gebsrmvn_4xn_kernelILj128ELj2ELj4E21rocsparse_complex_numIdEEEvi20rocsparse_direction_NS_24const_host_device_scalarIT2_EEPKiS8_PKS5_SA_S6_PS5_21rocsparse_index_base_b.num_vgpr, 71
	.set _ZN9rocsparseL19gebsrmvn_4xn_kernelILj128ELj2ELj4E21rocsparse_complex_numIdEEEvi20rocsparse_direction_NS_24const_host_device_scalarIT2_EEPKiS8_PKS5_SA_S6_PS5_21rocsparse_index_base_b.num_agpr, 0
	.set _ZN9rocsparseL19gebsrmvn_4xn_kernelILj128ELj2ELj4E21rocsparse_complex_numIdEEEvi20rocsparse_direction_NS_24const_host_device_scalarIT2_EEPKiS8_PKS5_SA_S6_PS5_21rocsparse_index_base_b.numbered_sgpr, 14
	.set _ZN9rocsparseL19gebsrmvn_4xn_kernelILj128ELj2ELj4E21rocsparse_complex_numIdEEEvi20rocsparse_direction_NS_24const_host_device_scalarIT2_EEPKiS8_PKS5_SA_S6_PS5_21rocsparse_index_base_b.num_named_barrier, 0
	.set _ZN9rocsparseL19gebsrmvn_4xn_kernelILj128ELj2ELj4E21rocsparse_complex_numIdEEEvi20rocsparse_direction_NS_24const_host_device_scalarIT2_EEPKiS8_PKS5_SA_S6_PS5_21rocsparse_index_base_b.private_seg_size, 0
	.set _ZN9rocsparseL19gebsrmvn_4xn_kernelILj128ELj2ELj4E21rocsparse_complex_numIdEEEvi20rocsparse_direction_NS_24const_host_device_scalarIT2_EEPKiS8_PKS5_SA_S6_PS5_21rocsparse_index_base_b.uses_vcc, 1
	.set _ZN9rocsparseL19gebsrmvn_4xn_kernelILj128ELj2ELj4E21rocsparse_complex_numIdEEEvi20rocsparse_direction_NS_24const_host_device_scalarIT2_EEPKiS8_PKS5_SA_S6_PS5_21rocsparse_index_base_b.uses_flat_scratch, 0
	.set _ZN9rocsparseL19gebsrmvn_4xn_kernelILj128ELj2ELj4E21rocsparse_complex_numIdEEEvi20rocsparse_direction_NS_24const_host_device_scalarIT2_EEPKiS8_PKS5_SA_S6_PS5_21rocsparse_index_base_b.has_dyn_sized_stack, 0
	.set _ZN9rocsparseL19gebsrmvn_4xn_kernelILj128ELj2ELj4E21rocsparse_complex_numIdEEEvi20rocsparse_direction_NS_24const_host_device_scalarIT2_EEPKiS8_PKS5_SA_S6_PS5_21rocsparse_index_base_b.has_recursion, 0
	.set _ZN9rocsparseL19gebsrmvn_4xn_kernelILj128ELj2ELj4E21rocsparse_complex_numIdEEEvi20rocsparse_direction_NS_24const_host_device_scalarIT2_EEPKiS8_PKS5_SA_S6_PS5_21rocsparse_index_base_b.has_indirect_call, 0
	.section	.AMDGPU.csdata,"",@progbits
; Kernel info:
; codeLenInByte = 2180
; TotalNumSgprs: 16
; NumVgprs: 71
; ScratchSize: 0
; MemoryBound: 0
; FloatMode: 240
; IeeeMode: 1
; LDSByteSize: 0 bytes/workgroup (compile time only)
; SGPRBlocks: 0
; VGPRBlocks: 4
; NumSGPRsForWavesPerEU: 16
; NumVGPRsForWavesPerEU: 71
; NamedBarCnt: 0
; Occupancy: 12
; WaveLimiterHint : 1
; COMPUTE_PGM_RSRC2:SCRATCH_EN: 0
; COMPUTE_PGM_RSRC2:USER_SGPR: 2
; COMPUTE_PGM_RSRC2:TRAP_HANDLER: 0
; COMPUTE_PGM_RSRC2:TGID_X_EN: 1
; COMPUTE_PGM_RSRC2:TGID_Y_EN: 0
; COMPUTE_PGM_RSRC2:TGID_Z_EN: 0
; COMPUTE_PGM_RSRC2:TIDIG_COMP_CNT: 0
	.section	.text._ZN9rocsparseL19gebsrmvn_4xn_kernelILj128ELj2ELj8E21rocsparse_complex_numIdEEEvi20rocsparse_direction_NS_24const_host_device_scalarIT2_EEPKiS8_PKS5_SA_S6_PS5_21rocsparse_index_base_b,"axG",@progbits,_ZN9rocsparseL19gebsrmvn_4xn_kernelILj128ELj2ELj8E21rocsparse_complex_numIdEEEvi20rocsparse_direction_NS_24const_host_device_scalarIT2_EEPKiS8_PKS5_SA_S6_PS5_21rocsparse_index_base_b,comdat
	.globl	_ZN9rocsparseL19gebsrmvn_4xn_kernelILj128ELj2ELj8E21rocsparse_complex_numIdEEEvi20rocsparse_direction_NS_24const_host_device_scalarIT2_EEPKiS8_PKS5_SA_S6_PS5_21rocsparse_index_base_b ; -- Begin function _ZN9rocsparseL19gebsrmvn_4xn_kernelILj128ELj2ELj8E21rocsparse_complex_numIdEEEvi20rocsparse_direction_NS_24const_host_device_scalarIT2_EEPKiS8_PKS5_SA_S6_PS5_21rocsparse_index_base_b
	.p2align	8
	.type	_ZN9rocsparseL19gebsrmvn_4xn_kernelILj128ELj2ELj8E21rocsparse_complex_numIdEEEvi20rocsparse_direction_NS_24const_host_device_scalarIT2_EEPKiS8_PKS5_SA_S6_PS5_21rocsparse_index_base_b,@function
_ZN9rocsparseL19gebsrmvn_4xn_kernelILj128ELj2ELj8E21rocsparse_complex_numIdEEEvi20rocsparse_direction_NS_24const_host_device_scalarIT2_EEPKiS8_PKS5_SA_S6_PS5_21rocsparse_index_base_b: ; @_ZN9rocsparseL19gebsrmvn_4xn_kernelILj128ELj2ELj8E21rocsparse_complex_numIdEEEvi20rocsparse_direction_NS_24const_host_device_scalarIT2_EEPKiS8_PKS5_SA_S6_PS5_21rocsparse_index_base_b
; %bb.0:
	s_clause 0x1
	s_load_b64 s[12:13], s[0:1], 0x50
	s_load_b64 s[2:3], s[0:1], 0x8
	v_mov_b32_e32 v1, 0
	s_add_nc_u64 s[4:5], s[0:1], 8
	s_load_b64 s[6:7], s[0:1], 0x38
	s_wait_kmcnt 0x0
	s_bitcmp1_b32 s13, 0
	s_cselect_b32 s3, s5, s3
	s_cselect_b32 s2, s4, s2
	flat_load_b128 v[2:5], v1, s[2:3]
	s_wait_xcnt 0x0
	s_add_nc_u64 s[2:3], s[0:1], 56
	s_delay_alu instid0(SALU_CYCLE_1)
	s_cselect_b32 s3, s3, s7
	s_cselect_b32 s2, s2, s6
	flat_load_b128 v[6:9], v1, s[2:3]
	s_wait_loadcnt_dscnt 0x101
	v_cmp_eq_f64_e32 vcc_lo, 0, v[2:3]
	s_wait_xcnt 0x0
	v_cmp_eq_f64_e64 s2, 0, v[4:5]
	s_and_b32 s4, vcc_lo, s2
	s_mov_b32 s2, -1
	s_and_saveexec_b32 s3, s4
	s_cbranch_execz .LBB117_2
; %bb.1:
	s_wait_loadcnt_dscnt 0x0
	v_cmp_neq_f64_e32 vcc_lo, 1.0, v[6:7]
	v_cmp_neq_f64_e64 s2, 0, v[8:9]
	s_or_b32 s2, vcc_lo, s2
	s_delay_alu instid0(SALU_CYCLE_1)
	s_or_not1_b32 s2, s2, exec_lo
.LBB117_2:
	s_or_b32 exec_lo, exec_lo, s3
	s_and_saveexec_b32 s3, s2
	s_cbranch_execz .LBB117_21
; %bb.3:
	s_load_b64 s[2:3], s[0:1], 0x0
	s_bfe_u32 s4, ttmp6, 0x4000c
	s_and_b32 s5, ttmp6, 15
	s_add_co_i32 s4, s4, 1
	s_getreg_b32 s6, hwreg(HW_REG_IB_STS2, 6, 4)
	s_mul_i32 s4, ttmp9, s4
	v_lshrrev_b32_e32 v1, 3, v0
	s_add_co_i32 s5, s5, s4
	s_cmp_eq_u32 s6, 0
	s_cselect_b32 s4, ttmp9, s5
	s_delay_alu instid0(VALU_DEP_1) | instid1(SALU_CYCLE_1)
	v_lshl_or_b32 v10, s4, 4, v1
	s_wait_kmcnt 0x0
	s_delay_alu instid0(VALU_DEP_1)
	v_cmp_gt_i32_e32 vcc_lo, s2, v10
	s_and_b32 exec_lo, exec_lo, vcc_lo
	s_cbranch_execz .LBB117_21
; %bb.4:
	s_load_b256 s[4:11], s[0:1], 0x18
	v_ashrrev_i32_e32 v11, 31, v10
	s_cmp_lg_u32 s3, 0
	s_wait_kmcnt 0x0
	s_delay_alu instid0(VALU_DEP_1)
	v_lshl_add_u64 v[12:13], v[10:11], 2, s[4:5]
	v_and_b32_e32 v11, 7, v0
	global_load_b64 v[12:13], v[12:13], off
	s_wait_loadcnt 0x0
	v_subrev_nc_u32_e32 v0, s12, v12
	v_subrev_nc_u32_e32 v26, s12, v13
	s_delay_alu instid0(VALU_DEP_2) | instskip(NEXT) | instid1(VALU_DEP_1)
	v_add_nc_u32_e32 v27, v0, v11
	v_cmp_lt_i32_e64 s2, v27, v26
	s_cbranch_scc0 .LBB117_10
; %bb.5:
	v_mov_b64_e32 v[0:1], 0
	v_mov_b64_e32 v[20:21], 0
	;; [unrolled: 1-line block ×8, first 2 shown]
	s_and_saveexec_b32 s3, s2
	s_cbranch_execz .LBB117_9
; %bb.6:
	v_mov_b64_e32 v[0:1], 0
	v_mov_b64_e32 v[20:21], 0
	v_mov_b64_e32 v[18:19], 0
	v_mov_b64_e32 v[12:13], 0
	v_mov_b64_e32 v[22:23], 0
	v_mov_b64_e32 v[14:15], 0
	v_mov_b64_e32 v[24:25], 0
	v_mov_b64_e32 v[16:17], 0
	v_dual_mov_b32 v29, v27 :: v_dual_lshlrev_b32 v28, 3, v27
	s_mov_b32 s4, 0
.LBB117_7:                              ; =>This Inner Loop Header: Depth=1
	global_load_b32 v46, v29, s[6:7] scale_offset
	s_clause 0x3
	global_load_b128 v[30:33], v28, s[8:9] offset:48 scale_offset
	global_load_b128 v[34:37], v28, s[8:9] offset:32 scale_offset
	;; [unrolled: 1-line block ×3, first 2 shown]
	global_load_b128 v[42:45], v28, s[8:9] scale_offset
	s_wait_xcnt 0x4
	v_add_nc_u32_e32 v29, 8, v29
	s_wait_loadcnt 0x4
	v_subrev_nc_u32_e32 v46, s12, v46
	s_delay_alu instid0(VALU_DEP_1)
	v_lshlrev_b32_e32 v70, 1, v46
	s_clause 0x1
	global_load_b128 v[46:49], v70, s[10:11] scale_offset
	global_load_b128 v[50:53], v70, s[10:11] offset:16 scale_offset
	s_clause 0x3
	global_load_b128 v[54:57], v28, s[8:9] offset:64 scale_offset
	global_load_b128 v[58:61], v28, s[8:9] offset:80 scale_offset
	;; [unrolled: 1-line block ×4, first 2 shown]
	s_wait_xcnt 0x0
	v_add_nc_u32_e32 v28, 64, v28
	v_cmp_ge_i32_e32 vcc_lo, v29, v26
	s_or_b32 s4, vcc_lo, s4
	s_wait_loadcnt 0x5
	v_fmac_f64_e32 v[20:21], v[42:43], v[46:47]
	v_fmac_f64_e32 v[0:1], v[44:45], v[46:47]
	;; [unrolled: 1-line block ×8, first 2 shown]
	v_fma_f64 v[20:21], -v[44:45], v[48:49], v[20:21]
	v_fmac_f64_e32 v[0:1], v[42:43], v[48:49]
	v_fma_f64 v[24:25], -v[40:41], v[48:49], v[24:25]
	v_fmac_f64_e32 v[16:17], v[38:39], v[48:49]
	v_fma_f64 v[22:23], -v[36:37], v[48:49], v[22:23]
	v_fmac_f64_e32 v[14:15], v[34:35], v[48:49]
	v_fma_f64 v[18:19], -v[32:33], v[48:49], v[18:19]
	v_fmac_f64_e32 v[12:13], v[30:31], v[48:49]
	s_wait_loadcnt 0x3
	v_fmac_f64_e32 v[20:21], v[54:55], v[50:51]
	v_fmac_f64_e32 v[0:1], v[56:57], v[50:51]
	s_wait_loadcnt 0x2
	v_fmac_f64_e32 v[24:25], v[58:59], v[50:51]
	v_fmac_f64_e32 v[16:17], v[60:61], v[50:51]
	;; [unrolled: 3-line block ×4, first 2 shown]
	v_fma_f64 v[20:21], -v[56:57], v[52:53], v[20:21]
	v_fmac_f64_e32 v[0:1], v[54:55], v[52:53]
	v_fma_f64 v[24:25], -v[60:61], v[52:53], v[24:25]
	v_fmac_f64_e32 v[16:17], v[58:59], v[52:53]
	;; [unrolled: 2-line block ×4, first 2 shown]
	s_and_not1_b32 exec_lo, exec_lo, s4
	s_cbranch_execnz .LBB117_7
; %bb.8:
	s_or_b32 exec_lo, exec_lo, s4
.LBB117_9:
	s_delay_alu instid0(SALU_CYCLE_1)
	s_or_b32 exec_lo, exec_lo, s3
	s_cbranch_execz .LBB117_11
	s_branch .LBB117_16
.LBB117_10:
                                        ; implicit-def: $vgpr0_vgpr1
                                        ; implicit-def: $vgpr20_vgpr21
                                        ; implicit-def: $vgpr18_vgpr19
                                        ; implicit-def: $vgpr12_vgpr13
                                        ; implicit-def: $vgpr22_vgpr23
                                        ; implicit-def: $vgpr14_vgpr15
                                        ; implicit-def: $vgpr24_vgpr25
                                        ; implicit-def: $vgpr16_vgpr17
.LBB117_11:
	v_mov_b64_e32 v[0:1], 0
	v_mov_b64_e32 v[20:21], 0
	;; [unrolled: 1-line block ×8, first 2 shown]
	s_and_saveexec_b32 s3, s2
	s_cbranch_execz .LBB117_15
; %bb.12:
	v_mov_b64_e32 v[0:1], 0
	v_mov_b64_e32 v[20:21], 0
	;; [unrolled: 1-line block ×8, first 2 shown]
	v_lshlrev_b32_e32 v28, 3, v27
	s_mov_b32 s2, 0
.LBB117_13:                             ; =>This Inner Loop Header: Depth=1
	global_load_b32 v29, v27, s[6:7] scale_offset
	s_clause 0x7
	global_load_b128 v[30:33], v28, s[8:9] offset:48 scale_offset
	global_load_b128 v[34:37], v28, s[8:9] offset:32 scale_offset
	;; [unrolled: 1-line block ×3, first 2 shown]
	global_load_b128 v[42:45], v28, s[8:9] scale_offset
	global_load_b128 v[46:49], v28, s[8:9] offset:112 scale_offset
	global_load_b128 v[50:53], v28, s[8:9] offset:96 scale_offset
	global_load_b128 v[54:57], v28, s[8:9] offset:80 scale_offset
	global_load_b128 v[58:61], v28, s[8:9] offset:64 scale_offset
	s_wait_xcnt 0x0
	v_dual_add_nc_u32 v28, 64, v28 :: v_dual_add_nc_u32 v27, 8, v27
	s_delay_alu instid0(VALU_DEP_1) | instskip(SKIP_3) | instid1(VALU_DEP_1)
	v_cmp_ge_i32_e32 vcc_lo, v27, v26
	s_or_b32 s2, vcc_lo, s2
	s_wait_loadcnt 0x8
	v_subrev_nc_u32_e32 v29, s12, v29
	v_lshlrev_b32_e32 v29, 1, v29
	s_clause 0x1
	global_load_b128 v[62:65], v29, s[10:11] scale_offset
	global_load_b128 v[66:69], v29, s[10:11] offset:16 scale_offset
	s_wait_loadcnt 0x1
	v_fmac_f64_e32 v[20:21], v[42:43], v[62:63]
	v_fmac_f64_e32 v[0:1], v[44:45], v[62:63]
	;; [unrolled: 1-line block ×8, first 2 shown]
	v_fma_f64 v[20:21], -v[44:45], v[64:65], v[20:21]
	v_fmac_f64_e32 v[0:1], v[42:43], v[64:65]
	v_fma_f64 v[24:25], -v[36:37], v[64:65], v[24:25]
	v_fmac_f64_e32 v[16:17], v[34:35], v[64:65]
	;; [unrolled: 2-line block ×4, first 2 shown]
	s_wait_loadcnt 0x0
	v_fmac_f64_e32 v[20:21], v[38:39], v[66:67]
	v_fmac_f64_e32 v[0:1], v[40:41], v[66:67]
	;; [unrolled: 1-line block ×8, first 2 shown]
	v_fma_f64 v[20:21], -v[40:41], v[68:69], v[20:21]
	v_fmac_f64_e32 v[0:1], v[38:39], v[68:69]
	v_fma_f64 v[24:25], -v[32:33], v[68:69], v[24:25]
	v_fmac_f64_e32 v[16:17], v[30:31], v[68:69]
	;; [unrolled: 2-line block ×4, first 2 shown]
	s_and_not1_b32 exec_lo, exec_lo, s2
	s_cbranch_execnz .LBB117_13
; %bb.14:
	s_or_b32 exec_lo, exec_lo, s2
.LBB117_15:
	s_delay_alu instid0(SALU_CYCLE_1)
	s_or_b32 exec_lo, exec_lo, s3
.LBB117_16:
	v_mbcnt_lo_u32_b32 v44, -1, 0
	s_delay_alu instid0(VALU_DEP_1) | instskip(NEXT) | instid1(VALU_DEP_1)
	v_xor_b32_e32 v26, 4, v44
	v_cmp_gt_i32_e32 vcc_lo, 32, v26
	v_cndmask_b32_e32 v26, v44, v26, vcc_lo
	s_delay_alu instid0(VALU_DEP_1)
	v_lshlrev_b32_e32 v41, 2, v26
	ds_bpermute_b32 v26, v41, v20
	ds_bpermute_b32 v27, v41, v21
	;; [unrolled: 1-line block ×4, first 2 shown]
	s_wait_dscnt 0x2
	v_add_f64_e32 v[20:21], v[20:21], v[26:27]
	s_wait_dscnt 0x0
	v_add_f64_e32 v[26:27], v[0:1], v[28:29]
	ds_bpermute_b32 v30, v41, v24
	ds_bpermute_b32 v31, v41, v25
	;; [unrolled: 1-line block ×12, first 2 shown]
	v_xor_b32_e32 v0, 2, v44
	s_delay_alu instid0(VALU_DEP_1)
	v_cmp_gt_i32_e32 vcc_lo, 32, v0
	s_wait_dscnt 0xa
	v_add_f64_e32 v[28:29], v[24:25], v[30:31]
	v_cndmask_b32_e32 v0, v44, v0, vcc_lo
	s_wait_dscnt 0x8
	v_add_f64_e32 v[16:17], v[16:17], v[32:33]
	s_wait_dscnt 0x6
	v_add_f64_e32 v[30:31], v[22:23], v[34:35]
	;; [unrolled: 2-line block ×3, first 2 shown]
	s_wait_dscnt 0x2
	v_dual_add_f64 v[18:19], v[18:19], v[38:39] :: v_dual_lshlrev_b32 v24, 2, v0
	s_wait_dscnt 0x0
	v_add_f64_e32 v[34:35], v[12:13], v[40:41]
	ds_bpermute_b32 v12, v24, v26
	ds_bpermute_b32 v13, v24, v27
	;; [unrolled: 1-line block ×16, first 2 shown]
	s_wait_dscnt 0xe
	v_add_f64_e32 v[24:25], v[26:27], v[12:13]
	s_wait_dscnt 0xc
	v_add_f64_e32 v[0:1], v[20:21], v[0:1]
	v_xor_b32_e32 v26, 1, v44
	s_delay_alu instid0(VALU_DEP_1)
	v_cmp_gt_i32_e32 vcc_lo, 32, v26
	s_wait_dscnt 0xa
	v_add_f64_e32 v[12:13], v[28:29], v[14:15]
	s_wait_dscnt 0x6
	v_dual_add_f64 v[14:15], v[30:31], v[36:37] :: v_dual_cndmask_b32 v26, v44, v26, vcc_lo
	v_cmp_eq_u32_e32 vcc_lo, 7, v11
	s_wait_dscnt 0x4
	v_add_f64_e32 v[20:21], v[32:33], v[38:39]
	s_delay_alu instid0(VALU_DEP_3)
	v_lshlrev_b32_e32 v29, 2, v26
	v_add_f64_e32 v[22:23], v[16:17], v[22:23]
	s_wait_dscnt 0x2
	v_add_f64_e32 v[16:17], v[18:19], v[40:41]
	s_wait_dscnt 0x0
	v_add_f64_e32 v[18:19], v[34:35], v[42:43]
	ds_bpermute_b32 v38, v29, v24
	ds_bpermute_b32 v40, v29, v0
	;; [unrolled: 1-line block ×16, first 2 shown]
	s_and_b32 exec_lo, exec_lo, vcc_lo
	s_cbranch_execz .LBB117_21
; %bb.17:
	v_cmp_eq_f64_e32 vcc_lo, 0, v[6:7]
	v_cmp_eq_f64_e64 s2, 0, v[8:9]
	s_wait_dscnt 0xd
	v_add_f64_e32 v[0:1], v[0:1], v[40:41]
	s_wait_dscnt 0xc
	v_add_f64_e32 v[24:25], v[24:25], v[38:39]
	;; [unrolled: 2-line block ×4, first 2 shown]
	v_add_f64_e32 v[14:15], v[14:15], v[32:33]
	v_add_f64_e32 v[20:21], v[20:21], v[30:31]
	s_wait_dscnt 0x2
	v_add_f64_e32 v[16:17], v[16:17], v[26:27]
	s_wait_dscnt 0x0
	v_add_f64_e32 v[18:19], v[18:19], v[28:29]
	s_load_b64 s[0:1], s[0:1], 0x48
	s_and_b32 s2, vcc_lo, s2
	s_delay_alu instid0(SALU_CYCLE_1) | instskip(NEXT) | instid1(SALU_CYCLE_1)
	s_and_saveexec_b32 s3, s2
	s_xor_b32 s2, exec_lo, s3
	s_cbranch_execz .LBB117_19
; %bb.18:
	v_mul_f64_e64 v[6:7], v[24:25], -v[4:5]
	v_mul_f64_e32 v[8:9], v[2:3], v[24:25]
	v_mul_f64_e64 v[24:25], v[22:23], -v[4:5]
	v_mul_f64_e32 v[26:27], v[2:3], v[22:23]
	;; [unrolled: 2-line block ×4, first 2 shown]
                                        ; implicit-def: $vgpr18_vgpr19
	v_fmac_f64_e32 v[6:7], v[2:3], v[0:1]
	v_fmac_f64_e32 v[8:9], v[4:5], v[0:1]
	;; [unrolled: 1-line block ×8, first 2 shown]
	v_lshlrev_b32_e32 v0, 2, v10
                                        ; implicit-def: $vgpr10
                                        ; implicit-def: $vgpr12_vgpr13
                                        ; implicit-def: $vgpr14_vgpr15
                                        ; implicit-def: $vgpr16_vgpr17
                                        ; implicit-def: $vgpr4_vgpr5
	s_wait_kmcnt 0x0
	s_clause 0x3
	global_store_b128 v0, v[6:9], s[0:1] scale_offset
	global_store_b128 v0, v[24:27], s[0:1] offset:16 scale_offset
	global_store_b128 v0, v[28:31], s[0:1] offset:32 scale_offset
	;; [unrolled: 1-line block ×3, first 2 shown]
                                        ; implicit-def: $vgpr0_vgpr1
                                        ; implicit-def: $vgpr24_vgpr25
                                        ; implicit-def: $vgpr22_vgpr23
                                        ; implicit-def: $vgpr20_vgpr21
                                        ; implicit-def: $vgpr8_vgpr9
.LBB117_19:
	s_wait_xcnt 0x0
	s_and_not1_saveexec_b32 s2, s2
	s_cbranch_execz .LBB117_21
; %bb.20:
	v_dual_mul_f64 v[42:43], v[24:25], -v[4:5] :: v_dual_lshlrev_b32 v52, 2, v10
	v_mul_f64_e32 v[24:25], v[2:3], v[24:25]
	v_mul_f64_e64 v[46:47], v[22:23], -v[4:5]
	v_mul_f64_e32 v[44:45], v[2:3], v[22:23]
	s_wait_kmcnt 0x0
	s_clause 0x3
	global_load_b128 v[26:29], v52, s[0:1] scale_offset
	global_load_b128 v[30:33], v52, s[0:1] offset:16 scale_offset
	global_load_b128 v[34:37], v52, s[0:1] offset:32 scale_offset
	;; [unrolled: 1-line block ×3, first 2 shown]
	v_mul_f64_e64 v[48:49], v[20:21], -v[4:5]
	v_mul_f64_e32 v[20:21], v[2:3], v[20:21]
	v_mul_f64_e64 v[50:51], v[18:19], -v[4:5]
	v_mul_f64_e32 v[10:11], v[2:3], v[18:19]
	v_fmac_f64_e32 v[42:43], v[2:3], v[0:1]
	v_fmac_f64_e32 v[24:25], v[4:5], v[0:1]
	;; [unrolled: 1-line block ×8, first 2 shown]
	s_wait_loadcnt 0x3
	v_fmac_f64_e32 v[42:43], v[6:7], v[26:27]
	v_fmac_f64_e32 v[24:25], v[8:9], v[26:27]
	s_wait_loadcnt 0x2
	v_fmac_f64_e32 v[46:47], v[6:7], v[30:31]
	v_fmac_f64_e32 v[44:45], v[8:9], v[30:31]
	;; [unrolled: 3-line block ×4, first 2 shown]
	v_fma_f64 v[22:23], -v[8:9], v[28:29], v[42:43]
	v_fmac_f64_e32 v[24:25], v[6:7], v[28:29]
	v_fma_f64 v[42:43], -v[8:9], v[32:33], v[46:47]
	v_fmac_f64_e32 v[44:45], v[6:7], v[32:33]
	;; [unrolled: 2-line block ×4, first 2 shown]
	s_clause 0x3
	global_store_b128 v52, v[22:25], s[0:1] scale_offset
	global_store_b128 v52, v[42:45], s[0:1] offset:16 scale_offset
	global_store_b128 v52, v[18:21], s[0:1] offset:32 scale_offset
	global_store_b128 v52, v[8:11], s[0:1] offset:48 scale_offset
.LBB117_21:
	s_sendmsg sendmsg(MSG_DEALLOC_VGPRS)
	s_endpgm
	.section	.rodata,"a",@progbits
	.p2align	6, 0x0
	.amdhsa_kernel _ZN9rocsparseL19gebsrmvn_4xn_kernelILj128ELj2ELj8E21rocsparse_complex_numIdEEEvi20rocsparse_direction_NS_24const_host_device_scalarIT2_EEPKiS8_PKS5_SA_S6_PS5_21rocsparse_index_base_b
		.amdhsa_group_segment_fixed_size 0
		.amdhsa_private_segment_fixed_size 0
		.amdhsa_kernarg_size 88
		.amdhsa_user_sgpr_count 2
		.amdhsa_user_sgpr_dispatch_ptr 0
		.amdhsa_user_sgpr_queue_ptr 0
		.amdhsa_user_sgpr_kernarg_segment_ptr 1
		.amdhsa_user_sgpr_dispatch_id 0
		.amdhsa_user_sgpr_kernarg_preload_length 0
		.amdhsa_user_sgpr_kernarg_preload_offset 0
		.amdhsa_user_sgpr_private_segment_size 0
		.amdhsa_wavefront_size32 1
		.amdhsa_uses_dynamic_stack 0
		.amdhsa_enable_private_segment 0
		.amdhsa_system_sgpr_workgroup_id_x 1
		.amdhsa_system_sgpr_workgroup_id_y 0
		.amdhsa_system_sgpr_workgroup_id_z 0
		.amdhsa_system_sgpr_workgroup_info 0
		.amdhsa_system_vgpr_workitem_id 0
		.amdhsa_next_free_vgpr 71
		.amdhsa_next_free_sgpr 14
		.amdhsa_named_barrier_count 0
		.amdhsa_reserve_vcc 1
		.amdhsa_float_round_mode_32 0
		.amdhsa_float_round_mode_16_64 0
		.amdhsa_float_denorm_mode_32 3
		.amdhsa_float_denorm_mode_16_64 3
		.amdhsa_fp16_overflow 0
		.amdhsa_memory_ordered 1
		.amdhsa_forward_progress 1
		.amdhsa_inst_pref_size 19
		.amdhsa_round_robin_scheduling 0
		.amdhsa_exception_fp_ieee_invalid_op 0
		.amdhsa_exception_fp_denorm_src 0
		.amdhsa_exception_fp_ieee_div_zero 0
		.amdhsa_exception_fp_ieee_overflow 0
		.amdhsa_exception_fp_ieee_underflow 0
		.amdhsa_exception_fp_ieee_inexact 0
		.amdhsa_exception_int_div_zero 0
	.end_amdhsa_kernel
	.section	.text._ZN9rocsparseL19gebsrmvn_4xn_kernelILj128ELj2ELj8E21rocsparse_complex_numIdEEEvi20rocsparse_direction_NS_24const_host_device_scalarIT2_EEPKiS8_PKS5_SA_S6_PS5_21rocsparse_index_base_b,"axG",@progbits,_ZN9rocsparseL19gebsrmvn_4xn_kernelILj128ELj2ELj8E21rocsparse_complex_numIdEEEvi20rocsparse_direction_NS_24const_host_device_scalarIT2_EEPKiS8_PKS5_SA_S6_PS5_21rocsparse_index_base_b,comdat
.Lfunc_end117:
	.size	_ZN9rocsparseL19gebsrmvn_4xn_kernelILj128ELj2ELj8E21rocsparse_complex_numIdEEEvi20rocsparse_direction_NS_24const_host_device_scalarIT2_EEPKiS8_PKS5_SA_S6_PS5_21rocsparse_index_base_b, .Lfunc_end117-_ZN9rocsparseL19gebsrmvn_4xn_kernelILj128ELj2ELj8E21rocsparse_complex_numIdEEEvi20rocsparse_direction_NS_24const_host_device_scalarIT2_EEPKiS8_PKS5_SA_S6_PS5_21rocsparse_index_base_b
                                        ; -- End function
	.set _ZN9rocsparseL19gebsrmvn_4xn_kernelILj128ELj2ELj8E21rocsparse_complex_numIdEEEvi20rocsparse_direction_NS_24const_host_device_scalarIT2_EEPKiS8_PKS5_SA_S6_PS5_21rocsparse_index_base_b.num_vgpr, 71
	.set _ZN9rocsparseL19gebsrmvn_4xn_kernelILj128ELj2ELj8E21rocsparse_complex_numIdEEEvi20rocsparse_direction_NS_24const_host_device_scalarIT2_EEPKiS8_PKS5_SA_S6_PS5_21rocsparse_index_base_b.num_agpr, 0
	.set _ZN9rocsparseL19gebsrmvn_4xn_kernelILj128ELj2ELj8E21rocsparse_complex_numIdEEEvi20rocsparse_direction_NS_24const_host_device_scalarIT2_EEPKiS8_PKS5_SA_S6_PS5_21rocsparse_index_base_b.numbered_sgpr, 14
	.set _ZN9rocsparseL19gebsrmvn_4xn_kernelILj128ELj2ELj8E21rocsparse_complex_numIdEEEvi20rocsparse_direction_NS_24const_host_device_scalarIT2_EEPKiS8_PKS5_SA_S6_PS5_21rocsparse_index_base_b.num_named_barrier, 0
	.set _ZN9rocsparseL19gebsrmvn_4xn_kernelILj128ELj2ELj8E21rocsparse_complex_numIdEEEvi20rocsparse_direction_NS_24const_host_device_scalarIT2_EEPKiS8_PKS5_SA_S6_PS5_21rocsparse_index_base_b.private_seg_size, 0
	.set _ZN9rocsparseL19gebsrmvn_4xn_kernelILj128ELj2ELj8E21rocsparse_complex_numIdEEEvi20rocsparse_direction_NS_24const_host_device_scalarIT2_EEPKiS8_PKS5_SA_S6_PS5_21rocsparse_index_base_b.uses_vcc, 1
	.set _ZN9rocsparseL19gebsrmvn_4xn_kernelILj128ELj2ELj8E21rocsparse_complex_numIdEEEvi20rocsparse_direction_NS_24const_host_device_scalarIT2_EEPKiS8_PKS5_SA_S6_PS5_21rocsparse_index_base_b.uses_flat_scratch, 0
	.set _ZN9rocsparseL19gebsrmvn_4xn_kernelILj128ELj2ELj8E21rocsparse_complex_numIdEEEvi20rocsparse_direction_NS_24const_host_device_scalarIT2_EEPKiS8_PKS5_SA_S6_PS5_21rocsparse_index_base_b.has_dyn_sized_stack, 0
	.set _ZN9rocsparseL19gebsrmvn_4xn_kernelILj128ELj2ELj8E21rocsparse_complex_numIdEEEvi20rocsparse_direction_NS_24const_host_device_scalarIT2_EEPKiS8_PKS5_SA_S6_PS5_21rocsparse_index_base_b.has_recursion, 0
	.set _ZN9rocsparseL19gebsrmvn_4xn_kernelILj128ELj2ELj8E21rocsparse_complex_numIdEEEvi20rocsparse_direction_NS_24const_host_device_scalarIT2_EEPKiS8_PKS5_SA_S6_PS5_21rocsparse_index_base_b.has_indirect_call, 0
	.section	.AMDGPU.csdata,"",@progbits
; Kernel info:
; codeLenInByte = 2404
; TotalNumSgprs: 16
; NumVgprs: 71
; ScratchSize: 0
; MemoryBound: 0
; FloatMode: 240
; IeeeMode: 1
; LDSByteSize: 0 bytes/workgroup (compile time only)
; SGPRBlocks: 0
; VGPRBlocks: 4
; NumSGPRsForWavesPerEU: 16
; NumVGPRsForWavesPerEU: 71
; NamedBarCnt: 0
; Occupancy: 12
; WaveLimiterHint : 1
; COMPUTE_PGM_RSRC2:SCRATCH_EN: 0
; COMPUTE_PGM_RSRC2:USER_SGPR: 2
; COMPUTE_PGM_RSRC2:TRAP_HANDLER: 0
; COMPUTE_PGM_RSRC2:TGID_X_EN: 1
; COMPUTE_PGM_RSRC2:TGID_Y_EN: 0
; COMPUTE_PGM_RSRC2:TGID_Z_EN: 0
; COMPUTE_PGM_RSRC2:TIDIG_COMP_CNT: 0
	.section	.text._ZN9rocsparseL19gebsrmvn_4xn_kernelILj128ELj2ELj16E21rocsparse_complex_numIdEEEvi20rocsparse_direction_NS_24const_host_device_scalarIT2_EEPKiS8_PKS5_SA_S6_PS5_21rocsparse_index_base_b,"axG",@progbits,_ZN9rocsparseL19gebsrmvn_4xn_kernelILj128ELj2ELj16E21rocsparse_complex_numIdEEEvi20rocsparse_direction_NS_24const_host_device_scalarIT2_EEPKiS8_PKS5_SA_S6_PS5_21rocsparse_index_base_b,comdat
	.globl	_ZN9rocsparseL19gebsrmvn_4xn_kernelILj128ELj2ELj16E21rocsparse_complex_numIdEEEvi20rocsparse_direction_NS_24const_host_device_scalarIT2_EEPKiS8_PKS5_SA_S6_PS5_21rocsparse_index_base_b ; -- Begin function _ZN9rocsparseL19gebsrmvn_4xn_kernelILj128ELj2ELj16E21rocsparse_complex_numIdEEEvi20rocsparse_direction_NS_24const_host_device_scalarIT2_EEPKiS8_PKS5_SA_S6_PS5_21rocsparse_index_base_b
	.p2align	8
	.type	_ZN9rocsparseL19gebsrmvn_4xn_kernelILj128ELj2ELj16E21rocsparse_complex_numIdEEEvi20rocsparse_direction_NS_24const_host_device_scalarIT2_EEPKiS8_PKS5_SA_S6_PS5_21rocsparse_index_base_b,@function
_ZN9rocsparseL19gebsrmvn_4xn_kernelILj128ELj2ELj16E21rocsparse_complex_numIdEEEvi20rocsparse_direction_NS_24const_host_device_scalarIT2_EEPKiS8_PKS5_SA_S6_PS5_21rocsparse_index_base_b: ; @_ZN9rocsparseL19gebsrmvn_4xn_kernelILj128ELj2ELj16E21rocsparse_complex_numIdEEEvi20rocsparse_direction_NS_24const_host_device_scalarIT2_EEPKiS8_PKS5_SA_S6_PS5_21rocsparse_index_base_b
; %bb.0:
	s_clause 0x1
	s_load_b64 s[12:13], s[0:1], 0x50
	s_load_b64 s[2:3], s[0:1], 0x8
	v_mov_b32_e32 v1, 0
	s_add_nc_u64 s[4:5], s[0:1], 8
	s_load_b64 s[6:7], s[0:1], 0x38
	s_wait_kmcnt 0x0
	s_bitcmp1_b32 s13, 0
	s_cselect_b32 s3, s5, s3
	s_cselect_b32 s2, s4, s2
	flat_load_b128 v[2:5], v1, s[2:3]
	s_wait_xcnt 0x0
	s_add_nc_u64 s[2:3], s[0:1], 56
	s_delay_alu instid0(SALU_CYCLE_1)
	s_cselect_b32 s3, s3, s7
	s_cselect_b32 s2, s2, s6
	flat_load_b128 v[6:9], v1, s[2:3]
	s_wait_loadcnt_dscnt 0x101
	v_cmp_eq_f64_e32 vcc_lo, 0, v[2:3]
	s_wait_xcnt 0x0
	v_cmp_eq_f64_e64 s2, 0, v[4:5]
	s_and_b32 s4, vcc_lo, s2
	s_mov_b32 s2, -1
	s_and_saveexec_b32 s3, s4
	s_cbranch_execz .LBB118_2
; %bb.1:
	s_wait_loadcnt_dscnt 0x0
	v_cmp_neq_f64_e32 vcc_lo, 1.0, v[6:7]
	v_cmp_neq_f64_e64 s2, 0, v[8:9]
	s_or_b32 s2, vcc_lo, s2
	s_delay_alu instid0(SALU_CYCLE_1)
	s_or_not1_b32 s2, s2, exec_lo
.LBB118_2:
	s_or_b32 exec_lo, exec_lo, s3
	s_and_saveexec_b32 s3, s2
	s_cbranch_execz .LBB118_21
; %bb.3:
	s_load_b64 s[2:3], s[0:1], 0x0
	s_bfe_u32 s4, ttmp6, 0x4000c
	s_and_b32 s5, ttmp6, 15
	s_add_co_i32 s4, s4, 1
	s_getreg_b32 s6, hwreg(HW_REG_IB_STS2, 6, 4)
	s_mul_i32 s4, ttmp9, s4
	v_lshrrev_b32_e32 v1, 4, v0
	s_add_co_i32 s5, s5, s4
	s_cmp_eq_u32 s6, 0
	s_cselect_b32 s4, ttmp9, s5
	s_delay_alu instid0(VALU_DEP_1) | instid1(SALU_CYCLE_1)
	v_lshl_or_b32 v10, s4, 3, v1
	s_wait_kmcnt 0x0
	s_delay_alu instid0(VALU_DEP_1)
	v_cmp_gt_i32_e32 vcc_lo, s2, v10
	s_and_b32 exec_lo, exec_lo, vcc_lo
	s_cbranch_execz .LBB118_21
; %bb.4:
	s_load_b256 s[4:11], s[0:1], 0x18
	v_ashrrev_i32_e32 v11, 31, v10
	s_cmp_lg_u32 s3, 0
	s_wait_kmcnt 0x0
	s_delay_alu instid0(VALU_DEP_1)
	v_lshl_add_u64 v[12:13], v[10:11], 2, s[4:5]
	v_and_b32_e32 v11, 15, v0
	global_load_b64 v[12:13], v[12:13], off
	s_wait_loadcnt 0x0
	v_subrev_nc_u32_e32 v0, s12, v12
	v_subrev_nc_u32_e32 v26, s12, v13
	s_delay_alu instid0(VALU_DEP_2) | instskip(NEXT) | instid1(VALU_DEP_1)
	v_add_nc_u32_e32 v27, v0, v11
	v_cmp_lt_i32_e64 s2, v27, v26
	s_cbranch_scc0 .LBB118_10
; %bb.5:
	v_mov_b64_e32 v[0:1], 0
	v_mov_b64_e32 v[20:21], 0
	;; [unrolled: 1-line block ×8, first 2 shown]
	s_and_saveexec_b32 s3, s2
	s_cbranch_execz .LBB118_9
; %bb.6:
	v_mov_b64_e32 v[0:1], 0
	v_mov_b64_e32 v[20:21], 0
	;; [unrolled: 1-line block ×8, first 2 shown]
	v_dual_mov_b32 v29, v27 :: v_dual_lshlrev_b32 v28, 3, v27
	s_mov_b32 s4, 0
.LBB118_7:                              ; =>This Inner Loop Header: Depth=1
	global_load_b32 v46, v29, s[6:7] scale_offset
	s_clause 0x3
	global_load_b128 v[30:33], v28, s[8:9] offset:48 scale_offset
	global_load_b128 v[34:37], v28, s[8:9] offset:32 scale_offset
	;; [unrolled: 1-line block ×3, first 2 shown]
	global_load_b128 v[42:45], v28, s[8:9] scale_offset
	s_wait_xcnt 0x4
	v_add_nc_u32_e32 v29, 16, v29
	s_delay_alu instid0(VALU_DEP_1) | instskip(SKIP_3) | instid1(VALU_DEP_1)
	v_cmp_ge_i32_e32 vcc_lo, v29, v26
	s_or_b32 s4, vcc_lo, s4
	s_wait_loadcnt 0x4
	v_subrev_nc_u32_e32 v46, s12, v46
	v_lshlrev_b32_e32 v70, 1, v46
	s_clause 0x1
	global_load_b128 v[46:49], v70, s[10:11] scale_offset
	global_load_b128 v[50:53], v70, s[10:11] offset:16 scale_offset
	s_clause 0x3
	global_load_b128 v[54:57], v28, s[8:9] offset:64 scale_offset
	global_load_b128 v[58:61], v28, s[8:9] offset:80 scale_offset
	;; [unrolled: 1-line block ×4, first 2 shown]
	s_wait_xcnt 0x0
	v_add_nc_u32_e32 v28, 0x80, v28
	s_wait_loadcnt 0x5
	v_fmac_f64_e32 v[20:21], v[42:43], v[46:47]
	v_fmac_f64_e32 v[0:1], v[44:45], v[46:47]
	;; [unrolled: 1-line block ×8, first 2 shown]
	v_fma_f64 v[20:21], -v[44:45], v[48:49], v[20:21]
	v_fmac_f64_e32 v[0:1], v[42:43], v[48:49]
	v_fma_f64 v[24:25], -v[40:41], v[48:49], v[24:25]
	v_fmac_f64_e32 v[16:17], v[38:39], v[48:49]
	;; [unrolled: 2-line block ×4, first 2 shown]
	s_wait_loadcnt 0x3
	v_fmac_f64_e32 v[20:21], v[54:55], v[50:51]
	v_fmac_f64_e32 v[0:1], v[56:57], v[50:51]
	s_wait_loadcnt 0x2
	v_fmac_f64_e32 v[24:25], v[58:59], v[50:51]
	v_fmac_f64_e32 v[16:17], v[60:61], v[50:51]
	;; [unrolled: 3-line block ×4, first 2 shown]
	v_fma_f64 v[20:21], -v[56:57], v[52:53], v[20:21]
	v_fmac_f64_e32 v[0:1], v[54:55], v[52:53]
	v_fma_f64 v[24:25], -v[60:61], v[52:53], v[24:25]
	v_fmac_f64_e32 v[16:17], v[58:59], v[52:53]
	;; [unrolled: 2-line block ×4, first 2 shown]
	s_and_not1_b32 exec_lo, exec_lo, s4
	s_cbranch_execnz .LBB118_7
; %bb.8:
	s_or_b32 exec_lo, exec_lo, s4
.LBB118_9:
	s_delay_alu instid0(SALU_CYCLE_1)
	s_or_b32 exec_lo, exec_lo, s3
	s_cbranch_execz .LBB118_11
	s_branch .LBB118_16
.LBB118_10:
                                        ; implicit-def: $vgpr0_vgpr1
                                        ; implicit-def: $vgpr20_vgpr21
                                        ; implicit-def: $vgpr18_vgpr19
                                        ; implicit-def: $vgpr12_vgpr13
                                        ; implicit-def: $vgpr22_vgpr23
                                        ; implicit-def: $vgpr14_vgpr15
                                        ; implicit-def: $vgpr24_vgpr25
                                        ; implicit-def: $vgpr16_vgpr17
.LBB118_11:
	v_mov_b64_e32 v[0:1], 0
	v_mov_b64_e32 v[20:21], 0
	;; [unrolled: 1-line block ×8, first 2 shown]
	s_and_saveexec_b32 s3, s2
	s_cbranch_execz .LBB118_15
; %bb.12:
	v_mov_b64_e32 v[0:1], 0
	v_mov_b64_e32 v[20:21], 0
	;; [unrolled: 1-line block ×8, first 2 shown]
	v_lshlrev_b32_e32 v28, 3, v27
	s_mov_b32 s2, 0
.LBB118_13:                             ; =>This Inner Loop Header: Depth=1
	global_load_b32 v29, v27, s[6:7] scale_offset
	s_clause 0x7
	global_load_b128 v[30:33], v28, s[8:9] offset:48 scale_offset
	global_load_b128 v[34:37], v28, s[8:9] offset:32 scale_offset
	;; [unrolled: 1-line block ×3, first 2 shown]
	global_load_b128 v[42:45], v28, s[8:9] scale_offset
	global_load_b128 v[46:49], v28, s[8:9] offset:112 scale_offset
	global_load_b128 v[50:53], v28, s[8:9] offset:96 scale_offset
	;; [unrolled: 1-line block ×4, first 2 shown]
	s_wait_xcnt 0x0
	v_add_nc_u32_e32 v28, 0x80, v28
	v_add_nc_u32_e32 v27, 16, v27
	s_delay_alu instid0(VALU_DEP_1) | instskip(SKIP_3) | instid1(VALU_DEP_1)
	v_cmp_ge_i32_e32 vcc_lo, v27, v26
	s_or_b32 s2, vcc_lo, s2
	s_wait_loadcnt 0x8
	v_subrev_nc_u32_e32 v29, s12, v29
	v_lshlrev_b32_e32 v29, 1, v29
	s_clause 0x1
	global_load_b128 v[62:65], v29, s[10:11] scale_offset
	global_load_b128 v[66:69], v29, s[10:11] offset:16 scale_offset
	s_wait_loadcnt 0x1
	v_fmac_f64_e32 v[20:21], v[42:43], v[62:63]
	v_fmac_f64_e32 v[0:1], v[44:45], v[62:63]
	;; [unrolled: 1-line block ×8, first 2 shown]
	v_fma_f64 v[20:21], -v[44:45], v[64:65], v[20:21]
	v_fmac_f64_e32 v[0:1], v[42:43], v[64:65]
	v_fma_f64 v[24:25], -v[36:37], v[64:65], v[24:25]
	v_fmac_f64_e32 v[16:17], v[34:35], v[64:65]
	;; [unrolled: 2-line block ×4, first 2 shown]
	s_wait_loadcnt 0x0
	v_fmac_f64_e32 v[20:21], v[38:39], v[66:67]
	v_fmac_f64_e32 v[0:1], v[40:41], v[66:67]
	;; [unrolled: 1-line block ×8, first 2 shown]
	v_fma_f64 v[20:21], -v[40:41], v[68:69], v[20:21]
	v_fmac_f64_e32 v[0:1], v[38:39], v[68:69]
	v_fma_f64 v[24:25], -v[32:33], v[68:69], v[24:25]
	v_fmac_f64_e32 v[16:17], v[30:31], v[68:69]
	;; [unrolled: 2-line block ×4, first 2 shown]
	s_and_not1_b32 exec_lo, exec_lo, s2
	s_cbranch_execnz .LBB118_13
; %bb.14:
	s_or_b32 exec_lo, exec_lo, s2
.LBB118_15:
	s_delay_alu instid0(SALU_CYCLE_1)
	s_or_b32 exec_lo, exec_lo, s3
.LBB118_16:
	v_mbcnt_lo_u32_b32 v44, -1, 0
	s_delay_alu instid0(VALU_DEP_1) | instskip(NEXT) | instid1(VALU_DEP_1)
	v_xor_b32_e32 v26, 8, v44
	v_cmp_gt_i32_e32 vcc_lo, 32, v26
	v_cndmask_b32_e32 v26, v44, v26, vcc_lo
	s_delay_alu instid0(VALU_DEP_1)
	v_lshlrev_b32_e32 v41, 2, v26
	ds_bpermute_b32 v28, v41, v0
	ds_bpermute_b32 v29, v41, v1
	s_wait_dscnt 0x0
	v_add_f64_e32 v[0:1], v[0:1], v[28:29]
	ds_bpermute_b32 v26, v41, v20
	ds_bpermute_b32 v27, v41, v21
	;; [unrolled: 1-line block ×14, first 2 shown]
	s_wait_dscnt 0xc
	v_dual_add_f64 v[20:21], v[20:21], v[26:27] :: v_dual_bitop2_b32 v26, 4, v44 bitop3:0x14
	s_wait_dscnt 0xa
	v_add_f64_e32 v[14:15], v[14:15], v[36:37]
	s_wait_dscnt 0x8
	v_add_f64_e32 v[24:25], v[24:25], v[30:31]
	v_cmp_gt_i32_e32 vcc_lo, 32, v26
	s_wait_dscnt 0x4
	v_add_f64_e32 v[22:23], v[22:23], v[34:35]
	v_cndmask_b32_e32 v26, v44, v26, vcc_lo
	v_add_f64_e32 v[16:17], v[16:17], v[32:33]
	s_wait_dscnt 0x0
	s_delay_alu instid0(VALU_DEP_2)
	v_dual_add_f64 v[12:13], v[12:13], v[40:41] :: v_dual_lshlrev_b32 v41, 2, v26
	ds_bpermute_b32 v28, v41, v0
	ds_bpermute_b32 v29, v41, v1
	ds_bpermute_b32 v26, v41, v20
	ds_bpermute_b32 v27, v41, v21
	ds_bpermute_b32 v36, v41, v14
	ds_bpermute_b32 v37, v41, v15
	ds_bpermute_b32 v30, v41, v24
	ds_bpermute_b32 v31, v41, v25
	ds_bpermute_b32 v32, v41, v16
	ds_bpermute_b32 v33, v41, v17
	ds_bpermute_b32 v40, v41, v12
	s_wait_dscnt 0x7
	v_add_f64_e32 v[20:21], v[20:21], v[26:27]
	v_add_f64_e32 v[26:27], v[0:1], v[28:29]
	v_xor_b32_e32 v0, 2, v44
	ds_bpermute_b32 v34, v41, v22
	ds_bpermute_b32 v35, v41, v23
	s_wait_dscnt 0x5
	v_add_f64_e32 v[28:29], v[24:25], v[30:31]
	v_cmp_gt_i32_e32 vcc_lo, 32, v0
	v_dual_add_f64 v[18:19], v[18:19], v[38:39] :: v_dual_cndmask_b32 v0, v44, v0, vcc_lo
	s_wait_dscnt 0x3
	v_add_f64_e32 v[16:17], v[16:17], v[32:33]
	v_add_f64_e32 v[32:33], v[14:15], v[36:37]
	s_wait_dscnt 0x0
	v_dual_add_f64 v[30:31], v[22:23], v[34:35] :: v_dual_lshlrev_b32 v24, 2, v0
	ds_bpermute_b32 v0, v24, v20
	ds_bpermute_b32 v1, v24, v21
	;; [unrolled: 1-line block ×9, first 2 shown]
	s_wait_dscnt 0x7
	v_add_f64_e32 v[0:1], v[20:21], v[0:1]
	ds_bpermute_b32 v36, v24, v30
	ds_bpermute_b32 v37, v24, v31
	s_wait_dscnt 0x5
	v_add_f64_e32 v[18:19], v[18:19], v[38:39]
	s_wait_dscnt 0x4
	v_add_f64_e32 v[34:35], v[12:13], v[40:41]
	ds_bpermute_b32 v12, v24, v26
	ds_bpermute_b32 v13, v24, v27
	;; [unrolled: 1-line block ×4, first 2 shown]
	s_wait_dscnt 0x6
	v_add_f64_e32 v[22:23], v[16:17], v[22:23]
	s_wait_dscnt 0x0
	v_add_f64_e32 v[20:21], v[32:33], v[38:39]
	ds_bpermute_b32 v40, v24, v18
	ds_bpermute_b32 v41, v24, v19
	;; [unrolled: 1-line block ×4, first 2 shown]
	v_add_f64_e32 v[24:25], v[26:27], v[12:13]
	v_dual_add_f64 v[12:13], v[28:29], v[14:15] :: v_dual_bitop2_b32 v26, 1, v44 bitop3:0x14
	v_add_f64_e32 v[14:15], v[30:31], v[36:37]
	s_delay_alu instid0(VALU_DEP_2) | instskip(SKIP_3) | instid1(VALU_DEP_2)
	v_cmp_gt_i32_e32 vcc_lo, 32, v26
	v_cndmask_b32_e32 v26, v44, v26, vcc_lo
	v_cmp_eq_u32_e32 vcc_lo, 15, v11
	s_wait_dscnt 0x2
	v_dual_add_f64 v[16:17], v[18:19], v[40:41] :: v_dual_lshlrev_b32 v29, 2, v26
	s_wait_dscnt 0x0
	v_add_f64_e32 v[18:19], v[34:35], v[42:43]
	ds_bpermute_b32 v40, v29, v0
	ds_bpermute_b32 v41, v29, v1
	;; [unrolled: 1-line block ×16, first 2 shown]
	s_and_b32 exec_lo, exec_lo, vcc_lo
	s_cbranch_execz .LBB118_21
; %bb.17:
	v_cmp_eq_f64_e32 vcc_lo, 0, v[6:7]
	v_cmp_eq_f64_e64 s2, 0, v[8:9]
	s_wait_dscnt 0xe
	v_add_f64_e32 v[0:1], v[0:1], v[40:41]
	s_wait_dscnt 0x8
	v_add_f64_e32 v[24:25], v[24:25], v[38:39]
	;; [unrolled: 2-line block ×3, first 2 shown]
	v_add_f64_e32 v[22:23], v[22:23], v[34:35]
	s_wait_dscnt 0x4
	v_add_f64_e32 v[14:15], v[14:15], v[32:33]
	v_add_f64_e32 v[20:21], v[20:21], v[30:31]
	s_wait_dscnt 0x2
	v_add_f64_e32 v[16:17], v[16:17], v[26:27]
	s_wait_dscnt 0x0
	v_add_f64_e32 v[18:19], v[18:19], v[28:29]
	s_load_b64 s[0:1], s[0:1], 0x48
	s_and_b32 s2, vcc_lo, s2
	s_delay_alu instid0(SALU_CYCLE_1) | instskip(NEXT) | instid1(SALU_CYCLE_1)
	s_and_saveexec_b32 s3, s2
	s_xor_b32 s2, exec_lo, s3
	s_cbranch_execz .LBB118_19
; %bb.18:
	v_mul_f64_e64 v[6:7], v[24:25], -v[4:5]
	v_mul_f64_e32 v[8:9], v[2:3], v[24:25]
	v_mul_f64_e64 v[24:25], v[22:23], -v[4:5]
	v_mul_f64_e32 v[26:27], v[2:3], v[22:23]
	;; [unrolled: 2-line block ×4, first 2 shown]
                                        ; implicit-def: $vgpr18_vgpr19
	v_fmac_f64_e32 v[6:7], v[2:3], v[0:1]
	v_fmac_f64_e32 v[8:9], v[4:5], v[0:1]
	;; [unrolled: 1-line block ×8, first 2 shown]
	v_lshlrev_b32_e32 v0, 2, v10
                                        ; implicit-def: $vgpr10
                                        ; implicit-def: $vgpr12_vgpr13
                                        ; implicit-def: $vgpr14_vgpr15
                                        ; implicit-def: $vgpr16_vgpr17
                                        ; implicit-def: $vgpr4_vgpr5
	s_wait_kmcnt 0x0
	s_clause 0x3
	global_store_b128 v0, v[6:9], s[0:1] scale_offset
	global_store_b128 v0, v[24:27], s[0:1] offset:16 scale_offset
	global_store_b128 v0, v[28:31], s[0:1] offset:32 scale_offset
	;; [unrolled: 1-line block ×3, first 2 shown]
                                        ; implicit-def: $vgpr0_vgpr1
                                        ; implicit-def: $vgpr24_vgpr25
                                        ; implicit-def: $vgpr22_vgpr23
                                        ; implicit-def: $vgpr20_vgpr21
                                        ; implicit-def: $vgpr8_vgpr9
.LBB118_19:
	s_wait_xcnt 0x0
	s_and_not1_saveexec_b32 s2, s2
	s_cbranch_execz .LBB118_21
; %bb.20:
	v_dual_mul_f64 v[42:43], v[24:25], -v[4:5] :: v_dual_lshlrev_b32 v52, 2, v10
	v_mul_f64_e32 v[24:25], v[2:3], v[24:25]
	v_mul_f64_e64 v[46:47], v[22:23], -v[4:5]
	v_mul_f64_e32 v[44:45], v[2:3], v[22:23]
	s_wait_kmcnt 0x0
	s_clause 0x3
	global_load_b128 v[26:29], v52, s[0:1] scale_offset
	global_load_b128 v[30:33], v52, s[0:1] offset:16 scale_offset
	global_load_b128 v[34:37], v52, s[0:1] offset:32 scale_offset
	;; [unrolled: 1-line block ×3, first 2 shown]
	v_mul_f64_e64 v[48:49], v[20:21], -v[4:5]
	v_mul_f64_e32 v[20:21], v[2:3], v[20:21]
	v_mul_f64_e64 v[50:51], v[18:19], -v[4:5]
	v_mul_f64_e32 v[10:11], v[2:3], v[18:19]
	v_fmac_f64_e32 v[42:43], v[2:3], v[0:1]
	v_fmac_f64_e32 v[24:25], v[4:5], v[0:1]
	;; [unrolled: 1-line block ×8, first 2 shown]
	s_wait_loadcnt 0x3
	v_fmac_f64_e32 v[42:43], v[6:7], v[26:27]
	v_fmac_f64_e32 v[24:25], v[8:9], v[26:27]
	s_wait_loadcnt 0x2
	v_fmac_f64_e32 v[46:47], v[6:7], v[30:31]
	v_fmac_f64_e32 v[44:45], v[8:9], v[30:31]
	;; [unrolled: 3-line block ×4, first 2 shown]
	v_fma_f64 v[22:23], -v[8:9], v[28:29], v[42:43]
	v_fmac_f64_e32 v[24:25], v[6:7], v[28:29]
	v_fma_f64 v[42:43], -v[8:9], v[32:33], v[46:47]
	v_fmac_f64_e32 v[44:45], v[6:7], v[32:33]
	;; [unrolled: 2-line block ×4, first 2 shown]
	s_clause 0x3
	global_store_b128 v52, v[22:25], s[0:1] scale_offset
	global_store_b128 v52, v[42:45], s[0:1] offset:16 scale_offset
	global_store_b128 v52, v[18:21], s[0:1] offset:32 scale_offset
	;; [unrolled: 1-line block ×3, first 2 shown]
.LBB118_21:
	s_sendmsg sendmsg(MSG_DEALLOC_VGPRS)
	s_endpgm
	.section	.rodata,"a",@progbits
	.p2align	6, 0x0
	.amdhsa_kernel _ZN9rocsparseL19gebsrmvn_4xn_kernelILj128ELj2ELj16E21rocsparse_complex_numIdEEEvi20rocsparse_direction_NS_24const_host_device_scalarIT2_EEPKiS8_PKS5_SA_S6_PS5_21rocsparse_index_base_b
		.amdhsa_group_segment_fixed_size 0
		.amdhsa_private_segment_fixed_size 0
		.amdhsa_kernarg_size 88
		.amdhsa_user_sgpr_count 2
		.amdhsa_user_sgpr_dispatch_ptr 0
		.amdhsa_user_sgpr_queue_ptr 0
		.amdhsa_user_sgpr_kernarg_segment_ptr 1
		.amdhsa_user_sgpr_dispatch_id 0
		.amdhsa_user_sgpr_kernarg_preload_length 0
		.amdhsa_user_sgpr_kernarg_preload_offset 0
		.amdhsa_user_sgpr_private_segment_size 0
		.amdhsa_wavefront_size32 1
		.amdhsa_uses_dynamic_stack 0
		.amdhsa_enable_private_segment 0
		.amdhsa_system_sgpr_workgroup_id_x 1
		.amdhsa_system_sgpr_workgroup_id_y 0
		.amdhsa_system_sgpr_workgroup_id_z 0
		.amdhsa_system_sgpr_workgroup_info 0
		.amdhsa_system_vgpr_workitem_id 0
		.amdhsa_next_free_vgpr 71
		.amdhsa_next_free_sgpr 14
		.amdhsa_named_barrier_count 0
		.amdhsa_reserve_vcc 1
		.amdhsa_float_round_mode_32 0
		.amdhsa_float_round_mode_16_64 0
		.amdhsa_float_denorm_mode_32 3
		.amdhsa_float_denorm_mode_16_64 3
		.amdhsa_fp16_overflow 0
		.amdhsa_memory_ordered 1
		.amdhsa_forward_progress 1
		.amdhsa_inst_pref_size 21
		.amdhsa_round_robin_scheduling 0
		.amdhsa_exception_fp_ieee_invalid_op 0
		.amdhsa_exception_fp_denorm_src 0
		.amdhsa_exception_fp_ieee_div_zero 0
		.amdhsa_exception_fp_ieee_overflow 0
		.amdhsa_exception_fp_ieee_underflow 0
		.amdhsa_exception_fp_ieee_inexact 0
		.amdhsa_exception_int_div_zero 0
	.end_amdhsa_kernel
	.section	.text._ZN9rocsparseL19gebsrmvn_4xn_kernelILj128ELj2ELj16E21rocsparse_complex_numIdEEEvi20rocsparse_direction_NS_24const_host_device_scalarIT2_EEPKiS8_PKS5_SA_S6_PS5_21rocsparse_index_base_b,"axG",@progbits,_ZN9rocsparseL19gebsrmvn_4xn_kernelILj128ELj2ELj16E21rocsparse_complex_numIdEEEvi20rocsparse_direction_NS_24const_host_device_scalarIT2_EEPKiS8_PKS5_SA_S6_PS5_21rocsparse_index_base_b,comdat
.Lfunc_end118:
	.size	_ZN9rocsparseL19gebsrmvn_4xn_kernelILj128ELj2ELj16E21rocsparse_complex_numIdEEEvi20rocsparse_direction_NS_24const_host_device_scalarIT2_EEPKiS8_PKS5_SA_S6_PS5_21rocsparse_index_base_b, .Lfunc_end118-_ZN9rocsparseL19gebsrmvn_4xn_kernelILj128ELj2ELj16E21rocsparse_complex_numIdEEEvi20rocsparse_direction_NS_24const_host_device_scalarIT2_EEPKiS8_PKS5_SA_S6_PS5_21rocsparse_index_base_b
                                        ; -- End function
	.set _ZN9rocsparseL19gebsrmvn_4xn_kernelILj128ELj2ELj16E21rocsparse_complex_numIdEEEvi20rocsparse_direction_NS_24const_host_device_scalarIT2_EEPKiS8_PKS5_SA_S6_PS5_21rocsparse_index_base_b.num_vgpr, 71
	.set _ZN9rocsparseL19gebsrmvn_4xn_kernelILj128ELj2ELj16E21rocsparse_complex_numIdEEEvi20rocsparse_direction_NS_24const_host_device_scalarIT2_EEPKiS8_PKS5_SA_S6_PS5_21rocsparse_index_base_b.num_agpr, 0
	.set _ZN9rocsparseL19gebsrmvn_4xn_kernelILj128ELj2ELj16E21rocsparse_complex_numIdEEEvi20rocsparse_direction_NS_24const_host_device_scalarIT2_EEPKiS8_PKS5_SA_S6_PS5_21rocsparse_index_base_b.numbered_sgpr, 14
	.set _ZN9rocsparseL19gebsrmvn_4xn_kernelILj128ELj2ELj16E21rocsparse_complex_numIdEEEvi20rocsparse_direction_NS_24const_host_device_scalarIT2_EEPKiS8_PKS5_SA_S6_PS5_21rocsparse_index_base_b.num_named_barrier, 0
	.set _ZN9rocsparseL19gebsrmvn_4xn_kernelILj128ELj2ELj16E21rocsparse_complex_numIdEEEvi20rocsparse_direction_NS_24const_host_device_scalarIT2_EEPKiS8_PKS5_SA_S6_PS5_21rocsparse_index_base_b.private_seg_size, 0
	.set _ZN9rocsparseL19gebsrmvn_4xn_kernelILj128ELj2ELj16E21rocsparse_complex_numIdEEEvi20rocsparse_direction_NS_24const_host_device_scalarIT2_EEPKiS8_PKS5_SA_S6_PS5_21rocsparse_index_base_b.uses_vcc, 1
	.set _ZN9rocsparseL19gebsrmvn_4xn_kernelILj128ELj2ELj16E21rocsparse_complex_numIdEEEvi20rocsparse_direction_NS_24const_host_device_scalarIT2_EEPKiS8_PKS5_SA_S6_PS5_21rocsparse_index_base_b.uses_flat_scratch, 0
	.set _ZN9rocsparseL19gebsrmvn_4xn_kernelILj128ELj2ELj16E21rocsparse_complex_numIdEEEvi20rocsparse_direction_NS_24const_host_device_scalarIT2_EEPKiS8_PKS5_SA_S6_PS5_21rocsparse_index_base_b.has_dyn_sized_stack, 0
	.set _ZN9rocsparseL19gebsrmvn_4xn_kernelILj128ELj2ELj16E21rocsparse_complex_numIdEEEvi20rocsparse_direction_NS_24const_host_device_scalarIT2_EEPKiS8_PKS5_SA_S6_PS5_21rocsparse_index_base_b.has_recursion, 0
	.set _ZN9rocsparseL19gebsrmvn_4xn_kernelILj128ELj2ELj16E21rocsparse_complex_numIdEEEvi20rocsparse_direction_NS_24const_host_device_scalarIT2_EEPKiS8_PKS5_SA_S6_PS5_21rocsparse_index_base_b.has_indirect_call, 0
	.section	.AMDGPU.csdata,"",@progbits
; Kernel info:
; codeLenInByte = 2604
; TotalNumSgprs: 16
; NumVgprs: 71
; ScratchSize: 0
; MemoryBound: 0
; FloatMode: 240
; IeeeMode: 1
; LDSByteSize: 0 bytes/workgroup (compile time only)
; SGPRBlocks: 0
; VGPRBlocks: 4
; NumSGPRsForWavesPerEU: 16
; NumVGPRsForWavesPerEU: 71
; NamedBarCnt: 0
; Occupancy: 12
; WaveLimiterHint : 1
; COMPUTE_PGM_RSRC2:SCRATCH_EN: 0
; COMPUTE_PGM_RSRC2:USER_SGPR: 2
; COMPUTE_PGM_RSRC2:TRAP_HANDLER: 0
; COMPUTE_PGM_RSRC2:TGID_X_EN: 1
; COMPUTE_PGM_RSRC2:TGID_Y_EN: 0
; COMPUTE_PGM_RSRC2:TGID_Z_EN: 0
; COMPUTE_PGM_RSRC2:TIDIG_COMP_CNT: 0
	.section	.text._ZN9rocsparseL19gebsrmvn_4xn_kernelILj128ELj2ELj32E21rocsparse_complex_numIdEEEvi20rocsparse_direction_NS_24const_host_device_scalarIT2_EEPKiS8_PKS5_SA_S6_PS5_21rocsparse_index_base_b,"axG",@progbits,_ZN9rocsparseL19gebsrmvn_4xn_kernelILj128ELj2ELj32E21rocsparse_complex_numIdEEEvi20rocsparse_direction_NS_24const_host_device_scalarIT2_EEPKiS8_PKS5_SA_S6_PS5_21rocsparse_index_base_b,comdat
	.globl	_ZN9rocsparseL19gebsrmvn_4xn_kernelILj128ELj2ELj32E21rocsparse_complex_numIdEEEvi20rocsparse_direction_NS_24const_host_device_scalarIT2_EEPKiS8_PKS5_SA_S6_PS5_21rocsparse_index_base_b ; -- Begin function _ZN9rocsparseL19gebsrmvn_4xn_kernelILj128ELj2ELj32E21rocsparse_complex_numIdEEEvi20rocsparse_direction_NS_24const_host_device_scalarIT2_EEPKiS8_PKS5_SA_S6_PS5_21rocsparse_index_base_b
	.p2align	8
	.type	_ZN9rocsparseL19gebsrmvn_4xn_kernelILj128ELj2ELj32E21rocsparse_complex_numIdEEEvi20rocsparse_direction_NS_24const_host_device_scalarIT2_EEPKiS8_PKS5_SA_S6_PS5_21rocsparse_index_base_b,@function
_ZN9rocsparseL19gebsrmvn_4xn_kernelILj128ELj2ELj32E21rocsparse_complex_numIdEEEvi20rocsparse_direction_NS_24const_host_device_scalarIT2_EEPKiS8_PKS5_SA_S6_PS5_21rocsparse_index_base_b: ; @_ZN9rocsparseL19gebsrmvn_4xn_kernelILj128ELj2ELj32E21rocsparse_complex_numIdEEEvi20rocsparse_direction_NS_24const_host_device_scalarIT2_EEPKiS8_PKS5_SA_S6_PS5_21rocsparse_index_base_b
; %bb.0:
	s_clause 0x1
	s_load_b64 s[12:13], s[0:1], 0x50
	s_load_b64 s[2:3], s[0:1], 0x8
	v_mov_b32_e32 v1, 0
	s_add_nc_u64 s[4:5], s[0:1], 8
	s_load_b64 s[6:7], s[0:1], 0x38
	s_wait_kmcnt 0x0
	s_bitcmp1_b32 s13, 0
	s_cselect_b32 s3, s5, s3
	s_cselect_b32 s2, s4, s2
	flat_load_b128 v[2:5], v1, s[2:3]
	s_wait_xcnt 0x0
	s_add_nc_u64 s[2:3], s[0:1], 56
	s_delay_alu instid0(SALU_CYCLE_1)
	s_cselect_b32 s3, s3, s7
	s_cselect_b32 s2, s2, s6
	flat_load_b128 v[6:9], v1, s[2:3]
	s_wait_loadcnt_dscnt 0x101
	v_cmp_eq_f64_e32 vcc_lo, 0, v[2:3]
	s_wait_xcnt 0x0
	v_cmp_eq_f64_e64 s2, 0, v[4:5]
	s_and_b32 s4, vcc_lo, s2
	s_mov_b32 s2, -1
	s_and_saveexec_b32 s3, s4
	s_cbranch_execz .LBB119_2
; %bb.1:
	s_wait_loadcnt_dscnt 0x0
	v_cmp_neq_f64_e32 vcc_lo, 1.0, v[6:7]
	v_cmp_neq_f64_e64 s2, 0, v[8:9]
	s_or_b32 s2, vcc_lo, s2
	s_delay_alu instid0(SALU_CYCLE_1)
	s_or_not1_b32 s2, s2, exec_lo
.LBB119_2:
	s_or_b32 exec_lo, exec_lo, s3
	s_and_saveexec_b32 s3, s2
	s_cbranch_execz .LBB119_21
; %bb.3:
	s_load_b64 s[2:3], s[0:1], 0x0
	s_bfe_u32 s4, ttmp6, 0x4000c
	s_and_b32 s5, ttmp6, 15
	s_add_co_i32 s4, s4, 1
	s_getreg_b32 s6, hwreg(HW_REG_IB_STS2, 6, 4)
	s_mul_i32 s4, ttmp9, s4
	v_lshrrev_b32_e32 v1, 5, v0
	s_add_co_i32 s5, s5, s4
	s_cmp_eq_u32 s6, 0
	s_cselect_b32 s4, ttmp9, s5
	s_delay_alu instid0(VALU_DEP_1) | instid1(SALU_CYCLE_1)
	v_lshl_or_b32 v10, s4, 2, v1
	s_wait_kmcnt 0x0
	s_delay_alu instid0(VALU_DEP_1)
	v_cmp_gt_i32_e32 vcc_lo, s2, v10
	s_and_b32 exec_lo, exec_lo, vcc_lo
	s_cbranch_execz .LBB119_21
; %bb.4:
	s_load_b256 s[4:11], s[0:1], 0x18
	v_ashrrev_i32_e32 v11, 31, v10
	s_cmp_lg_u32 s3, 0
	s_wait_kmcnt 0x0
	s_delay_alu instid0(VALU_DEP_1)
	v_lshl_add_u64 v[12:13], v[10:11], 2, s[4:5]
	v_and_b32_e32 v11, 31, v0
	global_load_b64 v[12:13], v[12:13], off
	s_wait_loadcnt 0x0
	v_subrev_nc_u32_e32 v0, s12, v12
	v_subrev_nc_u32_e32 v26, s12, v13
	s_delay_alu instid0(VALU_DEP_2) | instskip(NEXT) | instid1(VALU_DEP_1)
	v_add_nc_u32_e32 v27, v0, v11
	v_cmp_lt_i32_e64 s2, v27, v26
	s_cbranch_scc0 .LBB119_10
; %bb.5:
	v_mov_b64_e32 v[0:1], 0
	v_mov_b64_e32 v[20:21], 0
	;; [unrolled: 1-line block ×8, first 2 shown]
	s_and_saveexec_b32 s3, s2
	s_cbranch_execz .LBB119_9
; %bb.6:
	v_mov_b64_e32 v[0:1], 0
	v_mov_b64_e32 v[20:21], 0
	;; [unrolled: 1-line block ×8, first 2 shown]
	v_dual_mov_b32 v29, v27 :: v_dual_lshlrev_b32 v28, 3, v27
	s_mov_b32 s4, 0
.LBB119_7:                              ; =>This Inner Loop Header: Depth=1
	global_load_b32 v46, v29, s[6:7] scale_offset
	s_clause 0x3
	global_load_b128 v[30:33], v28, s[8:9] offset:48 scale_offset
	global_load_b128 v[34:37], v28, s[8:9] offset:32 scale_offset
	;; [unrolled: 1-line block ×3, first 2 shown]
	global_load_b128 v[42:45], v28, s[8:9] scale_offset
	s_wait_xcnt 0x4
	v_add_nc_u32_e32 v29, 32, v29
	s_delay_alu instid0(VALU_DEP_1) | instskip(SKIP_3) | instid1(VALU_DEP_1)
	v_cmp_ge_i32_e32 vcc_lo, v29, v26
	s_or_b32 s4, vcc_lo, s4
	s_wait_loadcnt 0x4
	v_subrev_nc_u32_e32 v46, s12, v46
	v_lshlrev_b32_e32 v70, 1, v46
	s_clause 0x1
	global_load_b128 v[46:49], v70, s[10:11] scale_offset
	global_load_b128 v[50:53], v70, s[10:11] offset:16 scale_offset
	s_clause 0x3
	global_load_b128 v[54:57], v28, s[8:9] offset:64 scale_offset
	global_load_b128 v[58:61], v28, s[8:9] offset:80 scale_offset
	;; [unrolled: 1-line block ×4, first 2 shown]
	s_wait_xcnt 0x0
	v_add_nc_u32_e32 v28, 0x100, v28
	s_wait_loadcnt 0x5
	v_fmac_f64_e32 v[20:21], v[42:43], v[46:47]
	v_fmac_f64_e32 v[0:1], v[44:45], v[46:47]
	;; [unrolled: 1-line block ×8, first 2 shown]
	v_fma_f64 v[20:21], -v[44:45], v[48:49], v[20:21]
	v_fmac_f64_e32 v[0:1], v[42:43], v[48:49]
	v_fma_f64 v[24:25], -v[40:41], v[48:49], v[24:25]
	v_fmac_f64_e32 v[16:17], v[38:39], v[48:49]
	;; [unrolled: 2-line block ×4, first 2 shown]
	s_wait_loadcnt 0x3
	v_fmac_f64_e32 v[20:21], v[54:55], v[50:51]
	v_fmac_f64_e32 v[0:1], v[56:57], v[50:51]
	s_wait_loadcnt 0x2
	v_fmac_f64_e32 v[24:25], v[58:59], v[50:51]
	v_fmac_f64_e32 v[16:17], v[60:61], v[50:51]
	;; [unrolled: 3-line block ×4, first 2 shown]
	v_fma_f64 v[20:21], -v[56:57], v[52:53], v[20:21]
	v_fmac_f64_e32 v[0:1], v[54:55], v[52:53]
	v_fma_f64 v[24:25], -v[60:61], v[52:53], v[24:25]
	v_fmac_f64_e32 v[16:17], v[58:59], v[52:53]
	v_fma_f64 v[22:23], -v[64:65], v[52:53], v[22:23]
	v_fmac_f64_e32 v[14:15], v[62:63], v[52:53]
	v_fma_f64 v[18:19], -v[68:69], v[52:53], v[18:19]
	v_fmac_f64_e32 v[12:13], v[66:67], v[52:53]
	s_and_not1_b32 exec_lo, exec_lo, s4
	s_cbranch_execnz .LBB119_7
; %bb.8:
	s_or_b32 exec_lo, exec_lo, s4
.LBB119_9:
	s_delay_alu instid0(SALU_CYCLE_1)
	s_or_b32 exec_lo, exec_lo, s3
	s_cbranch_execz .LBB119_11
	s_branch .LBB119_16
.LBB119_10:
                                        ; implicit-def: $vgpr0_vgpr1
                                        ; implicit-def: $vgpr20_vgpr21
                                        ; implicit-def: $vgpr18_vgpr19
                                        ; implicit-def: $vgpr12_vgpr13
                                        ; implicit-def: $vgpr22_vgpr23
                                        ; implicit-def: $vgpr14_vgpr15
                                        ; implicit-def: $vgpr24_vgpr25
                                        ; implicit-def: $vgpr16_vgpr17
.LBB119_11:
	v_mov_b64_e32 v[0:1], 0
	v_mov_b64_e32 v[20:21], 0
	;; [unrolled: 1-line block ×8, first 2 shown]
	s_and_saveexec_b32 s3, s2
	s_cbranch_execz .LBB119_15
; %bb.12:
	v_mov_b64_e32 v[0:1], 0
	v_mov_b64_e32 v[20:21], 0
	;; [unrolled: 1-line block ×8, first 2 shown]
	v_lshlrev_b32_e32 v28, 3, v27
	s_mov_b32 s2, 0
.LBB119_13:                             ; =>This Inner Loop Header: Depth=1
	global_load_b32 v29, v27, s[6:7] scale_offset
	s_clause 0x7
	global_load_b128 v[30:33], v28, s[8:9] offset:48 scale_offset
	global_load_b128 v[34:37], v28, s[8:9] offset:32 scale_offset
	;; [unrolled: 1-line block ×3, first 2 shown]
	global_load_b128 v[42:45], v28, s[8:9] scale_offset
	global_load_b128 v[46:49], v28, s[8:9] offset:112 scale_offset
	global_load_b128 v[50:53], v28, s[8:9] offset:96 scale_offset
	;; [unrolled: 1-line block ×4, first 2 shown]
	s_wait_xcnt 0x0
	v_add_nc_u32_e32 v28, 0x100, v28
	v_add_nc_u32_e32 v27, 32, v27
	s_delay_alu instid0(VALU_DEP_1) | instskip(SKIP_3) | instid1(VALU_DEP_1)
	v_cmp_ge_i32_e32 vcc_lo, v27, v26
	s_or_b32 s2, vcc_lo, s2
	s_wait_loadcnt 0x8
	v_subrev_nc_u32_e32 v29, s12, v29
	v_lshlrev_b32_e32 v29, 1, v29
	s_clause 0x1
	global_load_b128 v[62:65], v29, s[10:11] scale_offset
	global_load_b128 v[66:69], v29, s[10:11] offset:16 scale_offset
	s_wait_loadcnt 0x1
	v_fmac_f64_e32 v[20:21], v[42:43], v[62:63]
	v_fmac_f64_e32 v[0:1], v[44:45], v[62:63]
	;; [unrolled: 1-line block ×8, first 2 shown]
	v_fma_f64 v[20:21], -v[44:45], v[64:65], v[20:21]
	v_fmac_f64_e32 v[0:1], v[42:43], v[64:65]
	v_fma_f64 v[24:25], -v[36:37], v[64:65], v[24:25]
	v_fmac_f64_e32 v[16:17], v[34:35], v[64:65]
	;; [unrolled: 2-line block ×4, first 2 shown]
	s_wait_loadcnt 0x0
	v_fmac_f64_e32 v[20:21], v[38:39], v[66:67]
	v_fmac_f64_e32 v[0:1], v[40:41], v[66:67]
	;; [unrolled: 1-line block ×8, first 2 shown]
	v_fma_f64 v[20:21], -v[40:41], v[68:69], v[20:21]
	v_fmac_f64_e32 v[0:1], v[38:39], v[68:69]
	v_fma_f64 v[24:25], -v[32:33], v[68:69], v[24:25]
	v_fmac_f64_e32 v[16:17], v[30:31], v[68:69]
	;; [unrolled: 2-line block ×4, first 2 shown]
	s_and_not1_b32 exec_lo, exec_lo, s2
	s_cbranch_execnz .LBB119_13
; %bb.14:
	s_or_b32 exec_lo, exec_lo, s2
.LBB119_15:
	s_delay_alu instid0(SALU_CYCLE_1)
	s_or_b32 exec_lo, exec_lo, s3
.LBB119_16:
	v_mbcnt_lo_u32_b32 v44, -1, 0
	s_delay_alu instid0(VALU_DEP_1) | instskip(NEXT) | instid1(VALU_DEP_1)
	v_xor_b32_e32 v26, 16, v44
	v_cmp_gt_i32_e32 vcc_lo, 32, v26
	v_cndmask_b32_e32 v26, v44, v26, vcc_lo
	s_delay_alu instid0(VALU_DEP_1)
	v_lshlrev_b32_e32 v41, 2, v26
	ds_bpermute_b32 v28, v41, v0
	ds_bpermute_b32 v29, v41, v1
	s_wait_dscnt 0x0
	v_add_f64_e32 v[0:1], v[0:1], v[28:29]
	ds_bpermute_b32 v26, v41, v20
	ds_bpermute_b32 v27, v41, v21
	;; [unrolled: 1-line block ×14, first 2 shown]
	s_wait_dscnt 0xc
	v_dual_add_f64 v[20:21], v[20:21], v[26:27] :: v_dual_bitop2_b32 v26, 8, v44 bitop3:0x14
	s_wait_dscnt 0xa
	v_add_f64_e32 v[14:15], v[14:15], v[36:37]
	s_wait_dscnt 0x8
	v_add_f64_e32 v[24:25], v[24:25], v[30:31]
	v_cmp_gt_i32_e32 vcc_lo, 32, v26
	s_wait_dscnt 0x4
	v_add_f64_e32 v[22:23], v[22:23], v[34:35]
	s_wait_dscnt 0x2
	v_add_f64_e32 v[18:19], v[18:19], v[38:39]
	v_cndmask_b32_e32 v26, v44, v26, vcc_lo
	v_add_f64_e32 v[16:17], v[16:17], v[32:33]
	s_wait_dscnt 0x0
	s_delay_alu instid0(VALU_DEP_2)
	v_dual_add_f64 v[12:13], v[12:13], v[40:41] :: v_dual_lshlrev_b32 v41, 2, v26
	ds_bpermute_b32 v28, v41, v0
	ds_bpermute_b32 v29, v41, v1
	;; [unrolled: 1-line block ×8, first 2 shown]
	s_wait_dscnt 0x6
	v_add_f64_e32 v[0:1], v[0:1], v[28:29]
	ds_bpermute_b32 v38, v41, v18
	ds_bpermute_b32 v32, v41, v16
	ds_bpermute_b32 v33, v41, v17
	ds_bpermute_b32 v39, v41, v19
	ds_bpermute_b32 v40, v41, v12
	s_wait_dscnt 0x9
	v_dual_add_f64 v[20:21], v[20:21], v[26:27] :: v_dual_bitop2_b32 v26, 4, v44 bitop3:0x14
	ds_bpermute_b32 v34, v41, v22
	ds_bpermute_b32 v35, v41, v23
	;; [unrolled: 1-line block ×3, first 2 shown]
	s_wait_dscnt 0xa
	v_add_f64_e32 v[14:15], v[14:15], v[36:37]
	v_cmp_gt_i32_e32 vcc_lo, 32, v26
	s_wait_dscnt 0x8
	v_add_f64_e32 v[24:25], v[24:25], v[30:31]
	v_cndmask_b32_e32 v26, v44, v26, vcc_lo
	s_wait_dscnt 0x5
	v_add_f64_e32 v[16:17], v[16:17], v[32:33]
	s_wait_dscnt 0x0
	s_delay_alu instid0(VALU_DEP_2)
	v_dual_add_f64 v[12:13], v[12:13], v[40:41] :: v_dual_lshlrev_b32 v41, 2, v26
	ds_bpermute_b32 v28, v41, v0
	ds_bpermute_b32 v29, v41, v1
	ds_bpermute_b32 v26, v41, v20
	ds_bpermute_b32 v27, v41, v21
	ds_bpermute_b32 v36, v41, v14
	ds_bpermute_b32 v37, v41, v15
	ds_bpermute_b32 v30, v41, v24
	ds_bpermute_b32 v31, v41, v25
	ds_bpermute_b32 v32, v41, v16
	ds_bpermute_b32 v33, v41, v17
	s_wait_dscnt 0x6
	v_add_f64_e32 v[20:21], v[20:21], v[26:27]
	v_add_f64_e32 v[26:27], v[0:1], v[28:29]
	v_dual_add_f64 v[18:19], v[18:19], v[38:39] :: v_dual_bitop2_b32 v0, 2, v44 bitop3:0x14
	ds_bpermute_b32 v40, v41, v12
	v_cmp_gt_i32_e32 vcc_lo, 32, v0
	v_add_f64_e32 v[22:23], v[22:23], v[34:35]
	s_wait_dscnt 0x3
	v_add_f64_e32 v[28:29], v[24:25], v[30:31]
	v_cndmask_b32_e32 v0, v44, v0, vcc_lo
	s_wait_dscnt 0x1
	v_add_f64_e32 v[16:17], v[16:17], v[32:33]
	v_add_f64_e32 v[32:33], v[14:15], v[36:37]
	s_delay_alu instid0(VALU_DEP_3)
	v_lshlrev_b32_e32 v24, 2, v0
	ds_bpermute_b32 v0, v24, v20
	ds_bpermute_b32 v1, v24, v21
	;; [unrolled: 1-line block ×9, first 2 shown]
	s_wait_dscnt 0x7
	v_add_f64_e32 v[0:1], v[20:21], v[0:1]
	s_wait_dscnt 0x5
	v_add_f64_e32 v[18:19], v[18:19], v[38:39]
	ds_bpermute_b32 v38, v24, v32
	ds_bpermute_b32 v39, v24, v33
	s_wait_dscnt 0x5
	v_add_f64_e32 v[30:31], v[22:23], v[34:35]
	s_wait_dscnt 0x4
	v_add_f64_e32 v[34:35], v[12:13], v[40:41]
	ds_bpermute_b32 v12, v24, v26
	ds_bpermute_b32 v13, v24, v27
	;; [unrolled: 1-line block ×4, first 2 shown]
	s_wait_dscnt 0x4
	v_add_f64_e32 v[20:21], v[32:33], v[38:39]
	s_wait_dscnt 0x0
	v_add_f64_e32 v[22:23], v[16:17], v[22:23]
	ds_bpermute_b32 v40, v24, v18
	ds_bpermute_b32 v41, v24, v19
	;; [unrolled: 1-line block ×6, first 2 shown]
	v_add_f64_e32 v[24:25], v[26:27], v[12:13]
	v_dual_add_f64 v[12:13], v[28:29], v[14:15] :: v_dual_bitop2_b32 v26, 1, v44 bitop3:0x14
	s_delay_alu instid0(VALU_DEP_1) | instskip(SKIP_4) | instid1(VALU_DEP_2)
	v_cmp_gt_i32_e32 vcc_lo, 32, v26
	s_wait_dscnt 0x4
	v_dual_add_f64 v[16:17], v[18:19], v[40:41] :: v_dual_cndmask_b32 v26, v44, v26, vcc_lo
	v_cmp_eq_u32_e32 vcc_lo, 31, v11
	s_wait_dscnt 0x2
	v_dual_add_f64 v[14:15], v[30:31], v[36:37] :: v_dual_lshlrev_b32 v29, 2, v26
	s_wait_dscnt 0x0
	v_add_f64_e32 v[18:19], v[34:35], v[42:43]
	ds_bpermute_b32 v40, v29, v0
	ds_bpermute_b32 v41, v29, v1
	;; [unrolled: 1-line block ×16, first 2 shown]
	s_and_b32 exec_lo, exec_lo, vcc_lo
	s_cbranch_execz .LBB119_21
; %bb.17:
	v_cmp_eq_f64_e32 vcc_lo, 0, v[6:7]
	v_cmp_eq_f64_e64 s2, 0, v[8:9]
	s_wait_dscnt 0xe
	v_add_f64_e32 v[0:1], v[0:1], v[40:41]
	s_wait_dscnt 0x8
	v_add_f64_e32 v[24:25], v[24:25], v[38:39]
	;; [unrolled: 2-line block ×3, first 2 shown]
	v_add_f64_e32 v[22:23], v[22:23], v[34:35]
	s_wait_dscnt 0x2
	v_add_f64_e32 v[14:15], v[14:15], v[32:33]
	v_add_f64_e32 v[20:21], v[20:21], v[30:31]
	;; [unrolled: 1-line block ×3, first 2 shown]
	s_wait_dscnt 0x0
	v_add_f64_e32 v[18:19], v[18:19], v[28:29]
	s_load_b64 s[0:1], s[0:1], 0x48
	s_and_b32 s2, vcc_lo, s2
	s_delay_alu instid0(SALU_CYCLE_1) | instskip(NEXT) | instid1(SALU_CYCLE_1)
	s_and_saveexec_b32 s3, s2
	s_xor_b32 s2, exec_lo, s3
	s_cbranch_execz .LBB119_19
; %bb.18:
	v_mul_f64_e64 v[6:7], v[24:25], -v[4:5]
	v_mul_f64_e32 v[8:9], v[2:3], v[24:25]
	v_mul_f64_e64 v[24:25], v[22:23], -v[4:5]
	v_mul_f64_e32 v[26:27], v[2:3], v[22:23]
	;; [unrolled: 2-line block ×4, first 2 shown]
                                        ; implicit-def: $vgpr18_vgpr19
	v_fmac_f64_e32 v[6:7], v[2:3], v[0:1]
	v_fmac_f64_e32 v[8:9], v[4:5], v[0:1]
	;; [unrolled: 1-line block ×8, first 2 shown]
	v_lshlrev_b32_e32 v0, 2, v10
                                        ; implicit-def: $vgpr10
                                        ; implicit-def: $vgpr12_vgpr13
                                        ; implicit-def: $vgpr14_vgpr15
                                        ; implicit-def: $vgpr16_vgpr17
                                        ; implicit-def: $vgpr4_vgpr5
	s_wait_kmcnt 0x0
	s_clause 0x3
	global_store_b128 v0, v[6:9], s[0:1] scale_offset
	global_store_b128 v0, v[24:27], s[0:1] offset:16 scale_offset
	global_store_b128 v0, v[28:31], s[0:1] offset:32 scale_offset
	;; [unrolled: 1-line block ×3, first 2 shown]
                                        ; implicit-def: $vgpr0_vgpr1
                                        ; implicit-def: $vgpr24_vgpr25
                                        ; implicit-def: $vgpr22_vgpr23
                                        ; implicit-def: $vgpr20_vgpr21
                                        ; implicit-def: $vgpr8_vgpr9
.LBB119_19:
	s_wait_xcnt 0x0
	s_and_not1_saveexec_b32 s2, s2
	s_cbranch_execz .LBB119_21
; %bb.20:
	v_dual_mul_f64 v[42:43], v[24:25], -v[4:5] :: v_dual_lshlrev_b32 v52, 2, v10
	v_mul_f64_e32 v[24:25], v[2:3], v[24:25]
	v_mul_f64_e64 v[46:47], v[22:23], -v[4:5]
	v_mul_f64_e32 v[44:45], v[2:3], v[22:23]
	s_wait_kmcnt 0x0
	s_clause 0x3
	global_load_b128 v[26:29], v52, s[0:1] scale_offset
	global_load_b128 v[30:33], v52, s[0:1] offset:16 scale_offset
	global_load_b128 v[34:37], v52, s[0:1] offset:32 scale_offset
	;; [unrolled: 1-line block ×3, first 2 shown]
	v_mul_f64_e64 v[48:49], v[20:21], -v[4:5]
	v_mul_f64_e32 v[20:21], v[2:3], v[20:21]
	v_mul_f64_e64 v[50:51], v[18:19], -v[4:5]
	v_mul_f64_e32 v[10:11], v[2:3], v[18:19]
	v_fmac_f64_e32 v[42:43], v[2:3], v[0:1]
	v_fmac_f64_e32 v[24:25], v[4:5], v[0:1]
	;; [unrolled: 1-line block ×8, first 2 shown]
	s_wait_loadcnt 0x3
	v_fmac_f64_e32 v[42:43], v[6:7], v[26:27]
	v_fmac_f64_e32 v[24:25], v[8:9], v[26:27]
	s_wait_loadcnt 0x2
	v_fmac_f64_e32 v[46:47], v[6:7], v[30:31]
	v_fmac_f64_e32 v[44:45], v[8:9], v[30:31]
	;; [unrolled: 3-line block ×4, first 2 shown]
	v_fma_f64 v[22:23], -v[8:9], v[28:29], v[42:43]
	v_fmac_f64_e32 v[24:25], v[6:7], v[28:29]
	v_fma_f64 v[42:43], -v[8:9], v[32:33], v[46:47]
	v_fmac_f64_e32 v[44:45], v[6:7], v[32:33]
	;; [unrolled: 2-line block ×4, first 2 shown]
	s_clause 0x3
	global_store_b128 v52, v[22:25], s[0:1] scale_offset
	global_store_b128 v52, v[42:45], s[0:1] offset:16 scale_offset
	global_store_b128 v52, v[18:21], s[0:1] offset:32 scale_offset
	;; [unrolled: 1-line block ×3, first 2 shown]
.LBB119_21:
	s_sendmsg sendmsg(MSG_DEALLOC_VGPRS)
	s_endpgm
	.section	.rodata,"a",@progbits
	.p2align	6, 0x0
	.amdhsa_kernel _ZN9rocsparseL19gebsrmvn_4xn_kernelILj128ELj2ELj32E21rocsparse_complex_numIdEEEvi20rocsparse_direction_NS_24const_host_device_scalarIT2_EEPKiS8_PKS5_SA_S6_PS5_21rocsparse_index_base_b
		.amdhsa_group_segment_fixed_size 0
		.amdhsa_private_segment_fixed_size 0
		.amdhsa_kernarg_size 88
		.amdhsa_user_sgpr_count 2
		.amdhsa_user_sgpr_dispatch_ptr 0
		.amdhsa_user_sgpr_queue_ptr 0
		.amdhsa_user_sgpr_kernarg_segment_ptr 1
		.amdhsa_user_sgpr_dispatch_id 0
		.amdhsa_user_sgpr_kernarg_preload_length 0
		.amdhsa_user_sgpr_kernarg_preload_offset 0
		.amdhsa_user_sgpr_private_segment_size 0
		.amdhsa_wavefront_size32 1
		.amdhsa_uses_dynamic_stack 0
		.amdhsa_enable_private_segment 0
		.amdhsa_system_sgpr_workgroup_id_x 1
		.amdhsa_system_sgpr_workgroup_id_y 0
		.amdhsa_system_sgpr_workgroup_id_z 0
		.amdhsa_system_sgpr_workgroup_info 0
		.amdhsa_system_vgpr_workitem_id 0
		.amdhsa_next_free_vgpr 71
		.amdhsa_next_free_sgpr 14
		.amdhsa_named_barrier_count 0
		.amdhsa_reserve_vcc 1
		.amdhsa_float_round_mode_32 0
		.amdhsa_float_round_mode_16_64 0
		.amdhsa_float_denorm_mode_32 3
		.amdhsa_float_denorm_mode_16_64 3
		.amdhsa_fp16_overflow 0
		.amdhsa_memory_ordered 1
		.amdhsa_forward_progress 1
		.amdhsa_inst_pref_size 23
		.amdhsa_round_robin_scheduling 0
		.amdhsa_exception_fp_ieee_invalid_op 0
		.amdhsa_exception_fp_denorm_src 0
		.amdhsa_exception_fp_ieee_div_zero 0
		.amdhsa_exception_fp_ieee_overflow 0
		.amdhsa_exception_fp_ieee_underflow 0
		.amdhsa_exception_fp_ieee_inexact 0
		.amdhsa_exception_int_div_zero 0
	.end_amdhsa_kernel
	.section	.text._ZN9rocsparseL19gebsrmvn_4xn_kernelILj128ELj2ELj32E21rocsparse_complex_numIdEEEvi20rocsparse_direction_NS_24const_host_device_scalarIT2_EEPKiS8_PKS5_SA_S6_PS5_21rocsparse_index_base_b,"axG",@progbits,_ZN9rocsparseL19gebsrmvn_4xn_kernelILj128ELj2ELj32E21rocsparse_complex_numIdEEEvi20rocsparse_direction_NS_24const_host_device_scalarIT2_EEPKiS8_PKS5_SA_S6_PS5_21rocsparse_index_base_b,comdat
.Lfunc_end119:
	.size	_ZN9rocsparseL19gebsrmvn_4xn_kernelILj128ELj2ELj32E21rocsparse_complex_numIdEEEvi20rocsparse_direction_NS_24const_host_device_scalarIT2_EEPKiS8_PKS5_SA_S6_PS5_21rocsparse_index_base_b, .Lfunc_end119-_ZN9rocsparseL19gebsrmvn_4xn_kernelILj128ELj2ELj32E21rocsparse_complex_numIdEEEvi20rocsparse_direction_NS_24const_host_device_scalarIT2_EEPKiS8_PKS5_SA_S6_PS5_21rocsparse_index_base_b
                                        ; -- End function
	.set _ZN9rocsparseL19gebsrmvn_4xn_kernelILj128ELj2ELj32E21rocsparse_complex_numIdEEEvi20rocsparse_direction_NS_24const_host_device_scalarIT2_EEPKiS8_PKS5_SA_S6_PS5_21rocsparse_index_base_b.num_vgpr, 71
	.set _ZN9rocsparseL19gebsrmvn_4xn_kernelILj128ELj2ELj32E21rocsparse_complex_numIdEEEvi20rocsparse_direction_NS_24const_host_device_scalarIT2_EEPKiS8_PKS5_SA_S6_PS5_21rocsparse_index_base_b.num_agpr, 0
	.set _ZN9rocsparseL19gebsrmvn_4xn_kernelILj128ELj2ELj32E21rocsparse_complex_numIdEEEvi20rocsparse_direction_NS_24const_host_device_scalarIT2_EEPKiS8_PKS5_SA_S6_PS5_21rocsparse_index_base_b.numbered_sgpr, 14
	.set _ZN9rocsparseL19gebsrmvn_4xn_kernelILj128ELj2ELj32E21rocsparse_complex_numIdEEEvi20rocsparse_direction_NS_24const_host_device_scalarIT2_EEPKiS8_PKS5_SA_S6_PS5_21rocsparse_index_base_b.num_named_barrier, 0
	.set _ZN9rocsparseL19gebsrmvn_4xn_kernelILj128ELj2ELj32E21rocsparse_complex_numIdEEEvi20rocsparse_direction_NS_24const_host_device_scalarIT2_EEPKiS8_PKS5_SA_S6_PS5_21rocsparse_index_base_b.private_seg_size, 0
	.set _ZN9rocsparseL19gebsrmvn_4xn_kernelILj128ELj2ELj32E21rocsparse_complex_numIdEEEvi20rocsparse_direction_NS_24const_host_device_scalarIT2_EEPKiS8_PKS5_SA_S6_PS5_21rocsparse_index_base_b.uses_vcc, 1
	.set _ZN9rocsparseL19gebsrmvn_4xn_kernelILj128ELj2ELj32E21rocsparse_complex_numIdEEEvi20rocsparse_direction_NS_24const_host_device_scalarIT2_EEPKiS8_PKS5_SA_S6_PS5_21rocsparse_index_base_b.uses_flat_scratch, 0
	.set _ZN9rocsparseL19gebsrmvn_4xn_kernelILj128ELj2ELj32E21rocsparse_complex_numIdEEEvi20rocsparse_direction_NS_24const_host_device_scalarIT2_EEPKiS8_PKS5_SA_S6_PS5_21rocsparse_index_base_b.has_dyn_sized_stack, 0
	.set _ZN9rocsparseL19gebsrmvn_4xn_kernelILj128ELj2ELj32E21rocsparse_complex_numIdEEEvi20rocsparse_direction_NS_24const_host_device_scalarIT2_EEPKiS8_PKS5_SA_S6_PS5_21rocsparse_index_base_b.has_recursion, 0
	.set _ZN9rocsparseL19gebsrmvn_4xn_kernelILj128ELj2ELj32E21rocsparse_complex_numIdEEEvi20rocsparse_direction_NS_24const_host_device_scalarIT2_EEPKiS8_PKS5_SA_S6_PS5_21rocsparse_index_base_b.has_indirect_call, 0
	.section	.AMDGPU.csdata,"",@progbits
; Kernel info:
; codeLenInByte = 2824
; TotalNumSgprs: 16
; NumVgprs: 71
; ScratchSize: 0
; MemoryBound: 0
; FloatMode: 240
; IeeeMode: 1
; LDSByteSize: 0 bytes/workgroup (compile time only)
; SGPRBlocks: 0
; VGPRBlocks: 4
; NumSGPRsForWavesPerEU: 16
; NumVGPRsForWavesPerEU: 71
; NamedBarCnt: 0
; Occupancy: 12
; WaveLimiterHint : 1
; COMPUTE_PGM_RSRC2:SCRATCH_EN: 0
; COMPUTE_PGM_RSRC2:USER_SGPR: 2
; COMPUTE_PGM_RSRC2:TRAP_HANDLER: 0
; COMPUTE_PGM_RSRC2:TGID_X_EN: 1
; COMPUTE_PGM_RSRC2:TGID_Y_EN: 0
; COMPUTE_PGM_RSRC2:TGID_Z_EN: 0
; COMPUTE_PGM_RSRC2:TIDIG_COMP_CNT: 0
	.section	.text._ZN9rocsparseL19gebsrmvn_4xn_kernelILj128ELj2ELj64E21rocsparse_complex_numIdEEEvi20rocsparse_direction_NS_24const_host_device_scalarIT2_EEPKiS8_PKS5_SA_S6_PS5_21rocsparse_index_base_b,"axG",@progbits,_ZN9rocsparseL19gebsrmvn_4xn_kernelILj128ELj2ELj64E21rocsparse_complex_numIdEEEvi20rocsparse_direction_NS_24const_host_device_scalarIT2_EEPKiS8_PKS5_SA_S6_PS5_21rocsparse_index_base_b,comdat
	.globl	_ZN9rocsparseL19gebsrmvn_4xn_kernelILj128ELj2ELj64E21rocsparse_complex_numIdEEEvi20rocsparse_direction_NS_24const_host_device_scalarIT2_EEPKiS8_PKS5_SA_S6_PS5_21rocsparse_index_base_b ; -- Begin function _ZN9rocsparseL19gebsrmvn_4xn_kernelILj128ELj2ELj64E21rocsparse_complex_numIdEEEvi20rocsparse_direction_NS_24const_host_device_scalarIT2_EEPKiS8_PKS5_SA_S6_PS5_21rocsparse_index_base_b
	.p2align	8
	.type	_ZN9rocsparseL19gebsrmvn_4xn_kernelILj128ELj2ELj64E21rocsparse_complex_numIdEEEvi20rocsparse_direction_NS_24const_host_device_scalarIT2_EEPKiS8_PKS5_SA_S6_PS5_21rocsparse_index_base_b,@function
_ZN9rocsparseL19gebsrmvn_4xn_kernelILj128ELj2ELj64E21rocsparse_complex_numIdEEEvi20rocsparse_direction_NS_24const_host_device_scalarIT2_EEPKiS8_PKS5_SA_S6_PS5_21rocsparse_index_base_b: ; @_ZN9rocsparseL19gebsrmvn_4xn_kernelILj128ELj2ELj64E21rocsparse_complex_numIdEEEvi20rocsparse_direction_NS_24const_host_device_scalarIT2_EEPKiS8_PKS5_SA_S6_PS5_21rocsparse_index_base_b
; %bb.0:
	s_clause 0x1
	s_load_b64 s[12:13], s[0:1], 0x50
	s_load_b64 s[2:3], s[0:1], 0x8
	v_mov_b32_e32 v1, 0
	s_add_nc_u64 s[4:5], s[0:1], 8
	s_load_b64 s[6:7], s[0:1], 0x38
	s_wait_kmcnt 0x0
	s_bitcmp1_b32 s13, 0
	s_cselect_b32 s3, s5, s3
	s_cselect_b32 s2, s4, s2
	flat_load_b128 v[2:5], v1, s[2:3]
	s_wait_xcnt 0x0
	s_add_nc_u64 s[2:3], s[0:1], 56
	s_delay_alu instid0(SALU_CYCLE_1)
	s_cselect_b32 s3, s3, s7
	s_cselect_b32 s2, s2, s6
	flat_load_b128 v[6:9], v1, s[2:3]
	s_wait_loadcnt_dscnt 0x101
	v_cmp_eq_f64_e32 vcc_lo, 0, v[2:3]
	s_wait_xcnt 0x0
	v_cmp_eq_f64_e64 s2, 0, v[4:5]
	s_and_b32 s4, vcc_lo, s2
	s_mov_b32 s2, -1
	s_and_saveexec_b32 s3, s4
	s_cbranch_execz .LBB120_2
; %bb.1:
	s_wait_loadcnt_dscnt 0x0
	v_cmp_neq_f64_e32 vcc_lo, 1.0, v[6:7]
	v_cmp_neq_f64_e64 s2, 0, v[8:9]
	s_or_b32 s2, vcc_lo, s2
	s_delay_alu instid0(SALU_CYCLE_1)
	s_or_not1_b32 s2, s2, exec_lo
.LBB120_2:
	s_or_b32 exec_lo, exec_lo, s3
	s_and_saveexec_b32 s3, s2
	s_cbranch_execz .LBB120_21
; %bb.3:
	s_load_b64 s[2:3], s[0:1], 0x0
	s_bfe_u32 s4, ttmp6, 0x4000c
	s_and_b32 s5, ttmp6, 15
	s_add_co_i32 s4, s4, 1
	s_getreg_b32 s6, hwreg(HW_REG_IB_STS2, 6, 4)
	s_mul_i32 s4, ttmp9, s4
	v_lshrrev_b32_e32 v1, 6, v0
	s_add_co_i32 s5, s5, s4
	s_cmp_eq_u32 s6, 0
	s_cselect_b32 s4, ttmp9, s5
	s_delay_alu instid0(VALU_DEP_1) | instid1(SALU_CYCLE_1)
	v_lshl_or_b32 v10, s4, 1, v1
	s_wait_kmcnt 0x0
	s_delay_alu instid0(VALU_DEP_1)
	v_cmp_gt_i32_e32 vcc_lo, s2, v10
	s_and_b32 exec_lo, exec_lo, vcc_lo
	s_cbranch_execz .LBB120_21
; %bb.4:
	s_load_b256 s[4:11], s[0:1], 0x18
	v_ashrrev_i32_e32 v11, 31, v10
	s_cmp_lg_u32 s3, 0
	s_wait_kmcnt 0x0
	s_delay_alu instid0(VALU_DEP_1)
	v_lshl_add_u64 v[12:13], v[10:11], 2, s[4:5]
	v_and_b32_e32 v11, 63, v0
	global_load_b64 v[12:13], v[12:13], off
	s_wait_loadcnt 0x0
	v_subrev_nc_u32_e32 v0, s12, v12
	v_subrev_nc_u32_e32 v26, s12, v13
	s_delay_alu instid0(VALU_DEP_2) | instskip(NEXT) | instid1(VALU_DEP_1)
	v_add_nc_u32_e32 v27, v0, v11
	v_cmp_lt_i32_e64 s2, v27, v26
	s_cbranch_scc0 .LBB120_10
; %bb.5:
	v_mov_b64_e32 v[0:1], 0
	v_mov_b64_e32 v[20:21], 0
	;; [unrolled: 1-line block ×8, first 2 shown]
	s_and_saveexec_b32 s3, s2
	s_cbranch_execz .LBB120_9
; %bb.6:
	v_mov_b64_e32 v[0:1], 0
	v_mov_b64_e32 v[20:21], 0
	;; [unrolled: 1-line block ×8, first 2 shown]
	v_dual_mov_b32 v29, v27 :: v_dual_lshlrev_b32 v28, 3, v27
	s_mov_b32 s4, 0
.LBB120_7:                              ; =>This Inner Loop Header: Depth=1
	global_load_b32 v46, v29, s[6:7] scale_offset
	s_clause 0x3
	global_load_b128 v[30:33], v28, s[8:9] offset:48 scale_offset
	global_load_b128 v[34:37], v28, s[8:9] offset:32 scale_offset
	;; [unrolled: 1-line block ×3, first 2 shown]
	global_load_b128 v[42:45], v28, s[8:9] scale_offset
	s_wait_xcnt 0x4
	v_add_nc_u32_e32 v29, 64, v29
	s_delay_alu instid0(VALU_DEP_1) | instskip(SKIP_3) | instid1(VALU_DEP_1)
	v_cmp_ge_i32_e32 vcc_lo, v29, v26
	s_or_b32 s4, vcc_lo, s4
	s_wait_loadcnt 0x4
	v_subrev_nc_u32_e32 v46, s12, v46
	v_lshlrev_b32_e32 v70, 1, v46
	s_clause 0x1
	global_load_b128 v[46:49], v70, s[10:11] scale_offset
	global_load_b128 v[50:53], v70, s[10:11] offset:16 scale_offset
	s_clause 0x3
	global_load_b128 v[54:57], v28, s[8:9] offset:64 scale_offset
	global_load_b128 v[58:61], v28, s[8:9] offset:80 scale_offset
	;; [unrolled: 1-line block ×4, first 2 shown]
	s_wait_xcnt 0x0
	v_add_nc_u32_e32 v28, 0x200, v28
	s_wait_loadcnt 0x5
	v_fmac_f64_e32 v[20:21], v[42:43], v[46:47]
	v_fmac_f64_e32 v[0:1], v[44:45], v[46:47]
	;; [unrolled: 1-line block ×8, first 2 shown]
	v_fma_f64 v[20:21], -v[44:45], v[48:49], v[20:21]
	v_fmac_f64_e32 v[0:1], v[42:43], v[48:49]
	v_fma_f64 v[24:25], -v[40:41], v[48:49], v[24:25]
	v_fmac_f64_e32 v[16:17], v[38:39], v[48:49]
	;; [unrolled: 2-line block ×4, first 2 shown]
	s_wait_loadcnt 0x3
	v_fmac_f64_e32 v[20:21], v[54:55], v[50:51]
	v_fmac_f64_e32 v[0:1], v[56:57], v[50:51]
	s_wait_loadcnt 0x2
	v_fmac_f64_e32 v[24:25], v[58:59], v[50:51]
	v_fmac_f64_e32 v[16:17], v[60:61], v[50:51]
	;; [unrolled: 3-line block ×4, first 2 shown]
	v_fma_f64 v[20:21], -v[56:57], v[52:53], v[20:21]
	v_fmac_f64_e32 v[0:1], v[54:55], v[52:53]
	v_fma_f64 v[24:25], -v[60:61], v[52:53], v[24:25]
	v_fmac_f64_e32 v[16:17], v[58:59], v[52:53]
	;; [unrolled: 2-line block ×4, first 2 shown]
	s_and_not1_b32 exec_lo, exec_lo, s4
	s_cbranch_execnz .LBB120_7
; %bb.8:
	s_or_b32 exec_lo, exec_lo, s4
.LBB120_9:
	s_delay_alu instid0(SALU_CYCLE_1)
	s_or_b32 exec_lo, exec_lo, s3
	s_cbranch_execz .LBB120_11
	s_branch .LBB120_16
.LBB120_10:
                                        ; implicit-def: $vgpr0_vgpr1
                                        ; implicit-def: $vgpr20_vgpr21
                                        ; implicit-def: $vgpr18_vgpr19
                                        ; implicit-def: $vgpr12_vgpr13
                                        ; implicit-def: $vgpr22_vgpr23
                                        ; implicit-def: $vgpr14_vgpr15
                                        ; implicit-def: $vgpr24_vgpr25
                                        ; implicit-def: $vgpr16_vgpr17
.LBB120_11:
	v_mov_b64_e32 v[0:1], 0
	v_mov_b64_e32 v[20:21], 0
	;; [unrolled: 1-line block ×8, first 2 shown]
	s_and_saveexec_b32 s3, s2
	s_cbranch_execz .LBB120_15
; %bb.12:
	v_mov_b64_e32 v[0:1], 0
	v_mov_b64_e32 v[20:21], 0
	;; [unrolled: 1-line block ×8, first 2 shown]
	v_lshlrev_b32_e32 v28, 3, v27
	s_mov_b32 s2, 0
.LBB120_13:                             ; =>This Inner Loop Header: Depth=1
	global_load_b32 v29, v27, s[6:7] scale_offset
	s_clause 0x7
	global_load_b128 v[30:33], v28, s[8:9] offset:48 scale_offset
	global_load_b128 v[34:37], v28, s[8:9] offset:32 scale_offset
	;; [unrolled: 1-line block ×3, first 2 shown]
	global_load_b128 v[42:45], v28, s[8:9] scale_offset
	global_load_b128 v[46:49], v28, s[8:9] offset:112 scale_offset
	global_load_b128 v[50:53], v28, s[8:9] offset:96 scale_offset
	;; [unrolled: 1-line block ×4, first 2 shown]
	s_wait_xcnt 0x0
	v_add_nc_u32_e32 v28, 0x200, v28
	v_add_nc_u32_e32 v27, 64, v27
	s_delay_alu instid0(VALU_DEP_1) | instskip(SKIP_3) | instid1(VALU_DEP_1)
	v_cmp_ge_i32_e32 vcc_lo, v27, v26
	s_or_b32 s2, vcc_lo, s2
	s_wait_loadcnt 0x8
	v_subrev_nc_u32_e32 v29, s12, v29
	v_lshlrev_b32_e32 v29, 1, v29
	s_clause 0x1
	global_load_b128 v[62:65], v29, s[10:11] scale_offset
	global_load_b128 v[66:69], v29, s[10:11] offset:16 scale_offset
	s_wait_loadcnt 0x1
	v_fmac_f64_e32 v[20:21], v[42:43], v[62:63]
	v_fmac_f64_e32 v[0:1], v[44:45], v[62:63]
	v_fmac_f64_e32 v[24:25], v[34:35], v[62:63]
	v_fmac_f64_e32 v[16:17], v[36:37], v[62:63]
	v_fmac_f64_e32 v[22:23], v[58:59], v[62:63]
	v_fmac_f64_e32 v[14:15], v[60:61], v[62:63]
	v_fmac_f64_e32 v[18:19], v[50:51], v[62:63]
	v_fmac_f64_e32 v[12:13], v[52:53], v[62:63]
	v_fma_f64 v[20:21], -v[44:45], v[64:65], v[20:21]
	v_fmac_f64_e32 v[0:1], v[42:43], v[64:65]
	v_fma_f64 v[24:25], -v[36:37], v[64:65], v[24:25]
	v_fmac_f64_e32 v[16:17], v[34:35], v[64:65]
	;; [unrolled: 2-line block ×4, first 2 shown]
	s_wait_loadcnt 0x0
	v_fmac_f64_e32 v[20:21], v[38:39], v[66:67]
	v_fmac_f64_e32 v[0:1], v[40:41], v[66:67]
	;; [unrolled: 1-line block ×8, first 2 shown]
	v_fma_f64 v[20:21], -v[40:41], v[68:69], v[20:21]
	v_fmac_f64_e32 v[0:1], v[38:39], v[68:69]
	v_fma_f64 v[24:25], -v[32:33], v[68:69], v[24:25]
	v_fmac_f64_e32 v[16:17], v[30:31], v[68:69]
	;; [unrolled: 2-line block ×4, first 2 shown]
	s_and_not1_b32 exec_lo, exec_lo, s2
	s_cbranch_execnz .LBB120_13
; %bb.14:
	s_or_b32 exec_lo, exec_lo, s2
.LBB120_15:
	s_delay_alu instid0(SALU_CYCLE_1)
	s_or_b32 exec_lo, exec_lo, s3
.LBB120_16:
	v_mbcnt_lo_u32_b32 v44, -1, 0
	s_delay_alu instid0(VALU_DEP_1) | instskip(NEXT) | instid1(VALU_DEP_1)
	v_or_b32_e32 v26, 32, v44
	v_cmp_gt_i32_e32 vcc_lo, 32, v26
	v_cndmask_b32_e32 v26, v44, v26, vcc_lo
	s_delay_alu instid0(VALU_DEP_1)
	v_lshlrev_b32_e32 v41, 2, v26
	ds_bpermute_b32 v28, v41, v0
	ds_bpermute_b32 v29, v41, v1
	s_wait_dscnt 0x0
	v_add_f64_e32 v[0:1], v[0:1], v[28:29]
	ds_bpermute_b32 v26, v41, v20
	ds_bpermute_b32 v27, v41, v21
	;; [unrolled: 1-line block ×14, first 2 shown]
	s_wait_dscnt 0xc
	v_dual_add_f64 v[20:21], v[20:21], v[26:27] :: v_dual_bitop2_b32 v26, 16, v44 bitop3:0x14
	s_wait_dscnt 0xa
	v_add_f64_e32 v[14:15], v[14:15], v[36:37]
	s_wait_dscnt 0x8
	v_add_f64_e32 v[24:25], v[24:25], v[30:31]
	v_cmp_gt_i32_e32 vcc_lo, 32, v26
	s_wait_dscnt 0x4
	v_add_f64_e32 v[22:23], v[22:23], v[34:35]
	s_wait_dscnt 0x2
	v_add_f64_e32 v[18:19], v[18:19], v[38:39]
	v_cndmask_b32_e32 v26, v44, v26, vcc_lo
	v_add_f64_e32 v[16:17], v[16:17], v[32:33]
	s_wait_dscnt 0x0
	s_delay_alu instid0(VALU_DEP_2)
	v_dual_add_f64 v[12:13], v[12:13], v[40:41] :: v_dual_lshlrev_b32 v41, 2, v26
	ds_bpermute_b32 v28, v41, v0
	ds_bpermute_b32 v29, v41, v1
	;; [unrolled: 1-line block ×13, first 2 shown]
	s_wait_dscnt 0x9
	v_dual_add_f64 v[20:21], v[20:21], v[26:27] :: v_dual_bitop2_b32 v26, 8, v44 bitop3:0x14
	ds_bpermute_b32 v34, v41, v22
	ds_bpermute_b32 v35, v41, v23
	;; [unrolled: 1-line block ×3, first 2 shown]
	s_wait_dscnt 0xa
	v_add_f64_e32 v[14:15], v[14:15], v[36:37]
	v_cmp_gt_i32_e32 vcc_lo, 32, v26
	s_wait_dscnt 0x8
	v_add_f64_e32 v[24:25], v[24:25], v[30:31]
	v_cndmask_b32_e32 v26, v44, v26, vcc_lo
	s_wait_dscnt 0x4
	v_add_f64_e32 v[16:17], v[16:17], v[32:33]
	s_wait_dscnt 0x1
	v_add_f64_e32 v[22:23], v[22:23], v[34:35]
	s_wait_dscnt 0x0
	v_dual_add_f64 v[12:13], v[12:13], v[40:41] :: v_dual_lshlrev_b32 v41, 2, v26
	ds_bpermute_b32 v26, v41, v20
	ds_bpermute_b32 v27, v41, v21
	;; [unrolled: 1-line block ×8, first 2 shown]
	s_wait_dscnt 0x6
	v_dual_add_f64 v[20:21], v[20:21], v[26:27] :: v_dual_bitop2_b32 v26, 4, v44 bitop3:0x14
	v_add_f64_e32 v[18:19], v[18:19], v[38:39]
	ds_bpermute_b32 v34, v41, v22
	ds_bpermute_b32 v35, v41, v23
	s_wait_dscnt 0x6
	v_add_f64_e32 v[14:15], v[14:15], v[36:37]
	v_cmp_gt_i32_e32 vcc_lo, 32, v26
	ds_bpermute_b32 v40, v41, v12
	s_wait_dscnt 0x5
	v_add_f64_e32 v[24:25], v[24:25], v[30:31]
	v_cndmask_b32_e32 v26, v44, v26, vcc_lo
	v_add_f64_e32 v[0:1], v[0:1], v[28:29]
	s_wait_dscnt 0x3
	v_add_f64_e32 v[16:17], v[16:17], v[32:33]
	ds_bpermute_b32 v38, v41, v18
	ds_bpermute_b32 v39, v41, v19
	;; [unrolled: 1-line block ×5, first 2 shown]
	s_wait_dscnt 0x0
	v_dual_add_f64 v[12:13], v[12:13], v[40:41] :: v_dual_lshlrev_b32 v41, 2, v26
	v_add_f64_e32 v[0:1], v[0:1], v[28:29]
	ds_bpermute_b32 v26, v41, v20
	ds_bpermute_b32 v27, v41, v21
	;; [unrolled: 1-line block ×8, first 2 shown]
	s_wait_dscnt 0x6
	v_add_f64_e32 v[20:21], v[20:21], v[26:27]
	s_wait_dscnt 0x2
	v_add_f64_e32 v[16:17], v[16:17], v[32:33]
	ds_bpermute_b32 v40, v41, v12
	s_wait_dscnt 0x1
	v_add_f64_e32 v[32:33], v[14:15], v[36:37]
	ds_bpermute_b32 v28, v41, v0
	ds_bpermute_b32 v29, v41, v1
	s_wait_dscnt 0x0
	v_add_f64_e32 v[26:27], v[0:1], v[28:29]
	v_dual_add_f64 v[28:29], v[24:25], v[30:31] :: v_dual_bitop2_b32 v0, 2, v44 bitop3:0x14
	s_delay_alu instid0(VALU_DEP_1) | instskip(SKIP_1) | instid1(VALU_DEP_1)
	v_cmp_gt_i32_e32 vcc_lo, 32, v0
	v_dual_add_f64 v[22:23], v[22:23], v[34:35] :: v_dual_cndmask_b32 v0, v44, v0, vcc_lo
	v_dual_add_f64 v[18:19], v[18:19], v[38:39] :: v_dual_lshlrev_b32 v24, 2, v0
	ds_bpermute_b32 v0, v24, v20
	ds_bpermute_b32 v1, v24, v21
	;; [unrolled: 1-line block ×4, first 2 shown]
	s_wait_dscnt 0x2
	v_add_f64_e32 v[0:1], v[20:21], v[0:1]
	ds_bpermute_b32 v34, v41, v22
	ds_bpermute_b32 v35, v41, v23
	;; [unrolled: 1-line block ×5, first 2 shown]
	s_wait_dscnt 0x3
	v_add_f64_e32 v[30:31], v[22:23], v[34:35]
	ds_bpermute_b32 v22, v24, v16
	ds_bpermute_b32 v23, v24, v17
	s_wait_dscnt 0x3
	v_add_f64_e32 v[18:19], v[18:19], v[38:39]
	s_wait_dscnt 0x2
	v_add_f64_e32 v[34:35], v[12:13], v[40:41]
	ds_bpermute_b32 v12, v24, v26
	ds_bpermute_b32 v13, v24, v27
	;; [unrolled: 1-line block ×4, first 2 shown]
	s_wait_dscnt 0x4
	v_add_f64_e32 v[22:23], v[16:17], v[22:23]
	s_wait_dscnt 0x0
	v_add_f64_e32 v[20:21], v[32:33], v[38:39]
	ds_bpermute_b32 v36, v24, v30
	ds_bpermute_b32 v37, v24, v31
	;; [unrolled: 1-line block ×6, first 2 shown]
	v_add_f64_e32 v[24:25], v[26:27], v[12:13]
	v_dual_add_f64 v[12:13], v[28:29], v[14:15] :: v_dual_bitop2_b32 v26, 1, v44 bitop3:0x14
	s_delay_alu instid0(VALU_DEP_1) | instskip(SKIP_4) | instid1(VALU_DEP_2)
	v_cmp_gt_i32_e32 vcc_lo, 32, v26
	s_wait_dscnt 0x4
	v_dual_add_f64 v[14:15], v[30:31], v[36:37] :: v_dual_cndmask_b32 v26, v44, v26, vcc_lo
	v_cmp_eq_u32_e32 vcc_lo, 63, v11
	s_wait_dscnt 0x2
	v_dual_add_f64 v[16:17], v[18:19], v[40:41] :: v_dual_lshlrev_b32 v29, 2, v26
	s_wait_dscnt 0x0
	v_add_f64_e32 v[18:19], v[34:35], v[42:43]
	ds_bpermute_b32 v40, v29, v0
	ds_bpermute_b32 v41, v29, v1
	ds_bpermute_b32 v34, v29, v22
	ds_bpermute_b32 v35, v29, v23
	ds_bpermute_b32 v30, v29, v20
	ds_bpermute_b32 v31, v29, v21
	ds_bpermute_b32 v38, v29, v24
	ds_bpermute_b32 v39, v29, v25
	ds_bpermute_b32 v36, v29, v12
	ds_bpermute_b32 v37, v29, v13
	ds_bpermute_b32 v32, v29, v14
	ds_bpermute_b32 v33, v29, v15
	ds_bpermute_b32 v26, v29, v16
	ds_bpermute_b32 v27, v29, v17
	ds_bpermute_b32 v28, v29, v18
	ds_bpermute_b32 v29, v29, v19
	s_and_b32 exec_lo, exec_lo, vcc_lo
	s_cbranch_execz .LBB120_21
; %bb.17:
	v_cmp_eq_f64_e32 vcc_lo, 0, v[6:7]
	v_cmp_eq_f64_e64 s2, 0, v[8:9]
	s_wait_dscnt 0xe
	v_add_f64_e32 v[0:1], v[0:1], v[40:41]
	s_wait_dscnt 0x8
	v_add_f64_e32 v[24:25], v[24:25], v[38:39]
	;; [unrolled: 2-line block ×3, first 2 shown]
	v_add_f64_e32 v[22:23], v[22:23], v[34:35]
	s_wait_dscnt 0x4
	v_add_f64_e32 v[14:15], v[14:15], v[32:33]
	v_add_f64_e32 v[20:21], v[20:21], v[30:31]
	s_wait_dscnt 0x2
	v_add_f64_e32 v[16:17], v[16:17], v[26:27]
	s_wait_dscnt 0x0
	v_add_f64_e32 v[18:19], v[18:19], v[28:29]
	s_load_b64 s[0:1], s[0:1], 0x48
	s_and_b32 s2, vcc_lo, s2
	s_delay_alu instid0(SALU_CYCLE_1) | instskip(NEXT) | instid1(SALU_CYCLE_1)
	s_and_saveexec_b32 s3, s2
	s_xor_b32 s2, exec_lo, s3
	s_cbranch_execz .LBB120_19
; %bb.18:
	v_mul_f64_e64 v[6:7], v[24:25], -v[4:5]
	v_mul_f64_e32 v[8:9], v[2:3], v[24:25]
	v_mul_f64_e64 v[24:25], v[22:23], -v[4:5]
	v_mul_f64_e32 v[26:27], v[2:3], v[22:23]
	;; [unrolled: 2-line block ×4, first 2 shown]
                                        ; implicit-def: $vgpr18_vgpr19
	v_fmac_f64_e32 v[6:7], v[2:3], v[0:1]
	v_fmac_f64_e32 v[8:9], v[4:5], v[0:1]
	;; [unrolled: 1-line block ×8, first 2 shown]
	v_lshlrev_b32_e32 v0, 2, v10
                                        ; implicit-def: $vgpr10
                                        ; implicit-def: $vgpr12_vgpr13
                                        ; implicit-def: $vgpr14_vgpr15
                                        ; implicit-def: $vgpr16_vgpr17
                                        ; implicit-def: $vgpr4_vgpr5
	s_wait_kmcnt 0x0
	s_clause 0x3
	global_store_b128 v0, v[6:9], s[0:1] scale_offset
	global_store_b128 v0, v[24:27], s[0:1] offset:16 scale_offset
	global_store_b128 v0, v[28:31], s[0:1] offset:32 scale_offset
	;; [unrolled: 1-line block ×3, first 2 shown]
                                        ; implicit-def: $vgpr0_vgpr1
                                        ; implicit-def: $vgpr24_vgpr25
                                        ; implicit-def: $vgpr22_vgpr23
                                        ; implicit-def: $vgpr20_vgpr21
                                        ; implicit-def: $vgpr8_vgpr9
.LBB120_19:
	s_wait_xcnt 0x0
	s_and_not1_saveexec_b32 s2, s2
	s_cbranch_execz .LBB120_21
; %bb.20:
	v_dual_mul_f64 v[42:43], v[24:25], -v[4:5] :: v_dual_lshlrev_b32 v52, 2, v10
	v_mul_f64_e32 v[24:25], v[2:3], v[24:25]
	v_mul_f64_e64 v[46:47], v[22:23], -v[4:5]
	v_mul_f64_e32 v[44:45], v[2:3], v[22:23]
	s_wait_kmcnt 0x0
	s_clause 0x3
	global_load_b128 v[26:29], v52, s[0:1] scale_offset
	global_load_b128 v[30:33], v52, s[0:1] offset:16 scale_offset
	global_load_b128 v[34:37], v52, s[0:1] offset:32 scale_offset
	;; [unrolled: 1-line block ×3, first 2 shown]
	v_mul_f64_e64 v[48:49], v[20:21], -v[4:5]
	v_mul_f64_e32 v[20:21], v[2:3], v[20:21]
	v_mul_f64_e64 v[50:51], v[18:19], -v[4:5]
	v_mul_f64_e32 v[10:11], v[2:3], v[18:19]
	v_fmac_f64_e32 v[42:43], v[2:3], v[0:1]
	v_fmac_f64_e32 v[24:25], v[4:5], v[0:1]
	;; [unrolled: 1-line block ×8, first 2 shown]
	s_wait_loadcnt 0x3
	v_fmac_f64_e32 v[42:43], v[6:7], v[26:27]
	v_fmac_f64_e32 v[24:25], v[8:9], v[26:27]
	s_wait_loadcnt 0x2
	v_fmac_f64_e32 v[46:47], v[6:7], v[30:31]
	v_fmac_f64_e32 v[44:45], v[8:9], v[30:31]
	;; [unrolled: 3-line block ×4, first 2 shown]
	v_fma_f64 v[22:23], -v[8:9], v[28:29], v[42:43]
	v_fmac_f64_e32 v[24:25], v[6:7], v[28:29]
	v_fma_f64 v[42:43], -v[8:9], v[32:33], v[46:47]
	v_fmac_f64_e32 v[44:45], v[6:7], v[32:33]
	;; [unrolled: 2-line block ×4, first 2 shown]
	s_clause 0x3
	global_store_b128 v52, v[22:25], s[0:1] scale_offset
	global_store_b128 v52, v[42:45], s[0:1] offset:16 scale_offset
	global_store_b128 v52, v[18:21], s[0:1] offset:32 scale_offset
	;; [unrolled: 1-line block ×3, first 2 shown]
.LBB120_21:
	s_sendmsg sendmsg(MSG_DEALLOC_VGPRS)
	s_endpgm
	.section	.rodata,"a",@progbits
	.p2align	6, 0x0
	.amdhsa_kernel _ZN9rocsparseL19gebsrmvn_4xn_kernelILj128ELj2ELj64E21rocsparse_complex_numIdEEEvi20rocsparse_direction_NS_24const_host_device_scalarIT2_EEPKiS8_PKS5_SA_S6_PS5_21rocsparse_index_base_b
		.amdhsa_group_segment_fixed_size 0
		.amdhsa_private_segment_fixed_size 0
		.amdhsa_kernarg_size 88
		.amdhsa_user_sgpr_count 2
		.amdhsa_user_sgpr_dispatch_ptr 0
		.amdhsa_user_sgpr_queue_ptr 0
		.amdhsa_user_sgpr_kernarg_segment_ptr 1
		.amdhsa_user_sgpr_dispatch_id 0
		.amdhsa_user_sgpr_kernarg_preload_length 0
		.amdhsa_user_sgpr_kernarg_preload_offset 0
		.amdhsa_user_sgpr_private_segment_size 0
		.amdhsa_wavefront_size32 1
		.amdhsa_uses_dynamic_stack 0
		.amdhsa_enable_private_segment 0
		.amdhsa_system_sgpr_workgroup_id_x 1
		.amdhsa_system_sgpr_workgroup_id_y 0
		.amdhsa_system_sgpr_workgroup_id_z 0
		.amdhsa_system_sgpr_workgroup_info 0
		.amdhsa_system_vgpr_workitem_id 0
		.amdhsa_next_free_vgpr 71
		.amdhsa_next_free_sgpr 14
		.amdhsa_named_barrier_count 0
		.amdhsa_reserve_vcc 1
		.amdhsa_float_round_mode_32 0
		.amdhsa_float_round_mode_16_64 0
		.amdhsa_float_denorm_mode_32 3
		.amdhsa_float_denorm_mode_16_64 3
		.amdhsa_fp16_overflow 0
		.amdhsa_memory_ordered 1
		.amdhsa_forward_progress 1
		.amdhsa_inst_pref_size 24
		.amdhsa_round_robin_scheduling 0
		.amdhsa_exception_fp_ieee_invalid_op 0
		.amdhsa_exception_fp_denorm_src 0
		.amdhsa_exception_fp_ieee_div_zero 0
		.amdhsa_exception_fp_ieee_overflow 0
		.amdhsa_exception_fp_ieee_underflow 0
		.amdhsa_exception_fp_ieee_inexact 0
		.amdhsa_exception_int_div_zero 0
	.end_amdhsa_kernel
	.section	.text._ZN9rocsparseL19gebsrmvn_4xn_kernelILj128ELj2ELj64E21rocsparse_complex_numIdEEEvi20rocsparse_direction_NS_24const_host_device_scalarIT2_EEPKiS8_PKS5_SA_S6_PS5_21rocsparse_index_base_b,"axG",@progbits,_ZN9rocsparseL19gebsrmvn_4xn_kernelILj128ELj2ELj64E21rocsparse_complex_numIdEEEvi20rocsparse_direction_NS_24const_host_device_scalarIT2_EEPKiS8_PKS5_SA_S6_PS5_21rocsparse_index_base_b,comdat
.Lfunc_end120:
	.size	_ZN9rocsparseL19gebsrmvn_4xn_kernelILj128ELj2ELj64E21rocsparse_complex_numIdEEEvi20rocsparse_direction_NS_24const_host_device_scalarIT2_EEPKiS8_PKS5_SA_S6_PS5_21rocsparse_index_base_b, .Lfunc_end120-_ZN9rocsparseL19gebsrmvn_4xn_kernelILj128ELj2ELj64E21rocsparse_complex_numIdEEEvi20rocsparse_direction_NS_24const_host_device_scalarIT2_EEPKiS8_PKS5_SA_S6_PS5_21rocsparse_index_base_b
                                        ; -- End function
	.set _ZN9rocsparseL19gebsrmvn_4xn_kernelILj128ELj2ELj64E21rocsparse_complex_numIdEEEvi20rocsparse_direction_NS_24const_host_device_scalarIT2_EEPKiS8_PKS5_SA_S6_PS5_21rocsparse_index_base_b.num_vgpr, 71
	.set _ZN9rocsparseL19gebsrmvn_4xn_kernelILj128ELj2ELj64E21rocsparse_complex_numIdEEEvi20rocsparse_direction_NS_24const_host_device_scalarIT2_EEPKiS8_PKS5_SA_S6_PS5_21rocsparse_index_base_b.num_agpr, 0
	.set _ZN9rocsparseL19gebsrmvn_4xn_kernelILj128ELj2ELj64E21rocsparse_complex_numIdEEEvi20rocsparse_direction_NS_24const_host_device_scalarIT2_EEPKiS8_PKS5_SA_S6_PS5_21rocsparse_index_base_b.numbered_sgpr, 14
	.set _ZN9rocsparseL19gebsrmvn_4xn_kernelILj128ELj2ELj64E21rocsparse_complex_numIdEEEvi20rocsparse_direction_NS_24const_host_device_scalarIT2_EEPKiS8_PKS5_SA_S6_PS5_21rocsparse_index_base_b.num_named_barrier, 0
	.set _ZN9rocsparseL19gebsrmvn_4xn_kernelILj128ELj2ELj64E21rocsparse_complex_numIdEEEvi20rocsparse_direction_NS_24const_host_device_scalarIT2_EEPKiS8_PKS5_SA_S6_PS5_21rocsparse_index_base_b.private_seg_size, 0
	.set _ZN9rocsparseL19gebsrmvn_4xn_kernelILj128ELj2ELj64E21rocsparse_complex_numIdEEEvi20rocsparse_direction_NS_24const_host_device_scalarIT2_EEPKiS8_PKS5_SA_S6_PS5_21rocsparse_index_base_b.uses_vcc, 1
	.set _ZN9rocsparseL19gebsrmvn_4xn_kernelILj128ELj2ELj64E21rocsparse_complex_numIdEEEvi20rocsparse_direction_NS_24const_host_device_scalarIT2_EEPKiS8_PKS5_SA_S6_PS5_21rocsparse_index_base_b.uses_flat_scratch, 0
	.set _ZN9rocsparseL19gebsrmvn_4xn_kernelILj128ELj2ELj64E21rocsparse_complex_numIdEEEvi20rocsparse_direction_NS_24const_host_device_scalarIT2_EEPKiS8_PKS5_SA_S6_PS5_21rocsparse_index_base_b.has_dyn_sized_stack, 0
	.set _ZN9rocsparseL19gebsrmvn_4xn_kernelILj128ELj2ELj64E21rocsparse_complex_numIdEEEvi20rocsparse_direction_NS_24const_host_device_scalarIT2_EEPKiS8_PKS5_SA_S6_PS5_21rocsparse_index_base_b.has_recursion, 0
	.set _ZN9rocsparseL19gebsrmvn_4xn_kernelILj128ELj2ELj64E21rocsparse_complex_numIdEEEvi20rocsparse_direction_NS_24const_host_device_scalarIT2_EEPKiS8_PKS5_SA_S6_PS5_21rocsparse_index_base_b.has_indirect_call, 0
	.section	.AMDGPU.csdata,"",@progbits
; Kernel info:
; codeLenInByte = 3040
; TotalNumSgprs: 16
; NumVgprs: 71
; ScratchSize: 0
; MemoryBound: 0
; FloatMode: 240
; IeeeMode: 1
; LDSByteSize: 0 bytes/workgroup (compile time only)
; SGPRBlocks: 0
; VGPRBlocks: 4
; NumSGPRsForWavesPerEU: 16
; NumVGPRsForWavesPerEU: 71
; NamedBarCnt: 0
; Occupancy: 12
; WaveLimiterHint : 1
; COMPUTE_PGM_RSRC2:SCRATCH_EN: 0
; COMPUTE_PGM_RSRC2:USER_SGPR: 2
; COMPUTE_PGM_RSRC2:TRAP_HANDLER: 0
; COMPUTE_PGM_RSRC2:TGID_X_EN: 1
; COMPUTE_PGM_RSRC2:TGID_Y_EN: 0
; COMPUTE_PGM_RSRC2:TGID_Z_EN: 0
; COMPUTE_PGM_RSRC2:TIDIG_COMP_CNT: 0
	.section	.text._ZN9rocsparseL19gebsrmvn_4xn_kernelILj128ELj3ELj4E21rocsparse_complex_numIdEEEvi20rocsparse_direction_NS_24const_host_device_scalarIT2_EEPKiS8_PKS5_SA_S6_PS5_21rocsparse_index_base_b,"axG",@progbits,_ZN9rocsparseL19gebsrmvn_4xn_kernelILj128ELj3ELj4E21rocsparse_complex_numIdEEEvi20rocsparse_direction_NS_24const_host_device_scalarIT2_EEPKiS8_PKS5_SA_S6_PS5_21rocsparse_index_base_b,comdat
	.globl	_ZN9rocsparseL19gebsrmvn_4xn_kernelILj128ELj3ELj4E21rocsparse_complex_numIdEEEvi20rocsparse_direction_NS_24const_host_device_scalarIT2_EEPKiS8_PKS5_SA_S6_PS5_21rocsparse_index_base_b ; -- Begin function _ZN9rocsparseL19gebsrmvn_4xn_kernelILj128ELj3ELj4E21rocsparse_complex_numIdEEEvi20rocsparse_direction_NS_24const_host_device_scalarIT2_EEPKiS8_PKS5_SA_S6_PS5_21rocsparse_index_base_b
	.p2align	8
	.type	_ZN9rocsparseL19gebsrmvn_4xn_kernelILj128ELj3ELj4E21rocsparse_complex_numIdEEEvi20rocsparse_direction_NS_24const_host_device_scalarIT2_EEPKiS8_PKS5_SA_S6_PS5_21rocsparse_index_base_b,@function
_ZN9rocsparseL19gebsrmvn_4xn_kernelILj128ELj3ELj4E21rocsparse_complex_numIdEEEvi20rocsparse_direction_NS_24const_host_device_scalarIT2_EEPKiS8_PKS5_SA_S6_PS5_21rocsparse_index_base_b: ; @_ZN9rocsparseL19gebsrmvn_4xn_kernelILj128ELj3ELj4E21rocsparse_complex_numIdEEEvi20rocsparse_direction_NS_24const_host_device_scalarIT2_EEPKiS8_PKS5_SA_S6_PS5_21rocsparse_index_base_b
; %bb.0:
	s_clause 0x1
	s_load_b64 s[12:13], s[0:1], 0x50
	s_load_b64 s[2:3], s[0:1], 0x8
	v_mov_b32_e32 v1, 0
	s_add_nc_u64 s[4:5], s[0:1], 8
	s_load_b64 s[6:7], s[0:1], 0x38
	s_wait_kmcnt 0x0
	s_bitcmp1_b32 s13, 0
	s_cselect_b32 s3, s5, s3
	s_cselect_b32 s2, s4, s2
	flat_load_b128 v[2:5], v1, s[2:3]
	s_wait_xcnt 0x0
	s_add_nc_u64 s[2:3], s[0:1], 56
	s_delay_alu instid0(SALU_CYCLE_1)
	s_cselect_b32 s3, s3, s7
	s_cselect_b32 s2, s2, s6
	flat_load_b128 v[6:9], v1, s[2:3]
	s_wait_loadcnt_dscnt 0x101
	v_cmp_eq_f64_e32 vcc_lo, 0, v[2:3]
	s_wait_xcnt 0x0
	v_cmp_eq_f64_e64 s2, 0, v[4:5]
	s_and_b32 s4, vcc_lo, s2
	s_mov_b32 s2, -1
	s_and_saveexec_b32 s3, s4
	s_cbranch_execz .LBB121_2
; %bb.1:
	s_wait_loadcnt_dscnt 0x0
	v_cmp_neq_f64_e32 vcc_lo, 1.0, v[6:7]
	v_cmp_neq_f64_e64 s2, 0, v[8:9]
	s_or_b32 s2, vcc_lo, s2
	s_delay_alu instid0(SALU_CYCLE_1)
	s_or_not1_b32 s2, s2, exec_lo
.LBB121_2:
	s_or_b32 exec_lo, exec_lo, s3
	s_and_saveexec_b32 s3, s2
	s_cbranch_execz .LBB121_21
; %bb.3:
	s_load_b64 s[2:3], s[0:1], 0x0
	s_bfe_u32 s4, ttmp6, 0x4000c
	s_and_b32 s5, ttmp6, 15
	s_add_co_i32 s4, s4, 1
	s_getreg_b32 s6, hwreg(HW_REG_IB_STS2, 6, 4)
	s_mul_i32 s4, ttmp9, s4
	v_lshrrev_b32_e32 v1, 2, v0
	s_add_co_i32 s5, s5, s4
	s_cmp_eq_u32 s6, 0
	s_cselect_b32 s4, ttmp9, s5
	s_delay_alu instid0(VALU_DEP_1) | instid1(SALU_CYCLE_1)
	v_lshl_or_b32 v10, s4, 5, v1
	s_wait_kmcnt 0x0
	s_delay_alu instid0(VALU_DEP_1)
	v_cmp_gt_i32_e32 vcc_lo, s2, v10
	s_and_b32 exec_lo, exec_lo, vcc_lo
	s_cbranch_execz .LBB121_21
; %bb.4:
	s_load_b256 s[4:11], s[0:1], 0x18
	v_ashrrev_i32_e32 v11, 31, v10
	s_cmp_lg_u32 s3, 0
	s_wait_kmcnt 0x0
	s_delay_alu instid0(VALU_DEP_1)
	v_lshl_add_u64 v[12:13], v[10:11], 2, s[4:5]
	v_and_b32_e32 v11, 3, v0
	global_load_b64 v[12:13], v[12:13], off
	s_wait_loadcnt 0x0
	v_subrev_nc_u32_e32 v0, s12, v12
	v_subrev_nc_u32_e32 v26, s12, v13
	s_delay_alu instid0(VALU_DEP_2) | instskip(NEXT) | instid1(VALU_DEP_1)
	v_add_nc_u32_e32 v27, v0, v11
	v_cmp_lt_i32_e64 s2, v27, v26
	s_cbranch_scc0 .LBB121_10
; %bb.5:
	v_mov_b64_e32 v[0:1], 0
	v_mov_b64_e32 v[20:21], 0
	;; [unrolled: 1-line block ×8, first 2 shown]
	s_and_saveexec_b32 s3, s2
	s_cbranch_execz .LBB121_9
; %bb.6:
	v_mul_lo_u32 v28, v27, 12
	v_mov_b64_e32 v[0:1], 0
	v_mov_b64_e32 v[20:21], 0
	;; [unrolled: 1-line block ×8, first 2 shown]
	v_mov_b32_e32 v29, v27
	s_mov_b32 s4, 0
.LBB121_7:                              ; =>This Inner Loop Header: Depth=1
	global_load_b32 v46, v29, s[6:7] scale_offset
	s_clause 0x3
	global_load_b128 v[30:33], v28, s[8:9] offset:48 scale_offset
	global_load_b128 v[34:37], v28, s[8:9] offset:32 scale_offset
	global_load_b128 v[38:41], v28, s[8:9] offset:16 scale_offset
	global_load_b128 v[42:45], v28, s[8:9] scale_offset
	v_dual_add_nc_u32 v66, 4, v28 :: v_dual_add_nc_u32 v87, 8, v28
	s_wait_xcnt 0x0
	v_dual_add_nc_u32 v29, 4, v29 :: v_dual_add_nc_u32 v28, 48, v28
	s_delay_alu instid0(VALU_DEP_1) | instskip(SKIP_3) | instid1(VALU_DEP_1)
	v_cmp_ge_i32_e32 vcc_lo, v29, v26
	s_or_b32 s4, vcc_lo, s4
	s_wait_loadcnt 0x4
	v_subrev_nc_u32_e32 v46, s12, v46
	v_lshl_add_u32 v86, v46, 1, v46
	global_load_b128 v[46:49], v86, s[10:11] scale_offset
	s_clause 0x3
	global_load_b128 v[50:53], v66, s[8:9] offset:48 scale_offset
	global_load_b128 v[54:57], v66, s[8:9] offset:32 scale_offset
	;; [unrolled: 1-line block ×3, first 2 shown]
	global_load_b128 v[62:65], v66, s[8:9] scale_offset
	s_wait_xcnt 0x0
	v_dual_add_nc_u32 v66, 1, v86 :: v_dual_add_nc_u32 v86, 2, v86
	global_load_b128 v[66:69], v66, s[10:11] scale_offset
	s_clause 0x3
	global_load_b128 v[70:73], v87, s[8:9] offset:48 scale_offset
	global_load_b128 v[74:77], v87, s[8:9] offset:32 scale_offset
	;; [unrolled: 1-line block ×3, first 2 shown]
	global_load_b128 v[82:85], v87, s[8:9] scale_offset
	global_load_b128 v[86:89], v86, s[10:11] scale_offset
	s_wait_loadcnt 0xa
	v_fmac_f64_e32 v[20:21], v[42:43], v[46:47]
	v_fmac_f64_e32 v[0:1], v[44:45], v[46:47]
	v_fmac_f64_e32 v[24:25], v[38:39], v[46:47]
	v_fmac_f64_e32 v[16:17], v[40:41], v[46:47]
	v_fmac_f64_e32 v[22:23], v[34:35], v[46:47]
	v_fmac_f64_e32 v[14:15], v[36:37], v[46:47]
	v_fmac_f64_e32 v[18:19], v[30:31], v[46:47]
	v_fmac_f64_e32 v[12:13], v[32:33], v[46:47]
	v_fma_f64 v[20:21], -v[44:45], v[48:49], v[20:21]
	v_fmac_f64_e32 v[0:1], v[42:43], v[48:49]
	v_fma_f64 v[24:25], -v[40:41], v[48:49], v[24:25]
	v_fmac_f64_e32 v[16:17], v[38:39], v[48:49]
	v_fma_f64 v[22:23], -v[36:37], v[48:49], v[22:23]
	v_fmac_f64_e32 v[14:15], v[34:35], v[48:49]
	v_fma_f64 v[18:19], -v[32:33], v[48:49], v[18:19]
	v_fmac_f64_e32 v[12:13], v[30:31], v[48:49]
	s_wait_loadcnt 0x5
	v_fmac_f64_e32 v[20:21], v[62:63], v[66:67]
	v_fmac_f64_e32 v[0:1], v[64:65], v[66:67]
	v_fmac_f64_e32 v[24:25], v[58:59], v[66:67]
	v_fmac_f64_e32 v[16:17], v[60:61], v[66:67]
	v_fmac_f64_e32 v[22:23], v[54:55], v[66:67]
	v_fmac_f64_e32 v[14:15], v[56:57], v[66:67]
	v_fmac_f64_e32 v[18:19], v[50:51], v[66:67]
	v_fmac_f64_e32 v[12:13], v[52:53], v[66:67]
	v_fma_f64 v[20:21], -v[64:65], v[68:69], v[20:21]
	v_fmac_f64_e32 v[0:1], v[62:63], v[68:69]
	v_fma_f64 v[24:25], -v[60:61], v[68:69], v[24:25]
	v_fmac_f64_e32 v[16:17], v[58:59], v[68:69]
	v_fma_f64 v[22:23], -v[56:57], v[68:69], v[22:23]
	v_fmac_f64_e32 v[14:15], v[54:55], v[68:69]
	v_fma_f64 v[18:19], -v[52:53], v[68:69], v[18:19]
	v_fmac_f64_e32 v[12:13], v[50:51], v[68:69]
	;; [unrolled: 17-line block ×3, first 2 shown]
	s_and_not1_b32 exec_lo, exec_lo, s4
	s_cbranch_execnz .LBB121_7
; %bb.8:
	s_or_b32 exec_lo, exec_lo, s4
.LBB121_9:
	s_delay_alu instid0(SALU_CYCLE_1)
	s_or_b32 exec_lo, exec_lo, s3
	s_cbranch_execz .LBB121_11
	s_branch .LBB121_16
.LBB121_10:
                                        ; implicit-def: $vgpr0_vgpr1
                                        ; implicit-def: $vgpr20_vgpr21
                                        ; implicit-def: $vgpr18_vgpr19
                                        ; implicit-def: $vgpr12_vgpr13
                                        ; implicit-def: $vgpr22_vgpr23
                                        ; implicit-def: $vgpr14_vgpr15
                                        ; implicit-def: $vgpr24_vgpr25
                                        ; implicit-def: $vgpr16_vgpr17
.LBB121_11:
	v_mov_b64_e32 v[0:1], 0
	v_mov_b64_e32 v[20:21], 0
	v_mov_b64_e32 v[18:19], 0
	v_mov_b64_e32 v[12:13], 0
	v_mov_b64_e32 v[22:23], 0
	v_mov_b64_e32 v[14:15], 0
	v_mov_b64_e32 v[24:25], 0
	v_mov_b64_e32 v[16:17], 0
	s_and_saveexec_b32 s3, s2
	s_cbranch_execz .LBB121_15
; %bb.12:
	v_mad_u32 v28, v27, 12, 11
	v_mov_b64_e32 v[0:1], 0
	v_mov_b64_e32 v[20:21], 0
	;; [unrolled: 1-line block ×8, first 2 shown]
	s_mov_b32 s2, 0
.LBB121_13:                             ; =>This Inner Loop Header: Depth=1
	global_load_b32 v29, v27, s[6:7] scale_offset
	v_dual_add_nc_u32 v86, -11, v28 :: v_dual_add_nc_u32 v50, -5, v28
	v_dual_add_nc_u32 v51, -2, v28 :: v_dual_add_nc_u32 v66, -7, v28
	s_clause 0x4
	global_load_b128 v[30:33], v86, s[8:9] offset:48 scale_offset
	global_load_b128 v[34:37], v86, s[8:9] offset:16 scale_offset
	global_load_b128 v[38:41], v86, s[8:9] scale_offset
	global_load_b128 v[42:45], v50, s[8:9] scale_offset
	;; [unrolled: 1-line block ×3, first 2 shown]
	v_dual_add_nc_u32 v67, -4, v28 :: v_dual_add_nc_u32 v68, -1, v28
	s_wait_xcnt 0x5
	v_dual_add_nc_u32 v87, -6, v28 :: v_dual_add_nc_u32 v27, 4, v27
	s_delay_alu instid0(VALU_DEP_1) | instskip(SKIP_3) | instid1(VALU_DEP_1)
	v_cmp_ge_i32_e32 vcc_lo, v27, v26
	s_or_b32 s2, vcc_lo, s2
	s_wait_loadcnt 0x5
	v_subrev_nc_u32_e32 v29, s12, v29
	v_lshl_add_u32 v29, v29, 1, v29
	v_add_nc_u32_e32 v88, -3, v28
	global_load_b128 v[50:53], v29, s[10:11] scale_offset
	s_clause 0x2
	global_load_b128 v[54:57], v66, s[8:9] scale_offset
	global_load_b128 v[58:61], v67, s[8:9] scale_offset
	;; [unrolled: 1-line block ×3, first 2 shown]
	s_wait_xcnt 0x2
	v_dual_add_nc_u32 v66, 1, v29 :: v_dual_add_nc_u32 v29, 2, v29
	global_load_b128 v[66:69], v66, s[10:11] scale_offset
	s_clause 0x3
	global_load_b128 v[70:73], v28, s[8:9] scale_offset
	global_load_b128 v[74:77], v86, s[8:9] offset:32 scale_offset
	global_load_b128 v[78:81], v87, s[8:9] scale_offset
	global_load_b128 v[82:85], v88, s[8:9] scale_offset
	global_load_b128 v[86:89], v29, s[10:11] scale_offset
	v_add_nc_u32_e32 v28, 48, v28
	s_wait_loadcnt 0x9
	v_fmac_f64_e32 v[20:21], v[38:39], v[50:51]
	v_fmac_f64_e32 v[0:1], v[40:41], v[50:51]
	v_fmac_f64_e32 v[24:25], v[30:31], v[50:51]
	v_fmac_f64_e32 v[16:17], v[32:33], v[50:51]
	v_fmac_f64_e32 v[22:23], v[42:43], v[50:51]
	v_fmac_f64_e32 v[14:15], v[44:45], v[50:51]
	v_fmac_f64_e32 v[18:19], v[46:47], v[50:51]
	v_fmac_f64_e32 v[12:13], v[48:49], v[50:51]
	v_fma_f64 v[20:21], -v[40:41], v[52:53], v[20:21]
	v_fmac_f64_e32 v[0:1], v[38:39], v[52:53]
	v_fma_f64 v[24:25], -v[32:33], v[52:53], v[24:25]
	v_fmac_f64_e32 v[16:17], v[30:31], v[52:53]
	v_fma_f64 v[22:23], -v[44:45], v[52:53], v[22:23]
	v_fmac_f64_e32 v[14:15], v[42:43], v[52:53]
	v_fma_f64 v[18:19], -v[48:49], v[52:53], v[18:19]
	v_fmac_f64_e32 v[12:13], v[46:47], v[52:53]
	s_wait_loadcnt 0x5
	v_fmac_f64_e32 v[20:21], v[34:35], v[66:67]
	v_fmac_f64_e32 v[0:1], v[36:37], v[66:67]
	v_fmac_f64_e32 v[24:25], v[54:55], v[66:67]
	v_fmac_f64_e32 v[16:17], v[56:57], v[66:67]
	v_fmac_f64_e32 v[22:23], v[58:59], v[66:67]
	v_fmac_f64_e32 v[14:15], v[60:61], v[66:67]
	v_fmac_f64_e32 v[18:19], v[62:63], v[66:67]
	v_fmac_f64_e32 v[12:13], v[64:65], v[66:67]
	v_fma_f64 v[20:21], -v[36:37], v[68:69], v[20:21]
	v_fmac_f64_e32 v[0:1], v[34:35], v[68:69]
	v_fma_f64 v[24:25], -v[56:57], v[68:69], v[24:25]
	v_fmac_f64_e32 v[16:17], v[54:55], v[68:69]
	v_fma_f64 v[22:23], -v[60:61], v[68:69], v[22:23]
	v_fmac_f64_e32 v[14:15], v[58:59], v[68:69]
	v_fma_f64 v[18:19], -v[64:65], v[68:69], v[18:19]
	v_fmac_f64_e32 v[12:13], v[62:63], v[68:69]
	;; [unrolled: 17-line block ×3, first 2 shown]
	s_and_not1_b32 exec_lo, exec_lo, s2
	s_cbranch_execnz .LBB121_13
; %bb.14:
	s_or_b32 exec_lo, exec_lo, s2
.LBB121_15:
	s_delay_alu instid0(SALU_CYCLE_1)
	s_or_b32 exec_lo, exec_lo, s3
.LBB121_16:
	v_mbcnt_lo_u32_b32 v46, -1, 0
	s_delay_alu instid0(VALU_DEP_1) | instskip(NEXT) | instid1(VALU_DEP_1)
	v_xor_b32_e32 v26, 2, v46
	v_cmp_gt_i32_e32 vcc_lo, 32, v26
	v_cndmask_b32_e32 v26, v46, v26, vcc_lo
	s_delay_alu instid0(VALU_DEP_1)
	v_lshlrev_b32_e32 v32, 2, v26
	ds_bpermute_b32 v26, v32, v20
	ds_bpermute_b32 v27, v32, v21
	;; [unrolled: 1-line block ×4, first 2 shown]
	s_wait_dscnt 0x2
	v_add_f64_e32 v[34:35], v[20:21], v[26:27]
	s_wait_dscnt 0x0
	v_add_f64_e32 v[20:21], v[14:15], v[40:41]
	ds_bpermute_b32 v28, v32, v0
	ds_bpermute_b32 v29, v32, v1
	;; [unrolled: 1-line block ×12, first 2 shown]
	s_wait_dscnt 0xa
	v_dual_add_f64 v[32:33], v[0:1], v[28:29] :: v_dual_bitop2_b32 v0, 1, v46 bitop3:0x14
	s_wait_dscnt 0x8
	v_add_f64_e32 v[28:29], v[16:17], v[36:37]
	s_wait_dscnt 0x6
	v_add_f64_e32 v[16:17], v[18:19], v[42:43]
	;; [unrolled: 2-line block ×3, first 2 shown]
	v_cmp_gt_i32_e32 vcc_lo, 32, v0
	s_wait_dscnt 0x0
	v_add_f64_e32 v[26:27], v[22:23], v[38:39]
	v_dual_add_f64 v[30:31], v[24:25], v[30:31] :: v_dual_cndmask_b32 v0, v46, v0, vcc_lo
	v_cmp_eq_u32_e32 vcc_lo, 3, v11
	s_delay_alu instid0(VALU_DEP_2)
	v_lshlrev_b32_e32 v39, 2, v0
	ds_bpermute_b32 v0, v39, v34
	ds_bpermute_b32 v1, v39, v35
	;; [unrolled: 1-line block ×16, first 2 shown]
	s_and_b32 exec_lo, exec_lo, vcc_lo
	s_cbranch_execz .LBB121_21
; %bb.17:
	v_cmp_eq_f64_e32 vcc_lo, 0, v[6:7]
	v_cmp_eq_f64_e64 s2, 0, v[8:9]
	s_wait_dscnt 0xe
	v_add_f64_e32 v[0:1], v[34:35], v[0:1]
	s_wait_dscnt 0xa
	v_add_f64_e32 v[24:25], v[32:33], v[24:25]
	;; [unrolled: 2-line block ×3, first 2 shown]
	v_add_f64_e32 v[22:23], v[28:29], v[22:23]
	v_add_f64_e32 v[14:15], v[26:27], v[14:15]
	;; [unrolled: 1-line block ×4, first 2 shown]
	s_wait_dscnt 0x0
	v_add_f64_e32 v[18:19], v[18:19], v[38:39]
	s_load_b64 s[0:1], s[0:1], 0x48
	s_and_b32 s2, vcc_lo, s2
	s_delay_alu instid0(SALU_CYCLE_1) | instskip(NEXT) | instid1(SALU_CYCLE_1)
	s_and_saveexec_b32 s3, s2
	s_xor_b32 s2, exec_lo, s3
	s_cbranch_execz .LBB121_19
; %bb.18:
	v_mul_f64_e64 v[6:7], v[24:25], -v[4:5]
	v_mul_f64_e32 v[8:9], v[2:3], v[24:25]
	v_mul_f64_e64 v[24:25], v[22:23], -v[4:5]
	v_mul_f64_e32 v[26:27], v[2:3], v[22:23]
	;; [unrolled: 2-line block ×4, first 2 shown]
                                        ; implicit-def: $vgpr18_vgpr19
	v_fmac_f64_e32 v[6:7], v[2:3], v[0:1]
	v_fmac_f64_e32 v[8:9], v[4:5], v[0:1]
	;; [unrolled: 1-line block ×8, first 2 shown]
	v_lshlrev_b32_e32 v0, 2, v10
                                        ; implicit-def: $vgpr10
                                        ; implicit-def: $vgpr12_vgpr13
                                        ; implicit-def: $vgpr14_vgpr15
                                        ; implicit-def: $vgpr16_vgpr17
                                        ; implicit-def: $vgpr4_vgpr5
	s_wait_kmcnt 0x0
	s_clause 0x3
	global_store_b128 v0, v[6:9], s[0:1] scale_offset
	global_store_b128 v0, v[24:27], s[0:1] offset:16 scale_offset
	global_store_b128 v0, v[28:31], s[0:1] offset:32 scale_offset
	;; [unrolled: 1-line block ×3, first 2 shown]
                                        ; implicit-def: $vgpr0_vgpr1
                                        ; implicit-def: $vgpr24_vgpr25
                                        ; implicit-def: $vgpr22_vgpr23
                                        ; implicit-def: $vgpr20_vgpr21
                                        ; implicit-def: $vgpr8_vgpr9
.LBB121_19:
	s_wait_xcnt 0x0
	s_and_not1_saveexec_b32 s2, s2
	s_cbranch_execz .LBB121_21
; %bb.20:
	v_dual_mul_f64 v[42:43], v[24:25], -v[4:5] :: v_dual_lshlrev_b32 v52, 2, v10
	v_mul_f64_e32 v[24:25], v[2:3], v[24:25]
	v_mul_f64_e64 v[46:47], v[22:23], -v[4:5]
	v_mul_f64_e32 v[44:45], v[2:3], v[22:23]
	s_wait_kmcnt 0x0
	s_clause 0x3
	global_load_b128 v[26:29], v52, s[0:1] scale_offset
	global_load_b128 v[30:33], v52, s[0:1] offset:16 scale_offset
	global_load_b128 v[34:37], v52, s[0:1] offset:32 scale_offset
	;; [unrolled: 1-line block ×3, first 2 shown]
	v_mul_f64_e64 v[48:49], v[20:21], -v[4:5]
	v_mul_f64_e32 v[20:21], v[2:3], v[20:21]
	v_mul_f64_e64 v[50:51], v[18:19], -v[4:5]
	v_mul_f64_e32 v[10:11], v[2:3], v[18:19]
	v_fmac_f64_e32 v[42:43], v[2:3], v[0:1]
	v_fmac_f64_e32 v[24:25], v[4:5], v[0:1]
	;; [unrolled: 1-line block ×8, first 2 shown]
	s_wait_loadcnt 0x3
	v_fmac_f64_e32 v[42:43], v[6:7], v[26:27]
	v_fmac_f64_e32 v[24:25], v[8:9], v[26:27]
	s_wait_loadcnt 0x2
	v_fmac_f64_e32 v[46:47], v[6:7], v[30:31]
	v_fmac_f64_e32 v[44:45], v[8:9], v[30:31]
	;; [unrolled: 3-line block ×4, first 2 shown]
	v_fma_f64 v[22:23], -v[8:9], v[28:29], v[42:43]
	v_fmac_f64_e32 v[24:25], v[6:7], v[28:29]
	v_fma_f64 v[42:43], -v[8:9], v[32:33], v[46:47]
	v_fmac_f64_e32 v[44:45], v[6:7], v[32:33]
	;; [unrolled: 2-line block ×4, first 2 shown]
	s_clause 0x3
	global_store_b128 v52, v[22:25], s[0:1] scale_offset
	global_store_b128 v52, v[42:45], s[0:1] offset:16 scale_offset
	global_store_b128 v52, v[18:21], s[0:1] offset:32 scale_offset
	;; [unrolled: 1-line block ×3, first 2 shown]
.LBB121_21:
	s_sendmsg sendmsg(MSG_DEALLOC_VGPRS)
	s_endpgm
	.section	.rodata,"a",@progbits
	.p2align	6, 0x0
	.amdhsa_kernel _ZN9rocsparseL19gebsrmvn_4xn_kernelILj128ELj3ELj4E21rocsparse_complex_numIdEEEvi20rocsparse_direction_NS_24const_host_device_scalarIT2_EEPKiS8_PKS5_SA_S6_PS5_21rocsparse_index_base_b
		.amdhsa_group_segment_fixed_size 0
		.amdhsa_private_segment_fixed_size 0
		.amdhsa_kernarg_size 88
		.amdhsa_user_sgpr_count 2
		.amdhsa_user_sgpr_dispatch_ptr 0
		.amdhsa_user_sgpr_queue_ptr 0
		.amdhsa_user_sgpr_kernarg_segment_ptr 1
		.amdhsa_user_sgpr_dispatch_id 0
		.amdhsa_user_sgpr_kernarg_preload_length 0
		.amdhsa_user_sgpr_kernarg_preload_offset 0
		.amdhsa_user_sgpr_private_segment_size 0
		.amdhsa_wavefront_size32 1
		.amdhsa_uses_dynamic_stack 0
		.amdhsa_enable_private_segment 0
		.amdhsa_system_sgpr_workgroup_id_x 1
		.amdhsa_system_sgpr_workgroup_id_y 0
		.amdhsa_system_sgpr_workgroup_id_z 0
		.amdhsa_system_sgpr_workgroup_info 0
		.amdhsa_system_vgpr_workitem_id 0
		.amdhsa_next_free_vgpr 90
		.amdhsa_next_free_sgpr 14
		.amdhsa_named_barrier_count 0
		.amdhsa_reserve_vcc 1
		.amdhsa_float_round_mode_32 0
		.amdhsa_float_round_mode_16_64 0
		.amdhsa_float_denorm_mode_32 3
		.amdhsa_float_denorm_mode_16_64 3
		.amdhsa_fp16_overflow 0
		.amdhsa_memory_ordered 1
		.amdhsa_forward_progress 1
		.amdhsa_inst_pref_size 21
		.amdhsa_round_robin_scheduling 0
		.amdhsa_exception_fp_ieee_invalid_op 0
		.amdhsa_exception_fp_denorm_src 0
		.amdhsa_exception_fp_ieee_div_zero 0
		.amdhsa_exception_fp_ieee_overflow 0
		.amdhsa_exception_fp_ieee_underflow 0
		.amdhsa_exception_fp_ieee_inexact 0
		.amdhsa_exception_int_div_zero 0
	.end_amdhsa_kernel
	.section	.text._ZN9rocsparseL19gebsrmvn_4xn_kernelILj128ELj3ELj4E21rocsparse_complex_numIdEEEvi20rocsparse_direction_NS_24const_host_device_scalarIT2_EEPKiS8_PKS5_SA_S6_PS5_21rocsparse_index_base_b,"axG",@progbits,_ZN9rocsparseL19gebsrmvn_4xn_kernelILj128ELj3ELj4E21rocsparse_complex_numIdEEEvi20rocsparse_direction_NS_24const_host_device_scalarIT2_EEPKiS8_PKS5_SA_S6_PS5_21rocsparse_index_base_b,comdat
.Lfunc_end121:
	.size	_ZN9rocsparseL19gebsrmvn_4xn_kernelILj128ELj3ELj4E21rocsparse_complex_numIdEEEvi20rocsparse_direction_NS_24const_host_device_scalarIT2_EEPKiS8_PKS5_SA_S6_PS5_21rocsparse_index_base_b, .Lfunc_end121-_ZN9rocsparseL19gebsrmvn_4xn_kernelILj128ELj3ELj4E21rocsparse_complex_numIdEEEvi20rocsparse_direction_NS_24const_host_device_scalarIT2_EEPKiS8_PKS5_SA_S6_PS5_21rocsparse_index_base_b
                                        ; -- End function
	.set _ZN9rocsparseL19gebsrmvn_4xn_kernelILj128ELj3ELj4E21rocsparse_complex_numIdEEEvi20rocsparse_direction_NS_24const_host_device_scalarIT2_EEPKiS8_PKS5_SA_S6_PS5_21rocsparse_index_base_b.num_vgpr, 90
	.set _ZN9rocsparseL19gebsrmvn_4xn_kernelILj128ELj3ELj4E21rocsparse_complex_numIdEEEvi20rocsparse_direction_NS_24const_host_device_scalarIT2_EEPKiS8_PKS5_SA_S6_PS5_21rocsparse_index_base_b.num_agpr, 0
	.set _ZN9rocsparseL19gebsrmvn_4xn_kernelILj128ELj3ELj4E21rocsparse_complex_numIdEEEvi20rocsparse_direction_NS_24const_host_device_scalarIT2_EEPKiS8_PKS5_SA_S6_PS5_21rocsparse_index_base_b.numbered_sgpr, 14
	.set _ZN9rocsparseL19gebsrmvn_4xn_kernelILj128ELj3ELj4E21rocsparse_complex_numIdEEEvi20rocsparse_direction_NS_24const_host_device_scalarIT2_EEPKiS8_PKS5_SA_S6_PS5_21rocsparse_index_base_b.num_named_barrier, 0
	.set _ZN9rocsparseL19gebsrmvn_4xn_kernelILj128ELj3ELj4E21rocsparse_complex_numIdEEEvi20rocsparse_direction_NS_24const_host_device_scalarIT2_EEPKiS8_PKS5_SA_S6_PS5_21rocsparse_index_base_b.private_seg_size, 0
	.set _ZN9rocsparseL19gebsrmvn_4xn_kernelILj128ELj3ELj4E21rocsparse_complex_numIdEEEvi20rocsparse_direction_NS_24const_host_device_scalarIT2_EEPKiS8_PKS5_SA_S6_PS5_21rocsparse_index_base_b.uses_vcc, 1
	.set _ZN9rocsparseL19gebsrmvn_4xn_kernelILj128ELj3ELj4E21rocsparse_complex_numIdEEEvi20rocsparse_direction_NS_24const_host_device_scalarIT2_EEPKiS8_PKS5_SA_S6_PS5_21rocsparse_index_base_b.uses_flat_scratch, 0
	.set _ZN9rocsparseL19gebsrmvn_4xn_kernelILj128ELj3ELj4E21rocsparse_complex_numIdEEEvi20rocsparse_direction_NS_24const_host_device_scalarIT2_EEPKiS8_PKS5_SA_S6_PS5_21rocsparse_index_base_b.has_dyn_sized_stack, 0
	.set _ZN9rocsparseL19gebsrmvn_4xn_kernelILj128ELj3ELj4E21rocsparse_complex_numIdEEEvi20rocsparse_direction_NS_24const_host_device_scalarIT2_EEPKiS8_PKS5_SA_S6_PS5_21rocsparse_index_base_b.has_recursion, 0
	.set _ZN9rocsparseL19gebsrmvn_4xn_kernelILj128ELj3ELj4E21rocsparse_complex_numIdEEEvi20rocsparse_direction_NS_24const_host_device_scalarIT2_EEPKiS8_PKS5_SA_S6_PS5_21rocsparse_index_base_b.has_indirect_call, 0
	.section	.AMDGPU.csdata,"",@progbits
; Kernel info:
; codeLenInByte = 2564
; TotalNumSgprs: 16
; NumVgprs: 90
; ScratchSize: 0
; MemoryBound: 0
; FloatMode: 240
; IeeeMode: 1
; LDSByteSize: 0 bytes/workgroup (compile time only)
; SGPRBlocks: 0
; VGPRBlocks: 5
; NumSGPRsForWavesPerEU: 16
; NumVGPRsForWavesPerEU: 90
; NamedBarCnt: 0
; Occupancy: 10
; WaveLimiterHint : 1
; COMPUTE_PGM_RSRC2:SCRATCH_EN: 0
; COMPUTE_PGM_RSRC2:USER_SGPR: 2
; COMPUTE_PGM_RSRC2:TRAP_HANDLER: 0
; COMPUTE_PGM_RSRC2:TGID_X_EN: 1
; COMPUTE_PGM_RSRC2:TGID_Y_EN: 0
; COMPUTE_PGM_RSRC2:TGID_Z_EN: 0
; COMPUTE_PGM_RSRC2:TIDIG_COMP_CNT: 0
	.section	.text._ZN9rocsparseL19gebsrmvn_4xn_kernelILj128ELj3ELj8E21rocsparse_complex_numIdEEEvi20rocsparse_direction_NS_24const_host_device_scalarIT2_EEPKiS8_PKS5_SA_S6_PS5_21rocsparse_index_base_b,"axG",@progbits,_ZN9rocsparseL19gebsrmvn_4xn_kernelILj128ELj3ELj8E21rocsparse_complex_numIdEEEvi20rocsparse_direction_NS_24const_host_device_scalarIT2_EEPKiS8_PKS5_SA_S6_PS5_21rocsparse_index_base_b,comdat
	.globl	_ZN9rocsparseL19gebsrmvn_4xn_kernelILj128ELj3ELj8E21rocsparse_complex_numIdEEEvi20rocsparse_direction_NS_24const_host_device_scalarIT2_EEPKiS8_PKS5_SA_S6_PS5_21rocsparse_index_base_b ; -- Begin function _ZN9rocsparseL19gebsrmvn_4xn_kernelILj128ELj3ELj8E21rocsparse_complex_numIdEEEvi20rocsparse_direction_NS_24const_host_device_scalarIT2_EEPKiS8_PKS5_SA_S6_PS5_21rocsparse_index_base_b
	.p2align	8
	.type	_ZN9rocsparseL19gebsrmvn_4xn_kernelILj128ELj3ELj8E21rocsparse_complex_numIdEEEvi20rocsparse_direction_NS_24const_host_device_scalarIT2_EEPKiS8_PKS5_SA_S6_PS5_21rocsparse_index_base_b,@function
_ZN9rocsparseL19gebsrmvn_4xn_kernelILj128ELj3ELj8E21rocsparse_complex_numIdEEEvi20rocsparse_direction_NS_24const_host_device_scalarIT2_EEPKiS8_PKS5_SA_S6_PS5_21rocsparse_index_base_b: ; @_ZN9rocsparseL19gebsrmvn_4xn_kernelILj128ELj3ELj8E21rocsparse_complex_numIdEEEvi20rocsparse_direction_NS_24const_host_device_scalarIT2_EEPKiS8_PKS5_SA_S6_PS5_21rocsparse_index_base_b
; %bb.0:
	s_clause 0x1
	s_load_b64 s[12:13], s[0:1], 0x50
	s_load_b64 s[2:3], s[0:1], 0x8
	v_mov_b32_e32 v1, 0
	s_add_nc_u64 s[4:5], s[0:1], 8
	s_load_b64 s[6:7], s[0:1], 0x38
	s_wait_kmcnt 0x0
	s_bitcmp1_b32 s13, 0
	s_cselect_b32 s3, s5, s3
	s_cselect_b32 s2, s4, s2
	flat_load_b128 v[2:5], v1, s[2:3]
	s_wait_xcnt 0x0
	s_add_nc_u64 s[2:3], s[0:1], 56
	s_delay_alu instid0(SALU_CYCLE_1)
	s_cselect_b32 s3, s3, s7
	s_cselect_b32 s2, s2, s6
	flat_load_b128 v[6:9], v1, s[2:3]
	s_wait_loadcnt_dscnt 0x101
	v_cmp_eq_f64_e32 vcc_lo, 0, v[2:3]
	s_wait_xcnt 0x0
	v_cmp_eq_f64_e64 s2, 0, v[4:5]
	s_and_b32 s4, vcc_lo, s2
	s_mov_b32 s2, -1
	s_and_saveexec_b32 s3, s4
	s_cbranch_execz .LBB122_2
; %bb.1:
	s_wait_loadcnt_dscnt 0x0
	v_cmp_neq_f64_e32 vcc_lo, 1.0, v[6:7]
	v_cmp_neq_f64_e64 s2, 0, v[8:9]
	s_or_b32 s2, vcc_lo, s2
	s_delay_alu instid0(SALU_CYCLE_1)
	s_or_not1_b32 s2, s2, exec_lo
.LBB122_2:
	s_or_b32 exec_lo, exec_lo, s3
	s_and_saveexec_b32 s3, s2
	s_cbranch_execz .LBB122_21
; %bb.3:
	s_load_b64 s[2:3], s[0:1], 0x0
	s_bfe_u32 s4, ttmp6, 0x4000c
	s_and_b32 s5, ttmp6, 15
	s_add_co_i32 s4, s4, 1
	s_getreg_b32 s6, hwreg(HW_REG_IB_STS2, 6, 4)
	s_mul_i32 s4, ttmp9, s4
	v_lshrrev_b32_e32 v1, 3, v0
	s_add_co_i32 s5, s5, s4
	s_cmp_eq_u32 s6, 0
	s_cselect_b32 s4, ttmp9, s5
	s_delay_alu instid0(VALU_DEP_1) | instid1(SALU_CYCLE_1)
	v_lshl_or_b32 v10, s4, 4, v1
	s_wait_kmcnt 0x0
	s_delay_alu instid0(VALU_DEP_1)
	v_cmp_gt_i32_e32 vcc_lo, s2, v10
	s_and_b32 exec_lo, exec_lo, vcc_lo
	s_cbranch_execz .LBB122_21
; %bb.4:
	s_load_b256 s[4:11], s[0:1], 0x18
	v_ashrrev_i32_e32 v11, 31, v10
	s_cmp_lg_u32 s3, 0
	s_wait_kmcnt 0x0
	s_delay_alu instid0(VALU_DEP_1)
	v_lshl_add_u64 v[12:13], v[10:11], 2, s[4:5]
	v_and_b32_e32 v11, 7, v0
	global_load_b64 v[12:13], v[12:13], off
	s_wait_loadcnt 0x0
	v_subrev_nc_u32_e32 v0, s12, v12
	v_subrev_nc_u32_e32 v26, s12, v13
	s_delay_alu instid0(VALU_DEP_2) | instskip(NEXT) | instid1(VALU_DEP_1)
	v_add_nc_u32_e32 v27, v0, v11
	v_cmp_lt_i32_e64 s2, v27, v26
	s_cbranch_scc0 .LBB122_10
; %bb.5:
	v_mov_b64_e32 v[0:1], 0
	v_mov_b64_e32 v[20:21], 0
	;; [unrolled: 1-line block ×8, first 2 shown]
	s_and_saveexec_b32 s3, s2
	s_cbranch_execz .LBB122_9
; %bb.6:
	v_mul_lo_u32 v28, v27, 12
	v_mov_b64_e32 v[0:1], 0
	v_mov_b64_e32 v[20:21], 0
	;; [unrolled: 1-line block ×8, first 2 shown]
	v_mov_b32_e32 v29, v27
	s_mov_b32 s4, 0
.LBB122_7:                              ; =>This Inner Loop Header: Depth=1
	global_load_b32 v46, v29, s[6:7] scale_offset
	s_clause 0x3
	global_load_b128 v[30:33], v28, s[8:9] offset:48 scale_offset
	global_load_b128 v[34:37], v28, s[8:9] offset:32 scale_offset
	;; [unrolled: 1-line block ×3, first 2 shown]
	global_load_b128 v[42:45], v28, s[8:9] scale_offset
	v_dual_add_nc_u32 v66, 4, v28 :: v_dual_add_nc_u32 v87, 8, v28
	s_wait_xcnt 0x4
	v_add_nc_u32_e32 v29, 8, v29
	s_wait_xcnt 0x0
	v_add_nc_u32_e32 v28, 0x60, v28
	s_delay_alu instid0(VALU_DEP_2) | instskip(SKIP_3) | instid1(VALU_DEP_1)
	v_cmp_ge_i32_e32 vcc_lo, v29, v26
	s_or_b32 s4, vcc_lo, s4
	s_wait_loadcnt 0x4
	v_subrev_nc_u32_e32 v46, s12, v46
	v_lshl_add_u32 v86, v46, 1, v46
	global_load_b128 v[46:49], v86, s[10:11] scale_offset
	s_clause 0x3
	global_load_b128 v[50:53], v66, s[8:9] offset:48 scale_offset
	global_load_b128 v[54:57], v66, s[8:9] offset:32 scale_offset
	;; [unrolled: 1-line block ×3, first 2 shown]
	global_load_b128 v[62:65], v66, s[8:9] scale_offset
	s_wait_xcnt 0x0
	v_dual_add_nc_u32 v66, 1, v86 :: v_dual_add_nc_u32 v86, 2, v86
	global_load_b128 v[66:69], v66, s[10:11] scale_offset
	s_clause 0x3
	global_load_b128 v[70:73], v87, s[8:9] offset:48 scale_offset
	global_load_b128 v[74:77], v87, s[8:9] offset:32 scale_offset
	;; [unrolled: 1-line block ×3, first 2 shown]
	global_load_b128 v[82:85], v87, s[8:9] scale_offset
	global_load_b128 v[86:89], v86, s[10:11] scale_offset
	s_wait_loadcnt 0xa
	v_fmac_f64_e32 v[20:21], v[42:43], v[46:47]
	v_fmac_f64_e32 v[0:1], v[44:45], v[46:47]
	v_fmac_f64_e32 v[24:25], v[38:39], v[46:47]
	v_fmac_f64_e32 v[16:17], v[40:41], v[46:47]
	v_fmac_f64_e32 v[22:23], v[34:35], v[46:47]
	v_fmac_f64_e32 v[14:15], v[36:37], v[46:47]
	v_fmac_f64_e32 v[18:19], v[30:31], v[46:47]
	v_fmac_f64_e32 v[12:13], v[32:33], v[46:47]
	v_fma_f64 v[20:21], -v[44:45], v[48:49], v[20:21]
	v_fmac_f64_e32 v[0:1], v[42:43], v[48:49]
	v_fma_f64 v[24:25], -v[40:41], v[48:49], v[24:25]
	v_fmac_f64_e32 v[16:17], v[38:39], v[48:49]
	v_fma_f64 v[22:23], -v[36:37], v[48:49], v[22:23]
	v_fmac_f64_e32 v[14:15], v[34:35], v[48:49]
	v_fma_f64 v[18:19], -v[32:33], v[48:49], v[18:19]
	v_fmac_f64_e32 v[12:13], v[30:31], v[48:49]
	s_wait_loadcnt 0x5
	v_fmac_f64_e32 v[20:21], v[62:63], v[66:67]
	v_fmac_f64_e32 v[0:1], v[64:65], v[66:67]
	v_fmac_f64_e32 v[24:25], v[58:59], v[66:67]
	v_fmac_f64_e32 v[16:17], v[60:61], v[66:67]
	v_fmac_f64_e32 v[22:23], v[54:55], v[66:67]
	v_fmac_f64_e32 v[14:15], v[56:57], v[66:67]
	v_fmac_f64_e32 v[18:19], v[50:51], v[66:67]
	v_fmac_f64_e32 v[12:13], v[52:53], v[66:67]
	v_fma_f64 v[20:21], -v[64:65], v[68:69], v[20:21]
	v_fmac_f64_e32 v[0:1], v[62:63], v[68:69]
	v_fma_f64 v[24:25], -v[60:61], v[68:69], v[24:25]
	v_fmac_f64_e32 v[16:17], v[58:59], v[68:69]
	v_fma_f64 v[22:23], -v[56:57], v[68:69], v[22:23]
	v_fmac_f64_e32 v[14:15], v[54:55], v[68:69]
	v_fma_f64 v[18:19], -v[52:53], v[68:69], v[18:19]
	v_fmac_f64_e32 v[12:13], v[50:51], v[68:69]
	;; [unrolled: 17-line block ×3, first 2 shown]
	s_and_not1_b32 exec_lo, exec_lo, s4
	s_cbranch_execnz .LBB122_7
; %bb.8:
	s_or_b32 exec_lo, exec_lo, s4
.LBB122_9:
	s_delay_alu instid0(SALU_CYCLE_1)
	s_or_b32 exec_lo, exec_lo, s3
	s_cbranch_execz .LBB122_11
	s_branch .LBB122_16
.LBB122_10:
                                        ; implicit-def: $vgpr0_vgpr1
                                        ; implicit-def: $vgpr20_vgpr21
                                        ; implicit-def: $vgpr18_vgpr19
                                        ; implicit-def: $vgpr12_vgpr13
                                        ; implicit-def: $vgpr22_vgpr23
                                        ; implicit-def: $vgpr14_vgpr15
                                        ; implicit-def: $vgpr24_vgpr25
                                        ; implicit-def: $vgpr16_vgpr17
.LBB122_11:
	v_mov_b64_e32 v[0:1], 0
	v_mov_b64_e32 v[20:21], 0
	;; [unrolled: 1-line block ×8, first 2 shown]
	s_and_saveexec_b32 s3, s2
	s_cbranch_execz .LBB122_15
; %bb.12:
	v_mad_u32 v28, v27, 12, 11
	v_mov_b64_e32 v[0:1], 0
	v_mov_b64_e32 v[20:21], 0
	;; [unrolled: 1-line block ×8, first 2 shown]
	s_mov_b32 s2, 0
.LBB122_13:                             ; =>This Inner Loop Header: Depth=1
	global_load_b32 v29, v27, s[6:7] scale_offset
	v_dual_add_nc_u32 v86, -11, v28 :: v_dual_add_nc_u32 v50, -5, v28
	v_dual_add_nc_u32 v51, -2, v28 :: v_dual_add_nc_u32 v66, -7, v28
	s_clause 0x4
	global_load_b128 v[30:33], v86, s[8:9] offset:48 scale_offset
	global_load_b128 v[34:37], v86, s[8:9] offset:16 scale_offset
	global_load_b128 v[38:41], v86, s[8:9] scale_offset
	global_load_b128 v[42:45], v50, s[8:9] scale_offset
	;; [unrolled: 1-line block ×3, first 2 shown]
	v_dual_add_nc_u32 v67, -4, v28 :: v_dual_add_nc_u32 v68, -1, v28
	s_wait_xcnt 0x5
	v_dual_add_nc_u32 v87, -6, v28 :: v_dual_add_nc_u32 v27, 8, v27
	s_delay_alu instid0(VALU_DEP_1) | instskip(SKIP_3) | instid1(VALU_DEP_1)
	v_cmp_ge_i32_e32 vcc_lo, v27, v26
	s_or_b32 s2, vcc_lo, s2
	s_wait_loadcnt 0x5
	v_subrev_nc_u32_e32 v29, s12, v29
	v_lshl_add_u32 v29, v29, 1, v29
	v_add_nc_u32_e32 v88, -3, v28
	global_load_b128 v[50:53], v29, s[10:11] scale_offset
	s_clause 0x2
	global_load_b128 v[54:57], v66, s[8:9] scale_offset
	global_load_b128 v[58:61], v67, s[8:9] scale_offset
	;; [unrolled: 1-line block ×3, first 2 shown]
	s_wait_xcnt 0x2
	v_dual_add_nc_u32 v66, 1, v29 :: v_dual_add_nc_u32 v29, 2, v29
	global_load_b128 v[66:69], v66, s[10:11] scale_offset
	s_clause 0x3
	global_load_b128 v[70:73], v28, s[8:9] scale_offset
	global_load_b128 v[74:77], v86, s[8:9] offset:32 scale_offset
	global_load_b128 v[78:81], v87, s[8:9] scale_offset
	global_load_b128 v[82:85], v88, s[8:9] scale_offset
	global_load_b128 v[86:89], v29, s[10:11] scale_offset
	v_add_nc_u32_e32 v28, 0x60, v28
	s_wait_loadcnt 0x9
	v_fmac_f64_e32 v[20:21], v[38:39], v[50:51]
	v_fmac_f64_e32 v[0:1], v[40:41], v[50:51]
	v_fmac_f64_e32 v[24:25], v[30:31], v[50:51]
	v_fmac_f64_e32 v[16:17], v[32:33], v[50:51]
	v_fmac_f64_e32 v[22:23], v[42:43], v[50:51]
	v_fmac_f64_e32 v[14:15], v[44:45], v[50:51]
	v_fmac_f64_e32 v[18:19], v[46:47], v[50:51]
	v_fmac_f64_e32 v[12:13], v[48:49], v[50:51]
	v_fma_f64 v[20:21], -v[40:41], v[52:53], v[20:21]
	v_fmac_f64_e32 v[0:1], v[38:39], v[52:53]
	v_fma_f64 v[24:25], -v[32:33], v[52:53], v[24:25]
	v_fmac_f64_e32 v[16:17], v[30:31], v[52:53]
	v_fma_f64 v[22:23], -v[44:45], v[52:53], v[22:23]
	v_fmac_f64_e32 v[14:15], v[42:43], v[52:53]
	v_fma_f64 v[18:19], -v[48:49], v[52:53], v[18:19]
	v_fmac_f64_e32 v[12:13], v[46:47], v[52:53]
	s_wait_loadcnt 0x5
	v_fmac_f64_e32 v[20:21], v[34:35], v[66:67]
	v_fmac_f64_e32 v[0:1], v[36:37], v[66:67]
	v_fmac_f64_e32 v[24:25], v[54:55], v[66:67]
	v_fmac_f64_e32 v[16:17], v[56:57], v[66:67]
	v_fmac_f64_e32 v[22:23], v[58:59], v[66:67]
	v_fmac_f64_e32 v[14:15], v[60:61], v[66:67]
	v_fmac_f64_e32 v[18:19], v[62:63], v[66:67]
	v_fmac_f64_e32 v[12:13], v[64:65], v[66:67]
	v_fma_f64 v[20:21], -v[36:37], v[68:69], v[20:21]
	v_fmac_f64_e32 v[0:1], v[34:35], v[68:69]
	v_fma_f64 v[24:25], -v[56:57], v[68:69], v[24:25]
	v_fmac_f64_e32 v[16:17], v[54:55], v[68:69]
	v_fma_f64 v[22:23], -v[60:61], v[68:69], v[22:23]
	v_fmac_f64_e32 v[14:15], v[58:59], v[68:69]
	v_fma_f64 v[18:19], -v[64:65], v[68:69], v[18:19]
	v_fmac_f64_e32 v[12:13], v[62:63], v[68:69]
	;; [unrolled: 17-line block ×3, first 2 shown]
	s_and_not1_b32 exec_lo, exec_lo, s2
	s_cbranch_execnz .LBB122_13
; %bb.14:
	s_or_b32 exec_lo, exec_lo, s2
.LBB122_15:
	s_delay_alu instid0(SALU_CYCLE_1)
	s_or_b32 exec_lo, exec_lo, s3
.LBB122_16:
	v_mbcnt_lo_u32_b32 v44, -1, 0
	s_delay_alu instid0(VALU_DEP_1) | instskip(NEXT) | instid1(VALU_DEP_1)
	v_xor_b32_e32 v26, 4, v44
	v_cmp_gt_i32_e32 vcc_lo, 32, v26
	v_cndmask_b32_e32 v26, v44, v26, vcc_lo
	s_delay_alu instid0(VALU_DEP_1)
	v_lshlrev_b32_e32 v41, 2, v26
	ds_bpermute_b32 v26, v41, v20
	ds_bpermute_b32 v27, v41, v21
	;; [unrolled: 1-line block ×4, first 2 shown]
	s_wait_dscnt 0x2
	v_add_f64_e32 v[20:21], v[20:21], v[26:27]
	s_wait_dscnt 0x0
	v_add_f64_e32 v[26:27], v[0:1], v[28:29]
	ds_bpermute_b32 v30, v41, v24
	ds_bpermute_b32 v31, v41, v25
	ds_bpermute_b32 v32, v41, v16
	ds_bpermute_b32 v33, v41, v17
	ds_bpermute_b32 v34, v41, v22
	ds_bpermute_b32 v35, v41, v23
	ds_bpermute_b32 v36, v41, v14
	ds_bpermute_b32 v37, v41, v15
	ds_bpermute_b32 v38, v41, v18
	ds_bpermute_b32 v39, v41, v19
	ds_bpermute_b32 v40, v41, v12
	ds_bpermute_b32 v41, v41, v13
	v_xor_b32_e32 v0, 2, v44
	s_delay_alu instid0(VALU_DEP_1)
	v_cmp_gt_i32_e32 vcc_lo, 32, v0
	s_wait_dscnt 0xa
	v_add_f64_e32 v[28:29], v[24:25], v[30:31]
	v_cndmask_b32_e32 v0, v44, v0, vcc_lo
	s_wait_dscnt 0x8
	v_add_f64_e32 v[16:17], v[16:17], v[32:33]
	s_wait_dscnt 0x6
	v_add_f64_e32 v[30:31], v[22:23], v[34:35]
	;; [unrolled: 2-line block ×3, first 2 shown]
	s_wait_dscnt 0x2
	v_dual_add_f64 v[18:19], v[18:19], v[38:39] :: v_dual_lshlrev_b32 v24, 2, v0
	s_wait_dscnt 0x0
	v_add_f64_e32 v[34:35], v[12:13], v[40:41]
	ds_bpermute_b32 v12, v24, v26
	ds_bpermute_b32 v13, v24, v27
	;; [unrolled: 1-line block ×16, first 2 shown]
	s_wait_dscnt 0xe
	v_add_f64_e32 v[24:25], v[26:27], v[12:13]
	s_wait_dscnt 0xc
	v_add_f64_e32 v[0:1], v[20:21], v[0:1]
	v_xor_b32_e32 v26, 1, v44
	s_delay_alu instid0(VALU_DEP_1)
	v_cmp_gt_i32_e32 vcc_lo, 32, v26
	s_wait_dscnt 0xa
	v_add_f64_e32 v[12:13], v[28:29], v[14:15]
	s_wait_dscnt 0x6
	v_dual_add_f64 v[14:15], v[30:31], v[36:37] :: v_dual_cndmask_b32 v26, v44, v26, vcc_lo
	v_cmp_eq_u32_e32 vcc_lo, 7, v11
	s_wait_dscnt 0x4
	v_add_f64_e32 v[20:21], v[32:33], v[38:39]
	s_delay_alu instid0(VALU_DEP_3)
	v_lshlrev_b32_e32 v29, 2, v26
	v_add_f64_e32 v[22:23], v[16:17], v[22:23]
	s_wait_dscnt 0x2
	v_add_f64_e32 v[16:17], v[18:19], v[40:41]
	s_wait_dscnt 0x0
	v_add_f64_e32 v[18:19], v[34:35], v[42:43]
	ds_bpermute_b32 v38, v29, v24
	ds_bpermute_b32 v40, v29, v0
	ds_bpermute_b32 v41, v29, v1
	ds_bpermute_b32 v39, v29, v25
	ds_bpermute_b32 v36, v29, v12
	ds_bpermute_b32 v37, v29, v13
	ds_bpermute_b32 v32, v29, v14
	ds_bpermute_b32 v33, v29, v15
	ds_bpermute_b32 v30, v29, v20
	ds_bpermute_b32 v31, v29, v21
	ds_bpermute_b32 v34, v29, v22
	ds_bpermute_b32 v35, v29, v23
	ds_bpermute_b32 v26, v29, v16
	ds_bpermute_b32 v27, v29, v17
	ds_bpermute_b32 v28, v29, v18
	ds_bpermute_b32 v29, v29, v19
	s_and_b32 exec_lo, exec_lo, vcc_lo
	s_cbranch_execz .LBB122_21
; %bb.17:
	v_cmp_eq_f64_e32 vcc_lo, 0, v[6:7]
	v_cmp_eq_f64_e64 s2, 0, v[8:9]
	s_wait_dscnt 0xd
	v_add_f64_e32 v[0:1], v[0:1], v[40:41]
	s_wait_dscnt 0xc
	v_add_f64_e32 v[24:25], v[24:25], v[38:39]
	;; [unrolled: 2-line block ×4, first 2 shown]
	v_add_f64_e32 v[14:15], v[14:15], v[32:33]
	v_add_f64_e32 v[20:21], v[20:21], v[30:31]
	s_wait_dscnt 0x2
	v_add_f64_e32 v[16:17], v[16:17], v[26:27]
	s_wait_dscnt 0x0
	v_add_f64_e32 v[18:19], v[18:19], v[28:29]
	s_load_b64 s[0:1], s[0:1], 0x48
	s_and_b32 s2, vcc_lo, s2
	s_delay_alu instid0(SALU_CYCLE_1) | instskip(NEXT) | instid1(SALU_CYCLE_1)
	s_and_saveexec_b32 s3, s2
	s_xor_b32 s2, exec_lo, s3
	s_cbranch_execz .LBB122_19
; %bb.18:
	v_mul_f64_e64 v[6:7], v[24:25], -v[4:5]
	v_mul_f64_e32 v[8:9], v[2:3], v[24:25]
	v_mul_f64_e64 v[24:25], v[22:23], -v[4:5]
	v_mul_f64_e32 v[26:27], v[2:3], v[22:23]
	;; [unrolled: 2-line block ×4, first 2 shown]
                                        ; implicit-def: $vgpr18_vgpr19
	v_fmac_f64_e32 v[6:7], v[2:3], v[0:1]
	v_fmac_f64_e32 v[8:9], v[4:5], v[0:1]
	v_fmac_f64_e32 v[24:25], v[2:3], v[12:13]
	v_fmac_f64_e32 v[26:27], v[4:5], v[12:13]
	v_fmac_f64_e32 v[28:29], v[2:3], v[14:15]
	v_fmac_f64_e32 v[30:31], v[4:5], v[14:15]
	v_fmac_f64_e32 v[20:21], v[2:3], v[16:17]
	v_fmac_f64_e32 v[22:23], v[4:5], v[16:17]
	v_lshlrev_b32_e32 v0, 2, v10
                                        ; implicit-def: $vgpr10
                                        ; implicit-def: $vgpr12_vgpr13
                                        ; implicit-def: $vgpr14_vgpr15
                                        ; implicit-def: $vgpr16_vgpr17
                                        ; implicit-def: $vgpr4_vgpr5
	s_wait_kmcnt 0x0
	s_clause 0x3
	global_store_b128 v0, v[6:9], s[0:1] scale_offset
	global_store_b128 v0, v[24:27], s[0:1] offset:16 scale_offset
	global_store_b128 v0, v[28:31], s[0:1] offset:32 scale_offset
	;; [unrolled: 1-line block ×3, first 2 shown]
                                        ; implicit-def: $vgpr0_vgpr1
                                        ; implicit-def: $vgpr24_vgpr25
                                        ; implicit-def: $vgpr22_vgpr23
                                        ; implicit-def: $vgpr20_vgpr21
                                        ; implicit-def: $vgpr8_vgpr9
.LBB122_19:
	s_wait_xcnt 0x0
	s_and_not1_saveexec_b32 s2, s2
	s_cbranch_execz .LBB122_21
; %bb.20:
	v_dual_mul_f64 v[42:43], v[24:25], -v[4:5] :: v_dual_lshlrev_b32 v52, 2, v10
	v_mul_f64_e32 v[24:25], v[2:3], v[24:25]
	v_mul_f64_e64 v[46:47], v[22:23], -v[4:5]
	v_mul_f64_e32 v[44:45], v[2:3], v[22:23]
	s_wait_kmcnt 0x0
	s_clause 0x3
	global_load_b128 v[26:29], v52, s[0:1] scale_offset
	global_load_b128 v[30:33], v52, s[0:1] offset:16 scale_offset
	global_load_b128 v[34:37], v52, s[0:1] offset:32 scale_offset
	;; [unrolled: 1-line block ×3, first 2 shown]
	v_mul_f64_e64 v[48:49], v[20:21], -v[4:5]
	v_mul_f64_e32 v[20:21], v[2:3], v[20:21]
	v_mul_f64_e64 v[50:51], v[18:19], -v[4:5]
	v_mul_f64_e32 v[10:11], v[2:3], v[18:19]
	v_fmac_f64_e32 v[42:43], v[2:3], v[0:1]
	v_fmac_f64_e32 v[24:25], v[4:5], v[0:1]
	;; [unrolled: 1-line block ×8, first 2 shown]
	s_wait_loadcnt 0x3
	v_fmac_f64_e32 v[42:43], v[6:7], v[26:27]
	v_fmac_f64_e32 v[24:25], v[8:9], v[26:27]
	s_wait_loadcnt 0x2
	v_fmac_f64_e32 v[46:47], v[6:7], v[30:31]
	v_fmac_f64_e32 v[44:45], v[8:9], v[30:31]
	;; [unrolled: 3-line block ×4, first 2 shown]
	v_fma_f64 v[22:23], -v[8:9], v[28:29], v[42:43]
	v_fmac_f64_e32 v[24:25], v[6:7], v[28:29]
	v_fma_f64 v[42:43], -v[8:9], v[32:33], v[46:47]
	v_fmac_f64_e32 v[44:45], v[6:7], v[32:33]
	v_fma_f64 v[18:19], -v[8:9], v[36:37], v[48:49]
	v_fmac_f64_e32 v[20:21], v[6:7], v[36:37]
	v_fma_f64 v[8:9], -v[8:9], v[40:41], v[50:51]
	v_fmac_f64_e32 v[10:11], v[6:7], v[40:41]
	s_clause 0x3
	global_store_b128 v52, v[22:25], s[0:1] scale_offset
	global_store_b128 v52, v[42:45], s[0:1] offset:16 scale_offset
	global_store_b128 v52, v[18:21], s[0:1] offset:32 scale_offset
	;; [unrolled: 1-line block ×3, first 2 shown]
.LBB122_21:
	s_sendmsg sendmsg(MSG_DEALLOC_VGPRS)
	s_endpgm
	.section	.rodata,"a",@progbits
	.p2align	6, 0x0
	.amdhsa_kernel _ZN9rocsparseL19gebsrmvn_4xn_kernelILj128ELj3ELj8E21rocsparse_complex_numIdEEEvi20rocsparse_direction_NS_24const_host_device_scalarIT2_EEPKiS8_PKS5_SA_S6_PS5_21rocsparse_index_base_b
		.amdhsa_group_segment_fixed_size 0
		.amdhsa_private_segment_fixed_size 0
		.amdhsa_kernarg_size 88
		.amdhsa_user_sgpr_count 2
		.amdhsa_user_sgpr_dispatch_ptr 0
		.amdhsa_user_sgpr_queue_ptr 0
		.amdhsa_user_sgpr_kernarg_segment_ptr 1
		.amdhsa_user_sgpr_dispatch_id 0
		.amdhsa_user_sgpr_kernarg_preload_length 0
		.amdhsa_user_sgpr_kernarg_preload_offset 0
		.amdhsa_user_sgpr_private_segment_size 0
		.amdhsa_wavefront_size32 1
		.amdhsa_uses_dynamic_stack 0
		.amdhsa_enable_private_segment 0
		.amdhsa_system_sgpr_workgroup_id_x 1
		.amdhsa_system_sgpr_workgroup_id_y 0
		.amdhsa_system_sgpr_workgroup_id_z 0
		.amdhsa_system_sgpr_workgroup_info 0
		.amdhsa_system_vgpr_workitem_id 0
		.amdhsa_next_free_vgpr 90
		.amdhsa_next_free_sgpr 14
		.amdhsa_named_barrier_count 0
		.amdhsa_reserve_vcc 1
		.amdhsa_float_round_mode_32 0
		.amdhsa_float_round_mode_16_64 0
		.amdhsa_float_denorm_mode_32 3
		.amdhsa_float_denorm_mode_16_64 3
		.amdhsa_fp16_overflow 0
		.amdhsa_memory_ordered 1
		.amdhsa_forward_progress 1
		.amdhsa_inst_pref_size 22
		.amdhsa_round_robin_scheduling 0
		.amdhsa_exception_fp_ieee_invalid_op 0
		.amdhsa_exception_fp_denorm_src 0
		.amdhsa_exception_fp_ieee_div_zero 0
		.amdhsa_exception_fp_ieee_overflow 0
		.amdhsa_exception_fp_ieee_underflow 0
		.amdhsa_exception_fp_ieee_inexact 0
		.amdhsa_exception_int_div_zero 0
	.end_amdhsa_kernel
	.section	.text._ZN9rocsparseL19gebsrmvn_4xn_kernelILj128ELj3ELj8E21rocsparse_complex_numIdEEEvi20rocsparse_direction_NS_24const_host_device_scalarIT2_EEPKiS8_PKS5_SA_S6_PS5_21rocsparse_index_base_b,"axG",@progbits,_ZN9rocsparseL19gebsrmvn_4xn_kernelILj128ELj3ELj8E21rocsparse_complex_numIdEEEvi20rocsparse_direction_NS_24const_host_device_scalarIT2_EEPKiS8_PKS5_SA_S6_PS5_21rocsparse_index_base_b,comdat
.Lfunc_end122:
	.size	_ZN9rocsparseL19gebsrmvn_4xn_kernelILj128ELj3ELj8E21rocsparse_complex_numIdEEEvi20rocsparse_direction_NS_24const_host_device_scalarIT2_EEPKiS8_PKS5_SA_S6_PS5_21rocsparse_index_base_b, .Lfunc_end122-_ZN9rocsparseL19gebsrmvn_4xn_kernelILj128ELj3ELj8E21rocsparse_complex_numIdEEEvi20rocsparse_direction_NS_24const_host_device_scalarIT2_EEPKiS8_PKS5_SA_S6_PS5_21rocsparse_index_base_b
                                        ; -- End function
	.set _ZN9rocsparseL19gebsrmvn_4xn_kernelILj128ELj3ELj8E21rocsparse_complex_numIdEEEvi20rocsparse_direction_NS_24const_host_device_scalarIT2_EEPKiS8_PKS5_SA_S6_PS5_21rocsparse_index_base_b.num_vgpr, 90
	.set _ZN9rocsparseL19gebsrmvn_4xn_kernelILj128ELj3ELj8E21rocsparse_complex_numIdEEEvi20rocsparse_direction_NS_24const_host_device_scalarIT2_EEPKiS8_PKS5_SA_S6_PS5_21rocsparse_index_base_b.num_agpr, 0
	.set _ZN9rocsparseL19gebsrmvn_4xn_kernelILj128ELj3ELj8E21rocsparse_complex_numIdEEEvi20rocsparse_direction_NS_24const_host_device_scalarIT2_EEPKiS8_PKS5_SA_S6_PS5_21rocsparse_index_base_b.numbered_sgpr, 14
	.set _ZN9rocsparseL19gebsrmvn_4xn_kernelILj128ELj3ELj8E21rocsparse_complex_numIdEEEvi20rocsparse_direction_NS_24const_host_device_scalarIT2_EEPKiS8_PKS5_SA_S6_PS5_21rocsparse_index_base_b.num_named_barrier, 0
	.set _ZN9rocsparseL19gebsrmvn_4xn_kernelILj128ELj3ELj8E21rocsparse_complex_numIdEEEvi20rocsparse_direction_NS_24const_host_device_scalarIT2_EEPKiS8_PKS5_SA_S6_PS5_21rocsparse_index_base_b.private_seg_size, 0
	.set _ZN9rocsparseL19gebsrmvn_4xn_kernelILj128ELj3ELj8E21rocsparse_complex_numIdEEEvi20rocsparse_direction_NS_24const_host_device_scalarIT2_EEPKiS8_PKS5_SA_S6_PS5_21rocsparse_index_base_b.uses_vcc, 1
	.set _ZN9rocsparseL19gebsrmvn_4xn_kernelILj128ELj3ELj8E21rocsparse_complex_numIdEEEvi20rocsparse_direction_NS_24const_host_device_scalarIT2_EEPKiS8_PKS5_SA_S6_PS5_21rocsparse_index_base_b.uses_flat_scratch, 0
	.set _ZN9rocsparseL19gebsrmvn_4xn_kernelILj128ELj3ELj8E21rocsparse_complex_numIdEEEvi20rocsparse_direction_NS_24const_host_device_scalarIT2_EEPKiS8_PKS5_SA_S6_PS5_21rocsparse_index_base_b.has_dyn_sized_stack, 0
	.set _ZN9rocsparseL19gebsrmvn_4xn_kernelILj128ELj3ELj8E21rocsparse_complex_numIdEEEvi20rocsparse_direction_NS_24const_host_device_scalarIT2_EEPKiS8_PKS5_SA_S6_PS5_21rocsparse_index_base_b.has_recursion, 0
	.set _ZN9rocsparseL19gebsrmvn_4xn_kernelILj128ELj3ELj8E21rocsparse_complex_numIdEEEvi20rocsparse_direction_NS_24const_host_device_scalarIT2_EEPKiS8_PKS5_SA_S6_PS5_21rocsparse_index_base_b.has_indirect_call, 0
	.section	.AMDGPU.csdata,"",@progbits
; Kernel info:
; codeLenInByte = 2796
; TotalNumSgprs: 16
; NumVgprs: 90
; ScratchSize: 0
; MemoryBound: 0
; FloatMode: 240
; IeeeMode: 1
; LDSByteSize: 0 bytes/workgroup (compile time only)
; SGPRBlocks: 0
; VGPRBlocks: 5
; NumSGPRsForWavesPerEU: 16
; NumVGPRsForWavesPerEU: 90
; NamedBarCnt: 0
; Occupancy: 10
; WaveLimiterHint : 1
; COMPUTE_PGM_RSRC2:SCRATCH_EN: 0
; COMPUTE_PGM_RSRC2:USER_SGPR: 2
; COMPUTE_PGM_RSRC2:TRAP_HANDLER: 0
; COMPUTE_PGM_RSRC2:TGID_X_EN: 1
; COMPUTE_PGM_RSRC2:TGID_Y_EN: 0
; COMPUTE_PGM_RSRC2:TGID_Z_EN: 0
; COMPUTE_PGM_RSRC2:TIDIG_COMP_CNT: 0
	.section	.text._ZN9rocsparseL19gebsrmvn_4xn_kernelILj128ELj3ELj16E21rocsparse_complex_numIdEEEvi20rocsparse_direction_NS_24const_host_device_scalarIT2_EEPKiS8_PKS5_SA_S6_PS5_21rocsparse_index_base_b,"axG",@progbits,_ZN9rocsparseL19gebsrmvn_4xn_kernelILj128ELj3ELj16E21rocsparse_complex_numIdEEEvi20rocsparse_direction_NS_24const_host_device_scalarIT2_EEPKiS8_PKS5_SA_S6_PS5_21rocsparse_index_base_b,comdat
	.globl	_ZN9rocsparseL19gebsrmvn_4xn_kernelILj128ELj3ELj16E21rocsparse_complex_numIdEEEvi20rocsparse_direction_NS_24const_host_device_scalarIT2_EEPKiS8_PKS5_SA_S6_PS5_21rocsparse_index_base_b ; -- Begin function _ZN9rocsparseL19gebsrmvn_4xn_kernelILj128ELj3ELj16E21rocsparse_complex_numIdEEEvi20rocsparse_direction_NS_24const_host_device_scalarIT2_EEPKiS8_PKS5_SA_S6_PS5_21rocsparse_index_base_b
	.p2align	8
	.type	_ZN9rocsparseL19gebsrmvn_4xn_kernelILj128ELj3ELj16E21rocsparse_complex_numIdEEEvi20rocsparse_direction_NS_24const_host_device_scalarIT2_EEPKiS8_PKS5_SA_S6_PS5_21rocsparse_index_base_b,@function
_ZN9rocsparseL19gebsrmvn_4xn_kernelILj128ELj3ELj16E21rocsparse_complex_numIdEEEvi20rocsparse_direction_NS_24const_host_device_scalarIT2_EEPKiS8_PKS5_SA_S6_PS5_21rocsparse_index_base_b: ; @_ZN9rocsparseL19gebsrmvn_4xn_kernelILj128ELj3ELj16E21rocsparse_complex_numIdEEEvi20rocsparse_direction_NS_24const_host_device_scalarIT2_EEPKiS8_PKS5_SA_S6_PS5_21rocsparse_index_base_b
; %bb.0:
	s_clause 0x1
	s_load_b64 s[12:13], s[0:1], 0x50
	s_load_b64 s[2:3], s[0:1], 0x8
	v_mov_b32_e32 v1, 0
	s_add_nc_u64 s[4:5], s[0:1], 8
	s_load_b64 s[6:7], s[0:1], 0x38
	s_wait_kmcnt 0x0
	s_bitcmp1_b32 s13, 0
	s_cselect_b32 s3, s5, s3
	s_cselect_b32 s2, s4, s2
	flat_load_b128 v[2:5], v1, s[2:3]
	s_wait_xcnt 0x0
	s_add_nc_u64 s[2:3], s[0:1], 56
	s_delay_alu instid0(SALU_CYCLE_1)
	s_cselect_b32 s3, s3, s7
	s_cselect_b32 s2, s2, s6
	flat_load_b128 v[6:9], v1, s[2:3]
	s_wait_loadcnt_dscnt 0x101
	v_cmp_eq_f64_e32 vcc_lo, 0, v[2:3]
	s_wait_xcnt 0x0
	v_cmp_eq_f64_e64 s2, 0, v[4:5]
	s_and_b32 s4, vcc_lo, s2
	s_mov_b32 s2, -1
	s_and_saveexec_b32 s3, s4
	s_cbranch_execz .LBB123_2
; %bb.1:
	s_wait_loadcnt_dscnt 0x0
	v_cmp_neq_f64_e32 vcc_lo, 1.0, v[6:7]
	v_cmp_neq_f64_e64 s2, 0, v[8:9]
	s_or_b32 s2, vcc_lo, s2
	s_delay_alu instid0(SALU_CYCLE_1)
	s_or_not1_b32 s2, s2, exec_lo
.LBB123_2:
	s_or_b32 exec_lo, exec_lo, s3
	s_and_saveexec_b32 s3, s2
	s_cbranch_execz .LBB123_21
; %bb.3:
	s_load_b64 s[2:3], s[0:1], 0x0
	s_bfe_u32 s4, ttmp6, 0x4000c
	s_and_b32 s5, ttmp6, 15
	s_add_co_i32 s4, s4, 1
	s_getreg_b32 s6, hwreg(HW_REG_IB_STS2, 6, 4)
	s_mul_i32 s4, ttmp9, s4
	v_lshrrev_b32_e32 v1, 4, v0
	s_add_co_i32 s5, s5, s4
	s_cmp_eq_u32 s6, 0
	s_cselect_b32 s4, ttmp9, s5
	s_delay_alu instid0(VALU_DEP_1) | instid1(SALU_CYCLE_1)
	v_lshl_or_b32 v10, s4, 3, v1
	s_wait_kmcnt 0x0
	s_delay_alu instid0(VALU_DEP_1)
	v_cmp_gt_i32_e32 vcc_lo, s2, v10
	s_and_b32 exec_lo, exec_lo, vcc_lo
	s_cbranch_execz .LBB123_21
; %bb.4:
	s_load_b256 s[4:11], s[0:1], 0x18
	v_ashrrev_i32_e32 v11, 31, v10
	s_cmp_lg_u32 s3, 0
	s_wait_kmcnt 0x0
	s_delay_alu instid0(VALU_DEP_1)
	v_lshl_add_u64 v[12:13], v[10:11], 2, s[4:5]
	v_and_b32_e32 v11, 15, v0
	global_load_b64 v[12:13], v[12:13], off
	s_wait_loadcnt 0x0
	v_subrev_nc_u32_e32 v0, s12, v12
	v_subrev_nc_u32_e32 v26, s12, v13
	s_delay_alu instid0(VALU_DEP_2) | instskip(NEXT) | instid1(VALU_DEP_1)
	v_add_nc_u32_e32 v27, v0, v11
	v_cmp_lt_i32_e64 s2, v27, v26
	s_cbranch_scc0 .LBB123_10
; %bb.5:
	v_mov_b64_e32 v[0:1], 0
	v_mov_b64_e32 v[20:21], 0
	;; [unrolled: 1-line block ×8, first 2 shown]
	s_and_saveexec_b32 s3, s2
	s_cbranch_execz .LBB123_9
; %bb.6:
	v_mul_lo_u32 v28, v27, 12
	v_mov_b64_e32 v[0:1], 0
	v_mov_b64_e32 v[20:21], 0
	;; [unrolled: 1-line block ×8, first 2 shown]
	v_mov_b32_e32 v29, v27
	s_mov_b32 s4, 0
.LBB123_7:                              ; =>This Inner Loop Header: Depth=1
	global_load_b32 v46, v29, s[6:7] scale_offset
	s_clause 0x3
	global_load_b128 v[30:33], v28, s[8:9] offset:48 scale_offset
	global_load_b128 v[34:37], v28, s[8:9] offset:32 scale_offset
	;; [unrolled: 1-line block ×3, first 2 shown]
	global_load_b128 v[42:45], v28, s[8:9] scale_offset
	v_dual_add_nc_u32 v66, 4, v28 :: v_dual_add_nc_u32 v87, 8, v28
	s_wait_xcnt 0x4
	v_add_nc_u32_e32 v29, 16, v29
	s_wait_xcnt 0x0
	v_add_nc_u32_e32 v28, 0xc0, v28
	s_delay_alu instid0(VALU_DEP_2) | instskip(SKIP_3) | instid1(VALU_DEP_1)
	v_cmp_ge_i32_e32 vcc_lo, v29, v26
	s_or_b32 s4, vcc_lo, s4
	s_wait_loadcnt 0x4
	v_subrev_nc_u32_e32 v46, s12, v46
	v_lshl_add_u32 v86, v46, 1, v46
	global_load_b128 v[46:49], v86, s[10:11] scale_offset
	s_clause 0x3
	global_load_b128 v[50:53], v66, s[8:9] offset:48 scale_offset
	global_load_b128 v[54:57], v66, s[8:9] offset:32 scale_offset
	;; [unrolled: 1-line block ×3, first 2 shown]
	global_load_b128 v[62:65], v66, s[8:9] scale_offset
	s_wait_xcnt 0x0
	v_dual_add_nc_u32 v66, 1, v86 :: v_dual_add_nc_u32 v86, 2, v86
	global_load_b128 v[66:69], v66, s[10:11] scale_offset
	s_clause 0x3
	global_load_b128 v[70:73], v87, s[8:9] offset:48 scale_offset
	global_load_b128 v[74:77], v87, s[8:9] offset:32 scale_offset
	;; [unrolled: 1-line block ×3, first 2 shown]
	global_load_b128 v[82:85], v87, s[8:9] scale_offset
	global_load_b128 v[86:89], v86, s[10:11] scale_offset
	s_wait_loadcnt 0xa
	v_fmac_f64_e32 v[20:21], v[42:43], v[46:47]
	v_fmac_f64_e32 v[0:1], v[44:45], v[46:47]
	v_fmac_f64_e32 v[24:25], v[38:39], v[46:47]
	v_fmac_f64_e32 v[16:17], v[40:41], v[46:47]
	v_fmac_f64_e32 v[22:23], v[34:35], v[46:47]
	v_fmac_f64_e32 v[14:15], v[36:37], v[46:47]
	v_fmac_f64_e32 v[18:19], v[30:31], v[46:47]
	v_fmac_f64_e32 v[12:13], v[32:33], v[46:47]
	v_fma_f64 v[20:21], -v[44:45], v[48:49], v[20:21]
	v_fmac_f64_e32 v[0:1], v[42:43], v[48:49]
	v_fma_f64 v[24:25], -v[40:41], v[48:49], v[24:25]
	v_fmac_f64_e32 v[16:17], v[38:39], v[48:49]
	v_fma_f64 v[22:23], -v[36:37], v[48:49], v[22:23]
	v_fmac_f64_e32 v[14:15], v[34:35], v[48:49]
	v_fma_f64 v[18:19], -v[32:33], v[48:49], v[18:19]
	v_fmac_f64_e32 v[12:13], v[30:31], v[48:49]
	s_wait_loadcnt 0x5
	v_fmac_f64_e32 v[20:21], v[62:63], v[66:67]
	v_fmac_f64_e32 v[0:1], v[64:65], v[66:67]
	v_fmac_f64_e32 v[24:25], v[58:59], v[66:67]
	v_fmac_f64_e32 v[16:17], v[60:61], v[66:67]
	v_fmac_f64_e32 v[22:23], v[54:55], v[66:67]
	v_fmac_f64_e32 v[14:15], v[56:57], v[66:67]
	v_fmac_f64_e32 v[18:19], v[50:51], v[66:67]
	v_fmac_f64_e32 v[12:13], v[52:53], v[66:67]
	v_fma_f64 v[20:21], -v[64:65], v[68:69], v[20:21]
	v_fmac_f64_e32 v[0:1], v[62:63], v[68:69]
	v_fma_f64 v[24:25], -v[60:61], v[68:69], v[24:25]
	v_fmac_f64_e32 v[16:17], v[58:59], v[68:69]
	v_fma_f64 v[22:23], -v[56:57], v[68:69], v[22:23]
	v_fmac_f64_e32 v[14:15], v[54:55], v[68:69]
	v_fma_f64 v[18:19], -v[52:53], v[68:69], v[18:19]
	v_fmac_f64_e32 v[12:13], v[50:51], v[68:69]
	s_wait_loadcnt 0x0
	v_fmac_f64_e32 v[20:21], v[82:83], v[86:87]
	v_fmac_f64_e32 v[0:1], v[84:85], v[86:87]
	v_fmac_f64_e32 v[24:25], v[78:79], v[86:87]
	v_fmac_f64_e32 v[16:17], v[80:81], v[86:87]
	v_fmac_f64_e32 v[22:23], v[74:75], v[86:87]
	v_fmac_f64_e32 v[14:15], v[76:77], v[86:87]
	v_fmac_f64_e32 v[18:19], v[70:71], v[86:87]
	v_fmac_f64_e32 v[12:13], v[72:73], v[86:87]
	v_fma_f64 v[20:21], -v[84:85], v[88:89], v[20:21]
	v_fmac_f64_e32 v[0:1], v[82:83], v[88:89]
	v_fma_f64 v[24:25], -v[80:81], v[88:89], v[24:25]
	v_fmac_f64_e32 v[16:17], v[78:79], v[88:89]
	v_fma_f64 v[22:23], -v[76:77], v[88:89], v[22:23]
	v_fmac_f64_e32 v[14:15], v[74:75], v[88:89]
	v_fma_f64 v[18:19], -v[72:73], v[88:89], v[18:19]
	v_fmac_f64_e32 v[12:13], v[70:71], v[88:89]
	s_and_not1_b32 exec_lo, exec_lo, s4
	s_cbranch_execnz .LBB123_7
; %bb.8:
	s_or_b32 exec_lo, exec_lo, s4
.LBB123_9:
	s_delay_alu instid0(SALU_CYCLE_1)
	s_or_b32 exec_lo, exec_lo, s3
	s_cbranch_execz .LBB123_11
	s_branch .LBB123_16
.LBB123_10:
                                        ; implicit-def: $vgpr0_vgpr1
                                        ; implicit-def: $vgpr20_vgpr21
                                        ; implicit-def: $vgpr18_vgpr19
                                        ; implicit-def: $vgpr12_vgpr13
                                        ; implicit-def: $vgpr22_vgpr23
                                        ; implicit-def: $vgpr14_vgpr15
                                        ; implicit-def: $vgpr24_vgpr25
                                        ; implicit-def: $vgpr16_vgpr17
.LBB123_11:
	v_mov_b64_e32 v[0:1], 0
	v_mov_b64_e32 v[20:21], 0
	;; [unrolled: 1-line block ×8, first 2 shown]
	s_and_saveexec_b32 s3, s2
	s_cbranch_execz .LBB123_15
; %bb.12:
	v_mad_u32 v28, v27, 12, 11
	v_mov_b64_e32 v[0:1], 0
	v_mov_b64_e32 v[20:21], 0
	;; [unrolled: 1-line block ×8, first 2 shown]
	s_mov_b32 s2, 0
.LBB123_13:                             ; =>This Inner Loop Header: Depth=1
	global_load_b32 v29, v27, s[6:7] scale_offset
	v_dual_add_nc_u32 v86, -11, v28 :: v_dual_add_nc_u32 v50, -5, v28
	v_dual_add_nc_u32 v51, -2, v28 :: v_dual_add_nc_u32 v66, -7, v28
	s_clause 0x4
	global_load_b128 v[30:33], v86, s[8:9] offset:48 scale_offset
	global_load_b128 v[34:37], v86, s[8:9] offset:16 scale_offset
	global_load_b128 v[38:41], v86, s[8:9] scale_offset
	global_load_b128 v[42:45], v50, s[8:9] scale_offset
	;; [unrolled: 1-line block ×3, first 2 shown]
	v_dual_add_nc_u32 v67, -4, v28 :: v_dual_add_nc_u32 v68, -1, v28
	s_wait_xcnt 0x5
	v_dual_add_nc_u32 v87, -6, v28 :: v_dual_add_nc_u32 v27, 16, v27
	s_delay_alu instid0(VALU_DEP_1) | instskip(SKIP_3) | instid1(VALU_DEP_1)
	v_cmp_ge_i32_e32 vcc_lo, v27, v26
	s_or_b32 s2, vcc_lo, s2
	s_wait_loadcnt 0x5
	v_subrev_nc_u32_e32 v29, s12, v29
	v_lshl_add_u32 v29, v29, 1, v29
	v_add_nc_u32_e32 v88, -3, v28
	global_load_b128 v[50:53], v29, s[10:11] scale_offset
	s_clause 0x2
	global_load_b128 v[54:57], v66, s[8:9] scale_offset
	global_load_b128 v[58:61], v67, s[8:9] scale_offset
	;; [unrolled: 1-line block ×3, first 2 shown]
	s_wait_xcnt 0x2
	v_dual_add_nc_u32 v66, 1, v29 :: v_dual_add_nc_u32 v29, 2, v29
	global_load_b128 v[66:69], v66, s[10:11] scale_offset
	s_clause 0x3
	global_load_b128 v[70:73], v28, s[8:9] scale_offset
	global_load_b128 v[74:77], v86, s[8:9] offset:32 scale_offset
	global_load_b128 v[78:81], v87, s[8:9] scale_offset
	global_load_b128 v[82:85], v88, s[8:9] scale_offset
	;; [unrolled: 1-line block ×3, first 2 shown]
	v_add_nc_u32_e32 v28, 0xc0, v28
	s_wait_loadcnt 0x9
	v_fmac_f64_e32 v[20:21], v[38:39], v[50:51]
	v_fmac_f64_e32 v[0:1], v[40:41], v[50:51]
	v_fmac_f64_e32 v[24:25], v[30:31], v[50:51]
	v_fmac_f64_e32 v[16:17], v[32:33], v[50:51]
	v_fmac_f64_e32 v[22:23], v[42:43], v[50:51]
	v_fmac_f64_e32 v[14:15], v[44:45], v[50:51]
	v_fmac_f64_e32 v[18:19], v[46:47], v[50:51]
	v_fmac_f64_e32 v[12:13], v[48:49], v[50:51]
	v_fma_f64 v[20:21], -v[40:41], v[52:53], v[20:21]
	v_fmac_f64_e32 v[0:1], v[38:39], v[52:53]
	v_fma_f64 v[24:25], -v[32:33], v[52:53], v[24:25]
	v_fmac_f64_e32 v[16:17], v[30:31], v[52:53]
	v_fma_f64 v[22:23], -v[44:45], v[52:53], v[22:23]
	v_fmac_f64_e32 v[14:15], v[42:43], v[52:53]
	v_fma_f64 v[18:19], -v[48:49], v[52:53], v[18:19]
	v_fmac_f64_e32 v[12:13], v[46:47], v[52:53]
	s_wait_loadcnt 0x5
	v_fmac_f64_e32 v[20:21], v[34:35], v[66:67]
	v_fmac_f64_e32 v[0:1], v[36:37], v[66:67]
	v_fmac_f64_e32 v[24:25], v[54:55], v[66:67]
	v_fmac_f64_e32 v[16:17], v[56:57], v[66:67]
	v_fmac_f64_e32 v[22:23], v[58:59], v[66:67]
	v_fmac_f64_e32 v[14:15], v[60:61], v[66:67]
	v_fmac_f64_e32 v[18:19], v[62:63], v[66:67]
	v_fmac_f64_e32 v[12:13], v[64:65], v[66:67]
	v_fma_f64 v[20:21], -v[36:37], v[68:69], v[20:21]
	v_fmac_f64_e32 v[0:1], v[34:35], v[68:69]
	v_fma_f64 v[24:25], -v[56:57], v[68:69], v[24:25]
	v_fmac_f64_e32 v[16:17], v[54:55], v[68:69]
	v_fma_f64 v[22:23], -v[60:61], v[68:69], v[22:23]
	v_fmac_f64_e32 v[14:15], v[58:59], v[68:69]
	v_fma_f64 v[18:19], -v[64:65], v[68:69], v[18:19]
	v_fmac_f64_e32 v[12:13], v[62:63], v[68:69]
	;; [unrolled: 17-line block ×3, first 2 shown]
	s_and_not1_b32 exec_lo, exec_lo, s2
	s_cbranch_execnz .LBB123_13
; %bb.14:
	s_or_b32 exec_lo, exec_lo, s2
.LBB123_15:
	s_delay_alu instid0(SALU_CYCLE_1)
	s_or_b32 exec_lo, exec_lo, s3
.LBB123_16:
	v_mbcnt_lo_u32_b32 v44, -1, 0
	s_delay_alu instid0(VALU_DEP_1) | instskip(NEXT) | instid1(VALU_DEP_1)
	v_xor_b32_e32 v26, 8, v44
	v_cmp_gt_i32_e32 vcc_lo, 32, v26
	v_cndmask_b32_e32 v26, v44, v26, vcc_lo
	s_delay_alu instid0(VALU_DEP_1)
	v_lshlrev_b32_e32 v41, 2, v26
	ds_bpermute_b32 v28, v41, v0
	ds_bpermute_b32 v29, v41, v1
	s_wait_dscnt 0x0
	v_add_f64_e32 v[0:1], v[0:1], v[28:29]
	ds_bpermute_b32 v26, v41, v20
	ds_bpermute_b32 v27, v41, v21
	;; [unrolled: 1-line block ×14, first 2 shown]
	s_wait_dscnt 0xc
	v_dual_add_f64 v[20:21], v[20:21], v[26:27] :: v_dual_bitop2_b32 v26, 4, v44 bitop3:0x14
	s_wait_dscnt 0xa
	v_add_f64_e32 v[14:15], v[14:15], v[36:37]
	s_wait_dscnt 0x8
	v_add_f64_e32 v[24:25], v[24:25], v[30:31]
	v_cmp_gt_i32_e32 vcc_lo, 32, v26
	s_wait_dscnt 0x4
	v_add_f64_e32 v[22:23], v[22:23], v[34:35]
	v_cndmask_b32_e32 v26, v44, v26, vcc_lo
	v_add_f64_e32 v[16:17], v[16:17], v[32:33]
	s_wait_dscnt 0x0
	s_delay_alu instid0(VALU_DEP_2)
	v_dual_add_f64 v[12:13], v[12:13], v[40:41] :: v_dual_lshlrev_b32 v41, 2, v26
	ds_bpermute_b32 v28, v41, v0
	ds_bpermute_b32 v29, v41, v1
	;; [unrolled: 1-line block ×11, first 2 shown]
	s_wait_dscnt 0x7
	v_add_f64_e32 v[20:21], v[20:21], v[26:27]
	v_add_f64_e32 v[26:27], v[0:1], v[28:29]
	v_xor_b32_e32 v0, 2, v44
	ds_bpermute_b32 v34, v41, v22
	ds_bpermute_b32 v35, v41, v23
	s_wait_dscnt 0x5
	v_add_f64_e32 v[28:29], v[24:25], v[30:31]
	v_cmp_gt_i32_e32 vcc_lo, 32, v0
	v_dual_add_f64 v[18:19], v[18:19], v[38:39] :: v_dual_cndmask_b32 v0, v44, v0, vcc_lo
	s_wait_dscnt 0x3
	v_add_f64_e32 v[16:17], v[16:17], v[32:33]
	v_add_f64_e32 v[32:33], v[14:15], v[36:37]
	s_wait_dscnt 0x0
	v_dual_add_f64 v[30:31], v[22:23], v[34:35] :: v_dual_lshlrev_b32 v24, 2, v0
	ds_bpermute_b32 v0, v24, v20
	ds_bpermute_b32 v1, v24, v21
	;; [unrolled: 1-line block ×9, first 2 shown]
	s_wait_dscnt 0x7
	v_add_f64_e32 v[0:1], v[20:21], v[0:1]
	ds_bpermute_b32 v36, v24, v30
	ds_bpermute_b32 v37, v24, v31
	s_wait_dscnt 0x5
	v_add_f64_e32 v[18:19], v[18:19], v[38:39]
	s_wait_dscnt 0x4
	v_add_f64_e32 v[34:35], v[12:13], v[40:41]
	ds_bpermute_b32 v12, v24, v26
	ds_bpermute_b32 v13, v24, v27
	;; [unrolled: 1-line block ×4, first 2 shown]
	s_wait_dscnt 0x6
	v_add_f64_e32 v[22:23], v[16:17], v[22:23]
	s_wait_dscnt 0x0
	v_add_f64_e32 v[20:21], v[32:33], v[38:39]
	ds_bpermute_b32 v40, v24, v18
	ds_bpermute_b32 v41, v24, v19
	;; [unrolled: 1-line block ×4, first 2 shown]
	v_add_f64_e32 v[24:25], v[26:27], v[12:13]
	v_dual_add_f64 v[12:13], v[28:29], v[14:15] :: v_dual_bitop2_b32 v26, 1, v44 bitop3:0x14
	v_add_f64_e32 v[14:15], v[30:31], v[36:37]
	s_delay_alu instid0(VALU_DEP_2) | instskip(SKIP_3) | instid1(VALU_DEP_2)
	v_cmp_gt_i32_e32 vcc_lo, 32, v26
	v_cndmask_b32_e32 v26, v44, v26, vcc_lo
	v_cmp_eq_u32_e32 vcc_lo, 15, v11
	s_wait_dscnt 0x2
	v_dual_add_f64 v[16:17], v[18:19], v[40:41] :: v_dual_lshlrev_b32 v29, 2, v26
	s_wait_dscnt 0x0
	v_add_f64_e32 v[18:19], v[34:35], v[42:43]
	ds_bpermute_b32 v40, v29, v0
	ds_bpermute_b32 v41, v29, v1
	;; [unrolled: 1-line block ×16, first 2 shown]
	s_and_b32 exec_lo, exec_lo, vcc_lo
	s_cbranch_execz .LBB123_21
; %bb.17:
	v_cmp_eq_f64_e32 vcc_lo, 0, v[6:7]
	v_cmp_eq_f64_e64 s2, 0, v[8:9]
	s_wait_dscnt 0xe
	v_add_f64_e32 v[0:1], v[0:1], v[40:41]
	s_wait_dscnt 0x8
	v_add_f64_e32 v[24:25], v[24:25], v[38:39]
	;; [unrolled: 2-line block ×3, first 2 shown]
	v_add_f64_e32 v[22:23], v[22:23], v[34:35]
	s_wait_dscnt 0x4
	v_add_f64_e32 v[14:15], v[14:15], v[32:33]
	v_add_f64_e32 v[20:21], v[20:21], v[30:31]
	s_wait_dscnt 0x2
	v_add_f64_e32 v[16:17], v[16:17], v[26:27]
	s_wait_dscnt 0x0
	v_add_f64_e32 v[18:19], v[18:19], v[28:29]
	s_load_b64 s[0:1], s[0:1], 0x48
	s_and_b32 s2, vcc_lo, s2
	s_delay_alu instid0(SALU_CYCLE_1) | instskip(NEXT) | instid1(SALU_CYCLE_1)
	s_and_saveexec_b32 s3, s2
	s_xor_b32 s2, exec_lo, s3
	s_cbranch_execz .LBB123_19
; %bb.18:
	v_mul_f64_e64 v[6:7], v[24:25], -v[4:5]
	v_mul_f64_e32 v[8:9], v[2:3], v[24:25]
	v_mul_f64_e64 v[24:25], v[22:23], -v[4:5]
	v_mul_f64_e32 v[26:27], v[2:3], v[22:23]
	;; [unrolled: 2-line block ×4, first 2 shown]
                                        ; implicit-def: $vgpr18_vgpr19
	v_fmac_f64_e32 v[6:7], v[2:3], v[0:1]
	v_fmac_f64_e32 v[8:9], v[4:5], v[0:1]
	;; [unrolled: 1-line block ×8, first 2 shown]
	v_lshlrev_b32_e32 v0, 2, v10
                                        ; implicit-def: $vgpr10
                                        ; implicit-def: $vgpr12_vgpr13
                                        ; implicit-def: $vgpr14_vgpr15
                                        ; implicit-def: $vgpr16_vgpr17
                                        ; implicit-def: $vgpr4_vgpr5
	s_wait_kmcnt 0x0
	s_clause 0x3
	global_store_b128 v0, v[6:9], s[0:1] scale_offset
	global_store_b128 v0, v[24:27], s[0:1] offset:16 scale_offset
	global_store_b128 v0, v[28:31], s[0:1] offset:32 scale_offset
	;; [unrolled: 1-line block ×3, first 2 shown]
                                        ; implicit-def: $vgpr0_vgpr1
                                        ; implicit-def: $vgpr24_vgpr25
                                        ; implicit-def: $vgpr22_vgpr23
                                        ; implicit-def: $vgpr20_vgpr21
                                        ; implicit-def: $vgpr8_vgpr9
.LBB123_19:
	s_wait_xcnt 0x0
	s_and_not1_saveexec_b32 s2, s2
	s_cbranch_execz .LBB123_21
; %bb.20:
	v_dual_mul_f64 v[42:43], v[24:25], -v[4:5] :: v_dual_lshlrev_b32 v52, 2, v10
	v_mul_f64_e32 v[24:25], v[2:3], v[24:25]
	v_mul_f64_e64 v[46:47], v[22:23], -v[4:5]
	v_mul_f64_e32 v[44:45], v[2:3], v[22:23]
	s_wait_kmcnt 0x0
	s_clause 0x3
	global_load_b128 v[26:29], v52, s[0:1] scale_offset
	global_load_b128 v[30:33], v52, s[0:1] offset:16 scale_offset
	global_load_b128 v[34:37], v52, s[0:1] offset:32 scale_offset
	;; [unrolled: 1-line block ×3, first 2 shown]
	v_mul_f64_e64 v[48:49], v[20:21], -v[4:5]
	v_mul_f64_e32 v[20:21], v[2:3], v[20:21]
	v_mul_f64_e64 v[50:51], v[18:19], -v[4:5]
	v_mul_f64_e32 v[10:11], v[2:3], v[18:19]
	v_fmac_f64_e32 v[42:43], v[2:3], v[0:1]
	v_fmac_f64_e32 v[24:25], v[4:5], v[0:1]
	;; [unrolled: 1-line block ×8, first 2 shown]
	s_wait_loadcnt 0x3
	v_fmac_f64_e32 v[42:43], v[6:7], v[26:27]
	v_fmac_f64_e32 v[24:25], v[8:9], v[26:27]
	s_wait_loadcnt 0x2
	v_fmac_f64_e32 v[46:47], v[6:7], v[30:31]
	v_fmac_f64_e32 v[44:45], v[8:9], v[30:31]
	;; [unrolled: 3-line block ×4, first 2 shown]
	v_fma_f64 v[22:23], -v[8:9], v[28:29], v[42:43]
	v_fmac_f64_e32 v[24:25], v[6:7], v[28:29]
	v_fma_f64 v[42:43], -v[8:9], v[32:33], v[46:47]
	v_fmac_f64_e32 v[44:45], v[6:7], v[32:33]
	;; [unrolled: 2-line block ×4, first 2 shown]
	s_clause 0x3
	global_store_b128 v52, v[22:25], s[0:1] scale_offset
	global_store_b128 v52, v[42:45], s[0:1] offset:16 scale_offset
	global_store_b128 v52, v[18:21], s[0:1] offset:32 scale_offset
	;; [unrolled: 1-line block ×3, first 2 shown]
.LBB123_21:
	s_sendmsg sendmsg(MSG_DEALLOC_VGPRS)
	s_endpgm
	.section	.rodata,"a",@progbits
	.p2align	6, 0x0
	.amdhsa_kernel _ZN9rocsparseL19gebsrmvn_4xn_kernelILj128ELj3ELj16E21rocsparse_complex_numIdEEEvi20rocsparse_direction_NS_24const_host_device_scalarIT2_EEPKiS8_PKS5_SA_S6_PS5_21rocsparse_index_base_b
		.amdhsa_group_segment_fixed_size 0
		.amdhsa_private_segment_fixed_size 0
		.amdhsa_kernarg_size 88
		.amdhsa_user_sgpr_count 2
		.amdhsa_user_sgpr_dispatch_ptr 0
		.amdhsa_user_sgpr_queue_ptr 0
		.amdhsa_user_sgpr_kernarg_segment_ptr 1
		.amdhsa_user_sgpr_dispatch_id 0
		.amdhsa_user_sgpr_kernarg_preload_length 0
		.amdhsa_user_sgpr_kernarg_preload_offset 0
		.amdhsa_user_sgpr_private_segment_size 0
		.amdhsa_wavefront_size32 1
		.amdhsa_uses_dynamic_stack 0
		.amdhsa_enable_private_segment 0
		.amdhsa_system_sgpr_workgroup_id_x 1
		.amdhsa_system_sgpr_workgroup_id_y 0
		.amdhsa_system_sgpr_workgroup_id_z 0
		.amdhsa_system_sgpr_workgroup_info 0
		.amdhsa_system_vgpr_workitem_id 0
		.amdhsa_next_free_vgpr 90
		.amdhsa_next_free_sgpr 14
		.amdhsa_named_barrier_count 0
		.amdhsa_reserve_vcc 1
		.amdhsa_float_round_mode_32 0
		.amdhsa_float_round_mode_16_64 0
		.amdhsa_float_denorm_mode_32 3
		.amdhsa_float_denorm_mode_16_64 3
		.amdhsa_fp16_overflow 0
		.amdhsa_memory_ordered 1
		.amdhsa_forward_progress 1
		.amdhsa_inst_pref_size 24
		.amdhsa_round_robin_scheduling 0
		.amdhsa_exception_fp_ieee_invalid_op 0
		.amdhsa_exception_fp_denorm_src 0
		.amdhsa_exception_fp_ieee_div_zero 0
		.amdhsa_exception_fp_ieee_overflow 0
		.amdhsa_exception_fp_ieee_underflow 0
		.amdhsa_exception_fp_ieee_inexact 0
		.amdhsa_exception_int_div_zero 0
	.end_amdhsa_kernel
	.section	.text._ZN9rocsparseL19gebsrmvn_4xn_kernelILj128ELj3ELj16E21rocsparse_complex_numIdEEEvi20rocsparse_direction_NS_24const_host_device_scalarIT2_EEPKiS8_PKS5_SA_S6_PS5_21rocsparse_index_base_b,"axG",@progbits,_ZN9rocsparseL19gebsrmvn_4xn_kernelILj128ELj3ELj16E21rocsparse_complex_numIdEEEvi20rocsparse_direction_NS_24const_host_device_scalarIT2_EEPKiS8_PKS5_SA_S6_PS5_21rocsparse_index_base_b,comdat
.Lfunc_end123:
	.size	_ZN9rocsparseL19gebsrmvn_4xn_kernelILj128ELj3ELj16E21rocsparse_complex_numIdEEEvi20rocsparse_direction_NS_24const_host_device_scalarIT2_EEPKiS8_PKS5_SA_S6_PS5_21rocsparse_index_base_b, .Lfunc_end123-_ZN9rocsparseL19gebsrmvn_4xn_kernelILj128ELj3ELj16E21rocsparse_complex_numIdEEEvi20rocsparse_direction_NS_24const_host_device_scalarIT2_EEPKiS8_PKS5_SA_S6_PS5_21rocsparse_index_base_b
                                        ; -- End function
	.set _ZN9rocsparseL19gebsrmvn_4xn_kernelILj128ELj3ELj16E21rocsparse_complex_numIdEEEvi20rocsparse_direction_NS_24const_host_device_scalarIT2_EEPKiS8_PKS5_SA_S6_PS5_21rocsparse_index_base_b.num_vgpr, 90
	.set _ZN9rocsparseL19gebsrmvn_4xn_kernelILj128ELj3ELj16E21rocsparse_complex_numIdEEEvi20rocsparse_direction_NS_24const_host_device_scalarIT2_EEPKiS8_PKS5_SA_S6_PS5_21rocsparse_index_base_b.num_agpr, 0
	.set _ZN9rocsparseL19gebsrmvn_4xn_kernelILj128ELj3ELj16E21rocsparse_complex_numIdEEEvi20rocsparse_direction_NS_24const_host_device_scalarIT2_EEPKiS8_PKS5_SA_S6_PS5_21rocsparse_index_base_b.numbered_sgpr, 14
	.set _ZN9rocsparseL19gebsrmvn_4xn_kernelILj128ELj3ELj16E21rocsparse_complex_numIdEEEvi20rocsparse_direction_NS_24const_host_device_scalarIT2_EEPKiS8_PKS5_SA_S6_PS5_21rocsparse_index_base_b.num_named_barrier, 0
	.set _ZN9rocsparseL19gebsrmvn_4xn_kernelILj128ELj3ELj16E21rocsparse_complex_numIdEEEvi20rocsparse_direction_NS_24const_host_device_scalarIT2_EEPKiS8_PKS5_SA_S6_PS5_21rocsparse_index_base_b.private_seg_size, 0
	.set _ZN9rocsparseL19gebsrmvn_4xn_kernelILj128ELj3ELj16E21rocsparse_complex_numIdEEEvi20rocsparse_direction_NS_24const_host_device_scalarIT2_EEPKiS8_PKS5_SA_S6_PS5_21rocsparse_index_base_b.uses_vcc, 1
	.set _ZN9rocsparseL19gebsrmvn_4xn_kernelILj128ELj3ELj16E21rocsparse_complex_numIdEEEvi20rocsparse_direction_NS_24const_host_device_scalarIT2_EEPKiS8_PKS5_SA_S6_PS5_21rocsparse_index_base_b.uses_flat_scratch, 0
	.set _ZN9rocsparseL19gebsrmvn_4xn_kernelILj128ELj3ELj16E21rocsparse_complex_numIdEEEvi20rocsparse_direction_NS_24const_host_device_scalarIT2_EEPKiS8_PKS5_SA_S6_PS5_21rocsparse_index_base_b.has_dyn_sized_stack, 0
	.set _ZN9rocsparseL19gebsrmvn_4xn_kernelILj128ELj3ELj16E21rocsparse_complex_numIdEEEvi20rocsparse_direction_NS_24const_host_device_scalarIT2_EEPKiS8_PKS5_SA_S6_PS5_21rocsparse_index_base_b.has_recursion, 0
	.set _ZN9rocsparseL19gebsrmvn_4xn_kernelILj128ELj3ELj16E21rocsparse_complex_numIdEEEvi20rocsparse_direction_NS_24const_host_device_scalarIT2_EEPKiS8_PKS5_SA_S6_PS5_21rocsparse_index_base_b.has_indirect_call, 0
	.section	.AMDGPU.csdata,"",@progbits
; Kernel info:
; codeLenInByte = 2992
; TotalNumSgprs: 16
; NumVgprs: 90
; ScratchSize: 0
; MemoryBound: 0
; FloatMode: 240
; IeeeMode: 1
; LDSByteSize: 0 bytes/workgroup (compile time only)
; SGPRBlocks: 0
; VGPRBlocks: 5
; NumSGPRsForWavesPerEU: 16
; NumVGPRsForWavesPerEU: 90
; NamedBarCnt: 0
; Occupancy: 10
; WaveLimiterHint : 1
; COMPUTE_PGM_RSRC2:SCRATCH_EN: 0
; COMPUTE_PGM_RSRC2:USER_SGPR: 2
; COMPUTE_PGM_RSRC2:TRAP_HANDLER: 0
; COMPUTE_PGM_RSRC2:TGID_X_EN: 1
; COMPUTE_PGM_RSRC2:TGID_Y_EN: 0
; COMPUTE_PGM_RSRC2:TGID_Z_EN: 0
; COMPUTE_PGM_RSRC2:TIDIG_COMP_CNT: 0
	.section	.text._ZN9rocsparseL19gebsrmvn_4xn_kernelILj128ELj3ELj32E21rocsparse_complex_numIdEEEvi20rocsparse_direction_NS_24const_host_device_scalarIT2_EEPKiS8_PKS5_SA_S6_PS5_21rocsparse_index_base_b,"axG",@progbits,_ZN9rocsparseL19gebsrmvn_4xn_kernelILj128ELj3ELj32E21rocsparse_complex_numIdEEEvi20rocsparse_direction_NS_24const_host_device_scalarIT2_EEPKiS8_PKS5_SA_S6_PS5_21rocsparse_index_base_b,comdat
	.globl	_ZN9rocsparseL19gebsrmvn_4xn_kernelILj128ELj3ELj32E21rocsparse_complex_numIdEEEvi20rocsparse_direction_NS_24const_host_device_scalarIT2_EEPKiS8_PKS5_SA_S6_PS5_21rocsparse_index_base_b ; -- Begin function _ZN9rocsparseL19gebsrmvn_4xn_kernelILj128ELj3ELj32E21rocsparse_complex_numIdEEEvi20rocsparse_direction_NS_24const_host_device_scalarIT2_EEPKiS8_PKS5_SA_S6_PS5_21rocsparse_index_base_b
	.p2align	8
	.type	_ZN9rocsparseL19gebsrmvn_4xn_kernelILj128ELj3ELj32E21rocsparse_complex_numIdEEEvi20rocsparse_direction_NS_24const_host_device_scalarIT2_EEPKiS8_PKS5_SA_S6_PS5_21rocsparse_index_base_b,@function
_ZN9rocsparseL19gebsrmvn_4xn_kernelILj128ELj3ELj32E21rocsparse_complex_numIdEEEvi20rocsparse_direction_NS_24const_host_device_scalarIT2_EEPKiS8_PKS5_SA_S6_PS5_21rocsparse_index_base_b: ; @_ZN9rocsparseL19gebsrmvn_4xn_kernelILj128ELj3ELj32E21rocsparse_complex_numIdEEEvi20rocsparse_direction_NS_24const_host_device_scalarIT2_EEPKiS8_PKS5_SA_S6_PS5_21rocsparse_index_base_b
; %bb.0:
	s_clause 0x1
	s_load_b64 s[12:13], s[0:1], 0x50
	s_load_b64 s[2:3], s[0:1], 0x8
	v_mov_b32_e32 v1, 0
	s_add_nc_u64 s[4:5], s[0:1], 8
	s_load_b64 s[6:7], s[0:1], 0x38
	s_wait_kmcnt 0x0
	s_bitcmp1_b32 s13, 0
	s_cselect_b32 s3, s5, s3
	s_cselect_b32 s2, s4, s2
	flat_load_b128 v[2:5], v1, s[2:3]
	s_wait_xcnt 0x0
	s_add_nc_u64 s[2:3], s[0:1], 56
	s_delay_alu instid0(SALU_CYCLE_1)
	s_cselect_b32 s3, s3, s7
	s_cselect_b32 s2, s2, s6
	flat_load_b128 v[6:9], v1, s[2:3]
	s_wait_loadcnt_dscnt 0x101
	v_cmp_eq_f64_e32 vcc_lo, 0, v[2:3]
	s_wait_xcnt 0x0
	v_cmp_eq_f64_e64 s2, 0, v[4:5]
	s_and_b32 s4, vcc_lo, s2
	s_mov_b32 s2, -1
	s_and_saveexec_b32 s3, s4
	s_cbranch_execz .LBB124_2
; %bb.1:
	s_wait_loadcnt_dscnt 0x0
	v_cmp_neq_f64_e32 vcc_lo, 1.0, v[6:7]
	v_cmp_neq_f64_e64 s2, 0, v[8:9]
	s_or_b32 s2, vcc_lo, s2
	s_delay_alu instid0(SALU_CYCLE_1)
	s_or_not1_b32 s2, s2, exec_lo
.LBB124_2:
	s_or_b32 exec_lo, exec_lo, s3
	s_and_saveexec_b32 s3, s2
	s_cbranch_execz .LBB124_21
; %bb.3:
	s_load_b64 s[2:3], s[0:1], 0x0
	s_bfe_u32 s4, ttmp6, 0x4000c
	s_and_b32 s5, ttmp6, 15
	s_add_co_i32 s4, s4, 1
	s_getreg_b32 s6, hwreg(HW_REG_IB_STS2, 6, 4)
	s_mul_i32 s4, ttmp9, s4
	v_lshrrev_b32_e32 v1, 5, v0
	s_add_co_i32 s5, s5, s4
	s_cmp_eq_u32 s6, 0
	s_cselect_b32 s4, ttmp9, s5
	s_delay_alu instid0(VALU_DEP_1) | instid1(SALU_CYCLE_1)
	v_lshl_or_b32 v10, s4, 2, v1
	s_wait_kmcnt 0x0
	s_delay_alu instid0(VALU_DEP_1)
	v_cmp_gt_i32_e32 vcc_lo, s2, v10
	s_and_b32 exec_lo, exec_lo, vcc_lo
	s_cbranch_execz .LBB124_21
; %bb.4:
	s_load_b256 s[4:11], s[0:1], 0x18
	v_ashrrev_i32_e32 v11, 31, v10
	s_cmp_lg_u32 s3, 0
	s_wait_kmcnt 0x0
	s_delay_alu instid0(VALU_DEP_1)
	v_lshl_add_u64 v[12:13], v[10:11], 2, s[4:5]
	v_and_b32_e32 v11, 31, v0
	global_load_b64 v[12:13], v[12:13], off
	s_wait_loadcnt 0x0
	v_subrev_nc_u32_e32 v0, s12, v12
	v_subrev_nc_u32_e32 v26, s12, v13
	s_delay_alu instid0(VALU_DEP_2) | instskip(NEXT) | instid1(VALU_DEP_1)
	v_add_nc_u32_e32 v27, v0, v11
	v_cmp_lt_i32_e64 s2, v27, v26
	s_cbranch_scc0 .LBB124_10
; %bb.5:
	v_mov_b64_e32 v[0:1], 0
	v_mov_b64_e32 v[20:21], 0
	;; [unrolled: 1-line block ×8, first 2 shown]
	s_and_saveexec_b32 s3, s2
	s_cbranch_execz .LBB124_9
; %bb.6:
	v_mul_lo_u32 v28, v27, 12
	v_mov_b64_e32 v[0:1], 0
	v_mov_b64_e32 v[20:21], 0
	;; [unrolled: 1-line block ×8, first 2 shown]
	v_mov_b32_e32 v29, v27
	s_mov_b32 s4, 0
.LBB124_7:                              ; =>This Inner Loop Header: Depth=1
	global_load_b32 v46, v29, s[6:7] scale_offset
	s_clause 0x3
	global_load_b128 v[30:33], v28, s[8:9] offset:48 scale_offset
	global_load_b128 v[34:37], v28, s[8:9] offset:32 scale_offset
	global_load_b128 v[38:41], v28, s[8:9] offset:16 scale_offset
	global_load_b128 v[42:45], v28, s[8:9] scale_offset
	v_dual_add_nc_u32 v66, 4, v28 :: v_dual_add_nc_u32 v87, 8, v28
	s_wait_xcnt 0x4
	v_add_nc_u32_e32 v29, 32, v29
	s_wait_xcnt 0x0
	v_add_nc_u32_e32 v28, 0x180, v28
	s_delay_alu instid0(VALU_DEP_2) | instskip(SKIP_3) | instid1(VALU_DEP_1)
	v_cmp_ge_i32_e32 vcc_lo, v29, v26
	s_or_b32 s4, vcc_lo, s4
	s_wait_loadcnt 0x4
	v_subrev_nc_u32_e32 v46, s12, v46
	v_lshl_add_u32 v86, v46, 1, v46
	global_load_b128 v[46:49], v86, s[10:11] scale_offset
	s_clause 0x3
	global_load_b128 v[50:53], v66, s[8:9] offset:48 scale_offset
	global_load_b128 v[54:57], v66, s[8:9] offset:32 scale_offset
	;; [unrolled: 1-line block ×3, first 2 shown]
	global_load_b128 v[62:65], v66, s[8:9] scale_offset
	s_wait_xcnt 0x0
	v_dual_add_nc_u32 v66, 1, v86 :: v_dual_add_nc_u32 v86, 2, v86
	global_load_b128 v[66:69], v66, s[10:11] scale_offset
	s_clause 0x3
	global_load_b128 v[70:73], v87, s[8:9] offset:48 scale_offset
	global_load_b128 v[74:77], v87, s[8:9] offset:32 scale_offset
	;; [unrolled: 1-line block ×3, first 2 shown]
	global_load_b128 v[82:85], v87, s[8:9] scale_offset
	global_load_b128 v[86:89], v86, s[10:11] scale_offset
	s_wait_loadcnt 0xa
	v_fmac_f64_e32 v[20:21], v[42:43], v[46:47]
	v_fmac_f64_e32 v[0:1], v[44:45], v[46:47]
	v_fmac_f64_e32 v[24:25], v[38:39], v[46:47]
	v_fmac_f64_e32 v[16:17], v[40:41], v[46:47]
	v_fmac_f64_e32 v[22:23], v[34:35], v[46:47]
	v_fmac_f64_e32 v[14:15], v[36:37], v[46:47]
	v_fmac_f64_e32 v[18:19], v[30:31], v[46:47]
	v_fmac_f64_e32 v[12:13], v[32:33], v[46:47]
	v_fma_f64 v[20:21], -v[44:45], v[48:49], v[20:21]
	v_fmac_f64_e32 v[0:1], v[42:43], v[48:49]
	v_fma_f64 v[24:25], -v[40:41], v[48:49], v[24:25]
	v_fmac_f64_e32 v[16:17], v[38:39], v[48:49]
	v_fma_f64 v[22:23], -v[36:37], v[48:49], v[22:23]
	v_fmac_f64_e32 v[14:15], v[34:35], v[48:49]
	v_fma_f64 v[18:19], -v[32:33], v[48:49], v[18:19]
	v_fmac_f64_e32 v[12:13], v[30:31], v[48:49]
	s_wait_loadcnt 0x5
	v_fmac_f64_e32 v[20:21], v[62:63], v[66:67]
	v_fmac_f64_e32 v[0:1], v[64:65], v[66:67]
	v_fmac_f64_e32 v[24:25], v[58:59], v[66:67]
	v_fmac_f64_e32 v[16:17], v[60:61], v[66:67]
	v_fmac_f64_e32 v[22:23], v[54:55], v[66:67]
	v_fmac_f64_e32 v[14:15], v[56:57], v[66:67]
	v_fmac_f64_e32 v[18:19], v[50:51], v[66:67]
	v_fmac_f64_e32 v[12:13], v[52:53], v[66:67]
	v_fma_f64 v[20:21], -v[64:65], v[68:69], v[20:21]
	v_fmac_f64_e32 v[0:1], v[62:63], v[68:69]
	v_fma_f64 v[24:25], -v[60:61], v[68:69], v[24:25]
	v_fmac_f64_e32 v[16:17], v[58:59], v[68:69]
	v_fma_f64 v[22:23], -v[56:57], v[68:69], v[22:23]
	v_fmac_f64_e32 v[14:15], v[54:55], v[68:69]
	v_fma_f64 v[18:19], -v[52:53], v[68:69], v[18:19]
	v_fmac_f64_e32 v[12:13], v[50:51], v[68:69]
	;; [unrolled: 17-line block ×3, first 2 shown]
	s_and_not1_b32 exec_lo, exec_lo, s4
	s_cbranch_execnz .LBB124_7
; %bb.8:
	s_or_b32 exec_lo, exec_lo, s4
.LBB124_9:
	s_delay_alu instid0(SALU_CYCLE_1)
	s_or_b32 exec_lo, exec_lo, s3
	s_cbranch_execz .LBB124_11
	s_branch .LBB124_16
.LBB124_10:
                                        ; implicit-def: $vgpr0_vgpr1
                                        ; implicit-def: $vgpr20_vgpr21
                                        ; implicit-def: $vgpr18_vgpr19
                                        ; implicit-def: $vgpr12_vgpr13
                                        ; implicit-def: $vgpr22_vgpr23
                                        ; implicit-def: $vgpr14_vgpr15
                                        ; implicit-def: $vgpr24_vgpr25
                                        ; implicit-def: $vgpr16_vgpr17
.LBB124_11:
	v_mov_b64_e32 v[0:1], 0
	v_mov_b64_e32 v[20:21], 0
	;; [unrolled: 1-line block ×8, first 2 shown]
	s_and_saveexec_b32 s3, s2
	s_cbranch_execz .LBB124_15
; %bb.12:
	v_mad_u32 v28, v27, 12, 11
	v_mov_b64_e32 v[0:1], 0
	v_mov_b64_e32 v[20:21], 0
	;; [unrolled: 1-line block ×8, first 2 shown]
	s_mov_b32 s2, 0
.LBB124_13:                             ; =>This Inner Loop Header: Depth=1
	global_load_b32 v29, v27, s[6:7] scale_offset
	v_dual_add_nc_u32 v86, -11, v28 :: v_dual_add_nc_u32 v50, -5, v28
	v_dual_add_nc_u32 v51, -2, v28 :: v_dual_add_nc_u32 v66, -7, v28
	s_clause 0x4
	global_load_b128 v[30:33], v86, s[8:9] offset:48 scale_offset
	global_load_b128 v[34:37], v86, s[8:9] offset:16 scale_offset
	global_load_b128 v[38:41], v86, s[8:9] scale_offset
	global_load_b128 v[42:45], v50, s[8:9] scale_offset
	;; [unrolled: 1-line block ×3, first 2 shown]
	v_dual_add_nc_u32 v67, -4, v28 :: v_dual_add_nc_u32 v68, -1, v28
	s_wait_xcnt 0x5
	v_dual_add_nc_u32 v87, -6, v28 :: v_dual_add_nc_u32 v27, 32, v27
	s_delay_alu instid0(VALU_DEP_1) | instskip(SKIP_3) | instid1(VALU_DEP_1)
	v_cmp_ge_i32_e32 vcc_lo, v27, v26
	s_or_b32 s2, vcc_lo, s2
	s_wait_loadcnt 0x5
	v_subrev_nc_u32_e32 v29, s12, v29
	v_lshl_add_u32 v29, v29, 1, v29
	v_add_nc_u32_e32 v88, -3, v28
	global_load_b128 v[50:53], v29, s[10:11] scale_offset
	s_clause 0x2
	global_load_b128 v[54:57], v66, s[8:9] scale_offset
	global_load_b128 v[58:61], v67, s[8:9] scale_offset
	;; [unrolled: 1-line block ×3, first 2 shown]
	s_wait_xcnt 0x2
	v_dual_add_nc_u32 v66, 1, v29 :: v_dual_add_nc_u32 v29, 2, v29
	global_load_b128 v[66:69], v66, s[10:11] scale_offset
	s_clause 0x3
	global_load_b128 v[70:73], v28, s[8:9] scale_offset
	global_load_b128 v[74:77], v86, s[8:9] offset:32 scale_offset
	global_load_b128 v[78:81], v87, s[8:9] scale_offset
	global_load_b128 v[82:85], v88, s[8:9] scale_offset
	;; [unrolled: 1-line block ×3, first 2 shown]
	v_add_nc_u32_e32 v28, 0x180, v28
	s_wait_loadcnt 0x9
	v_fmac_f64_e32 v[20:21], v[38:39], v[50:51]
	v_fmac_f64_e32 v[0:1], v[40:41], v[50:51]
	v_fmac_f64_e32 v[24:25], v[30:31], v[50:51]
	v_fmac_f64_e32 v[16:17], v[32:33], v[50:51]
	v_fmac_f64_e32 v[22:23], v[42:43], v[50:51]
	v_fmac_f64_e32 v[14:15], v[44:45], v[50:51]
	v_fmac_f64_e32 v[18:19], v[46:47], v[50:51]
	v_fmac_f64_e32 v[12:13], v[48:49], v[50:51]
	v_fma_f64 v[20:21], -v[40:41], v[52:53], v[20:21]
	v_fmac_f64_e32 v[0:1], v[38:39], v[52:53]
	v_fma_f64 v[24:25], -v[32:33], v[52:53], v[24:25]
	v_fmac_f64_e32 v[16:17], v[30:31], v[52:53]
	v_fma_f64 v[22:23], -v[44:45], v[52:53], v[22:23]
	v_fmac_f64_e32 v[14:15], v[42:43], v[52:53]
	v_fma_f64 v[18:19], -v[48:49], v[52:53], v[18:19]
	v_fmac_f64_e32 v[12:13], v[46:47], v[52:53]
	s_wait_loadcnt 0x5
	v_fmac_f64_e32 v[20:21], v[34:35], v[66:67]
	v_fmac_f64_e32 v[0:1], v[36:37], v[66:67]
	v_fmac_f64_e32 v[24:25], v[54:55], v[66:67]
	v_fmac_f64_e32 v[16:17], v[56:57], v[66:67]
	v_fmac_f64_e32 v[22:23], v[58:59], v[66:67]
	v_fmac_f64_e32 v[14:15], v[60:61], v[66:67]
	v_fmac_f64_e32 v[18:19], v[62:63], v[66:67]
	v_fmac_f64_e32 v[12:13], v[64:65], v[66:67]
	v_fma_f64 v[20:21], -v[36:37], v[68:69], v[20:21]
	v_fmac_f64_e32 v[0:1], v[34:35], v[68:69]
	v_fma_f64 v[24:25], -v[56:57], v[68:69], v[24:25]
	v_fmac_f64_e32 v[16:17], v[54:55], v[68:69]
	v_fma_f64 v[22:23], -v[60:61], v[68:69], v[22:23]
	v_fmac_f64_e32 v[14:15], v[58:59], v[68:69]
	v_fma_f64 v[18:19], -v[64:65], v[68:69], v[18:19]
	v_fmac_f64_e32 v[12:13], v[62:63], v[68:69]
	;; [unrolled: 17-line block ×3, first 2 shown]
	s_and_not1_b32 exec_lo, exec_lo, s2
	s_cbranch_execnz .LBB124_13
; %bb.14:
	s_or_b32 exec_lo, exec_lo, s2
.LBB124_15:
	s_delay_alu instid0(SALU_CYCLE_1)
	s_or_b32 exec_lo, exec_lo, s3
.LBB124_16:
	v_mbcnt_lo_u32_b32 v44, -1, 0
	s_delay_alu instid0(VALU_DEP_1) | instskip(NEXT) | instid1(VALU_DEP_1)
	v_xor_b32_e32 v26, 16, v44
	v_cmp_gt_i32_e32 vcc_lo, 32, v26
	v_cndmask_b32_e32 v26, v44, v26, vcc_lo
	s_delay_alu instid0(VALU_DEP_1)
	v_lshlrev_b32_e32 v41, 2, v26
	ds_bpermute_b32 v28, v41, v0
	ds_bpermute_b32 v29, v41, v1
	s_wait_dscnt 0x0
	v_add_f64_e32 v[0:1], v[0:1], v[28:29]
	ds_bpermute_b32 v26, v41, v20
	ds_bpermute_b32 v27, v41, v21
	;; [unrolled: 1-line block ×14, first 2 shown]
	s_wait_dscnt 0xc
	v_dual_add_f64 v[20:21], v[20:21], v[26:27] :: v_dual_bitop2_b32 v26, 8, v44 bitop3:0x14
	s_wait_dscnt 0xa
	v_add_f64_e32 v[14:15], v[14:15], v[36:37]
	s_wait_dscnt 0x8
	v_add_f64_e32 v[24:25], v[24:25], v[30:31]
	v_cmp_gt_i32_e32 vcc_lo, 32, v26
	s_wait_dscnt 0x4
	v_add_f64_e32 v[22:23], v[22:23], v[34:35]
	s_wait_dscnt 0x2
	v_add_f64_e32 v[18:19], v[18:19], v[38:39]
	v_cndmask_b32_e32 v26, v44, v26, vcc_lo
	v_add_f64_e32 v[16:17], v[16:17], v[32:33]
	s_wait_dscnt 0x0
	s_delay_alu instid0(VALU_DEP_2)
	v_dual_add_f64 v[12:13], v[12:13], v[40:41] :: v_dual_lshlrev_b32 v41, 2, v26
	ds_bpermute_b32 v28, v41, v0
	ds_bpermute_b32 v29, v41, v1
	;; [unrolled: 1-line block ×8, first 2 shown]
	s_wait_dscnt 0x6
	v_add_f64_e32 v[0:1], v[0:1], v[28:29]
	ds_bpermute_b32 v38, v41, v18
	ds_bpermute_b32 v32, v41, v16
	;; [unrolled: 1-line block ×5, first 2 shown]
	s_wait_dscnt 0x9
	v_dual_add_f64 v[20:21], v[20:21], v[26:27] :: v_dual_bitop2_b32 v26, 4, v44 bitop3:0x14
	ds_bpermute_b32 v34, v41, v22
	ds_bpermute_b32 v35, v41, v23
	;; [unrolled: 1-line block ×3, first 2 shown]
	s_wait_dscnt 0xa
	v_add_f64_e32 v[14:15], v[14:15], v[36:37]
	v_cmp_gt_i32_e32 vcc_lo, 32, v26
	s_wait_dscnt 0x8
	v_add_f64_e32 v[24:25], v[24:25], v[30:31]
	v_cndmask_b32_e32 v26, v44, v26, vcc_lo
	s_wait_dscnt 0x5
	v_add_f64_e32 v[16:17], v[16:17], v[32:33]
	s_wait_dscnt 0x0
	s_delay_alu instid0(VALU_DEP_2)
	v_dual_add_f64 v[12:13], v[12:13], v[40:41] :: v_dual_lshlrev_b32 v41, 2, v26
	ds_bpermute_b32 v28, v41, v0
	ds_bpermute_b32 v29, v41, v1
	;; [unrolled: 1-line block ×10, first 2 shown]
	s_wait_dscnt 0x6
	v_add_f64_e32 v[20:21], v[20:21], v[26:27]
	v_add_f64_e32 v[26:27], v[0:1], v[28:29]
	v_dual_add_f64 v[18:19], v[18:19], v[38:39] :: v_dual_bitop2_b32 v0, 2, v44 bitop3:0x14
	ds_bpermute_b32 v40, v41, v12
	v_cmp_gt_i32_e32 vcc_lo, 32, v0
	v_add_f64_e32 v[22:23], v[22:23], v[34:35]
	s_wait_dscnt 0x3
	v_add_f64_e32 v[28:29], v[24:25], v[30:31]
	v_cndmask_b32_e32 v0, v44, v0, vcc_lo
	s_wait_dscnt 0x1
	v_add_f64_e32 v[16:17], v[16:17], v[32:33]
	v_add_f64_e32 v[32:33], v[14:15], v[36:37]
	s_delay_alu instid0(VALU_DEP_3)
	v_lshlrev_b32_e32 v24, 2, v0
	ds_bpermute_b32 v0, v24, v20
	ds_bpermute_b32 v1, v24, v21
	;; [unrolled: 1-line block ×9, first 2 shown]
	s_wait_dscnt 0x7
	v_add_f64_e32 v[0:1], v[20:21], v[0:1]
	s_wait_dscnt 0x5
	v_add_f64_e32 v[18:19], v[18:19], v[38:39]
	ds_bpermute_b32 v38, v24, v32
	ds_bpermute_b32 v39, v24, v33
	s_wait_dscnt 0x5
	v_add_f64_e32 v[30:31], v[22:23], v[34:35]
	s_wait_dscnt 0x4
	v_add_f64_e32 v[34:35], v[12:13], v[40:41]
	ds_bpermute_b32 v12, v24, v26
	ds_bpermute_b32 v13, v24, v27
	;; [unrolled: 1-line block ×4, first 2 shown]
	s_wait_dscnt 0x4
	v_add_f64_e32 v[20:21], v[32:33], v[38:39]
	s_wait_dscnt 0x0
	v_add_f64_e32 v[22:23], v[16:17], v[22:23]
	ds_bpermute_b32 v40, v24, v18
	ds_bpermute_b32 v41, v24, v19
	;; [unrolled: 1-line block ×6, first 2 shown]
	v_add_f64_e32 v[24:25], v[26:27], v[12:13]
	v_dual_add_f64 v[12:13], v[28:29], v[14:15] :: v_dual_bitop2_b32 v26, 1, v44 bitop3:0x14
	s_delay_alu instid0(VALU_DEP_1) | instskip(SKIP_4) | instid1(VALU_DEP_2)
	v_cmp_gt_i32_e32 vcc_lo, 32, v26
	s_wait_dscnt 0x4
	v_dual_add_f64 v[16:17], v[18:19], v[40:41] :: v_dual_cndmask_b32 v26, v44, v26, vcc_lo
	v_cmp_eq_u32_e32 vcc_lo, 31, v11
	s_wait_dscnt 0x2
	v_dual_add_f64 v[14:15], v[30:31], v[36:37] :: v_dual_lshlrev_b32 v29, 2, v26
	s_wait_dscnt 0x0
	v_add_f64_e32 v[18:19], v[34:35], v[42:43]
	ds_bpermute_b32 v40, v29, v0
	ds_bpermute_b32 v41, v29, v1
	;; [unrolled: 1-line block ×16, first 2 shown]
	s_and_b32 exec_lo, exec_lo, vcc_lo
	s_cbranch_execz .LBB124_21
; %bb.17:
	v_cmp_eq_f64_e32 vcc_lo, 0, v[6:7]
	v_cmp_eq_f64_e64 s2, 0, v[8:9]
	s_wait_dscnt 0xe
	v_add_f64_e32 v[0:1], v[0:1], v[40:41]
	s_wait_dscnt 0x8
	v_add_f64_e32 v[24:25], v[24:25], v[38:39]
	;; [unrolled: 2-line block ×3, first 2 shown]
	v_add_f64_e32 v[22:23], v[22:23], v[34:35]
	s_wait_dscnt 0x2
	v_add_f64_e32 v[14:15], v[14:15], v[32:33]
	v_add_f64_e32 v[20:21], v[20:21], v[30:31]
	;; [unrolled: 1-line block ×3, first 2 shown]
	s_wait_dscnt 0x0
	v_add_f64_e32 v[18:19], v[18:19], v[28:29]
	s_load_b64 s[0:1], s[0:1], 0x48
	s_and_b32 s2, vcc_lo, s2
	s_delay_alu instid0(SALU_CYCLE_1) | instskip(NEXT) | instid1(SALU_CYCLE_1)
	s_and_saveexec_b32 s3, s2
	s_xor_b32 s2, exec_lo, s3
	s_cbranch_execz .LBB124_19
; %bb.18:
	v_mul_f64_e64 v[6:7], v[24:25], -v[4:5]
	v_mul_f64_e32 v[8:9], v[2:3], v[24:25]
	v_mul_f64_e64 v[24:25], v[22:23], -v[4:5]
	v_mul_f64_e32 v[26:27], v[2:3], v[22:23]
	v_mul_f64_e64 v[28:29], v[20:21], -v[4:5]
	v_mul_f64_e32 v[30:31], v[2:3], v[20:21]
	v_mul_f64_e64 v[20:21], v[18:19], -v[4:5]
	v_mul_f64_e32 v[22:23], v[2:3], v[18:19]
                                        ; implicit-def: $vgpr18_vgpr19
	v_fmac_f64_e32 v[6:7], v[2:3], v[0:1]
	v_fmac_f64_e32 v[8:9], v[4:5], v[0:1]
	;; [unrolled: 1-line block ×8, first 2 shown]
	v_lshlrev_b32_e32 v0, 2, v10
                                        ; implicit-def: $vgpr10
                                        ; implicit-def: $vgpr12_vgpr13
                                        ; implicit-def: $vgpr14_vgpr15
                                        ; implicit-def: $vgpr16_vgpr17
                                        ; implicit-def: $vgpr4_vgpr5
	s_wait_kmcnt 0x0
	s_clause 0x3
	global_store_b128 v0, v[6:9], s[0:1] scale_offset
	global_store_b128 v0, v[24:27], s[0:1] offset:16 scale_offset
	global_store_b128 v0, v[28:31], s[0:1] offset:32 scale_offset
	;; [unrolled: 1-line block ×3, first 2 shown]
                                        ; implicit-def: $vgpr0_vgpr1
                                        ; implicit-def: $vgpr24_vgpr25
                                        ; implicit-def: $vgpr22_vgpr23
                                        ; implicit-def: $vgpr20_vgpr21
                                        ; implicit-def: $vgpr8_vgpr9
.LBB124_19:
	s_wait_xcnt 0x0
	s_and_not1_saveexec_b32 s2, s2
	s_cbranch_execz .LBB124_21
; %bb.20:
	v_dual_mul_f64 v[42:43], v[24:25], -v[4:5] :: v_dual_lshlrev_b32 v52, 2, v10
	v_mul_f64_e32 v[24:25], v[2:3], v[24:25]
	v_mul_f64_e64 v[46:47], v[22:23], -v[4:5]
	v_mul_f64_e32 v[44:45], v[2:3], v[22:23]
	s_wait_kmcnt 0x0
	s_clause 0x3
	global_load_b128 v[26:29], v52, s[0:1] scale_offset
	global_load_b128 v[30:33], v52, s[0:1] offset:16 scale_offset
	global_load_b128 v[34:37], v52, s[0:1] offset:32 scale_offset
	;; [unrolled: 1-line block ×3, first 2 shown]
	v_mul_f64_e64 v[48:49], v[20:21], -v[4:5]
	v_mul_f64_e32 v[20:21], v[2:3], v[20:21]
	v_mul_f64_e64 v[50:51], v[18:19], -v[4:5]
	v_mul_f64_e32 v[10:11], v[2:3], v[18:19]
	v_fmac_f64_e32 v[42:43], v[2:3], v[0:1]
	v_fmac_f64_e32 v[24:25], v[4:5], v[0:1]
	;; [unrolled: 1-line block ×8, first 2 shown]
	s_wait_loadcnt 0x3
	v_fmac_f64_e32 v[42:43], v[6:7], v[26:27]
	v_fmac_f64_e32 v[24:25], v[8:9], v[26:27]
	s_wait_loadcnt 0x2
	v_fmac_f64_e32 v[46:47], v[6:7], v[30:31]
	v_fmac_f64_e32 v[44:45], v[8:9], v[30:31]
	;; [unrolled: 3-line block ×4, first 2 shown]
	v_fma_f64 v[22:23], -v[8:9], v[28:29], v[42:43]
	v_fmac_f64_e32 v[24:25], v[6:7], v[28:29]
	v_fma_f64 v[42:43], -v[8:9], v[32:33], v[46:47]
	v_fmac_f64_e32 v[44:45], v[6:7], v[32:33]
	;; [unrolled: 2-line block ×4, first 2 shown]
	s_clause 0x3
	global_store_b128 v52, v[22:25], s[0:1] scale_offset
	global_store_b128 v52, v[42:45], s[0:1] offset:16 scale_offset
	global_store_b128 v52, v[18:21], s[0:1] offset:32 scale_offset
	;; [unrolled: 1-line block ×3, first 2 shown]
.LBB124_21:
	s_sendmsg sendmsg(MSG_DEALLOC_VGPRS)
	s_endpgm
	.section	.rodata,"a",@progbits
	.p2align	6, 0x0
	.amdhsa_kernel _ZN9rocsparseL19gebsrmvn_4xn_kernelILj128ELj3ELj32E21rocsparse_complex_numIdEEEvi20rocsparse_direction_NS_24const_host_device_scalarIT2_EEPKiS8_PKS5_SA_S6_PS5_21rocsparse_index_base_b
		.amdhsa_group_segment_fixed_size 0
		.amdhsa_private_segment_fixed_size 0
		.amdhsa_kernarg_size 88
		.amdhsa_user_sgpr_count 2
		.amdhsa_user_sgpr_dispatch_ptr 0
		.amdhsa_user_sgpr_queue_ptr 0
		.amdhsa_user_sgpr_kernarg_segment_ptr 1
		.amdhsa_user_sgpr_dispatch_id 0
		.amdhsa_user_sgpr_kernarg_preload_length 0
		.amdhsa_user_sgpr_kernarg_preload_offset 0
		.amdhsa_user_sgpr_private_segment_size 0
		.amdhsa_wavefront_size32 1
		.amdhsa_uses_dynamic_stack 0
		.amdhsa_enable_private_segment 0
		.amdhsa_system_sgpr_workgroup_id_x 1
		.amdhsa_system_sgpr_workgroup_id_y 0
		.amdhsa_system_sgpr_workgroup_id_z 0
		.amdhsa_system_sgpr_workgroup_info 0
		.amdhsa_system_vgpr_workitem_id 0
		.amdhsa_next_free_vgpr 90
		.amdhsa_next_free_sgpr 14
		.amdhsa_named_barrier_count 0
		.amdhsa_reserve_vcc 1
		.amdhsa_float_round_mode_32 0
		.amdhsa_float_round_mode_16_64 0
		.amdhsa_float_denorm_mode_32 3
		.amdhsa_float_denorm_mode_16_64 3
		.amdhsa_fp16_overflow 0
		.amdhsa_memory_ordered 1
		.amdhsa_forward_progress 1
		.amdhsa_inst_pref_size 26
		.amdhsa_round_robin_scheduling 0
		.amdhsa_exception_fp_ieee_invalid_op 0
		.amdhsa_exception_fp_denorm_src 0
		.amdhsa_exception_fp_ieee_div_zero 0
		.amdhsa_exception_fp_ieee_overflow 0
		.amdhsa_exception_fp_ieee_underflow 0
		.amdhsa_exception_fp_ieee_inexact 0
		.amdhsa_exception_int_div_zero 0
	.end_amdhsa_kernel
	.section	.text._ZN9rocsparseL19gebsrmvn_4xn_kernelILj128ELj3ELj32E21rocsparse_complex_numIdEEEvi20rocsparse_direction_NS_24const_host_device_scalarIT2_EEPKiS8_PKS5_SA_S6_PS5_21rocsparse_index_base_b,"axG",@progbits,_ZN9rocsparseL19gebsrmvn_4xn_kernelILj128ELj3ELj32E21rocsparse_complex_numIdEEEvi20rocsparse_direction_NS_24const_host_device_scalarIT2_EEPKiS8_PKS5_SA_S6_PS5_21rocsparse_index_base_b,comdat
.Lfunc_end124:
	.size	_ZN9rocsparseL19gebsrmvn_4xn_kernelILj128ELj3ELj32E21rocsparse_complex_numIdEEEvi20rocsparse_direction_NS_24const_host_device_scalarIT2_EEPKiS8_PKS5_SA_S6_PS5_21rocsparse_index_base_b, .Lfunc_end124-_ZN9rocsparseL19gebsrmvn_4xn_kernelILj128ELj3ELj32E21rocsparse_complex_numIdEEEvi20rocsparse_direction_NS_24const_host_device_scalarIT2_EEPKiS8_PKS5_SA_S6_PS5_21rocsparse_index_base_b
                                        ; -- End function
	.set _ZN9rocsparseL19gebsrmvn_4xn_kernelILj128ELj3ELj32E21rocsparse_complex_numIdEEEvi20rocsparse_direction_NS_24const_host_device_scalarIT2_EEPKiS8_PKS5_SA_S6_PS5_21rocsparse_index_base_b.num_vgpr, 90
	.set _ZN9rocsparseL19gebsrmvn_4xn_kernelILj128ELj3ELj32E21rocsparse_complex_numIdEEEvi20rocsparse_direction_NS_24const_host_device_scalarIT2_EEPKiS8_PKS5_SA_S6_PS5_21rocsparse_index_base_b.num_agpr, 0
	.set _ZN9rocsparseL19gebsrmvn_4xn_kernelILj128ELj3ELj32E21rocsparse_complex_numIdEEEvi20rocsparse_direction_NS_24const_host_device_scalarIT2_EEPKiS8_PKS5_SA_S6_PS5_21rocsparse_index_base_b.numbered_sgpr, 14
	.set _ZN9rocsparseL19gebsrmvn_4xn_kernelILj128ELj3ELj32E21rocsparse_complex_numIdEEEvi20rocsparse_direction_NS_24const_host_device_scalarIT2_EEPKiS8_PKS5_SA_S6_PS5_21rocsparse_index_base_b.num_named_barrier, 0
	.set _ZN9rocsparseL19gebsrmvn_4xn_kernelILj128ELj3ELj32E21rocsparse_complex_numIdEEEvi20rocsparse_direction_NS_24const_host_device_scalarIT2_EEPKiS8_PKS5_SA_S6_PS5_21rocsparse_index_base_b.private_seg_size, 0
	.set _ZN9rocsparseL19gebsrmvn_4xn_kernelILj128ELj3ELj32E21rocsparse_complex_numIdEEEvi20rocsparse_direction_NS_24const_host_device_scalarIT2_EEPKiS8_PKS5_SA_S6_PS5_21rocsparse_index_base_b.uses_vcc, 1
	.set _ZN9rocsparseL19gebsrmvn_4xn_kernelILj128ELj3ELj32E21rocsparse_complex_numIdEEEvi20rocsparse_direction_NS_24const_host_device_scalarIT2_EEPKiS8_PKS5_SA_S6_PS5_21rocsparse_index_base_b.uses_flat_scratch, 0
	.set _ZN9rocsparseL19gebsrmvn_4xn_kernelILj128ELj3ELj32E21rocsparse_complex_numIdEEEvi20rocsparse_direction_NS_24const_host_device_scalarIT2_EEPKiS8_PKS5_SA_S6_PS5_21rocsparse_index_base_b.has_dyn_sized_stack, 0
	.set _ZN9rocsparseL19gebsrmvn_4xn_kernelILj128ELj3ELj32E21rocsparse_complex_numIdEEEvi20rocsparse_direction_NS_24const_host_device_scalarIT2_EEPKiS8_PKS5_SA_S6_PS5_21rocsparse_index_base_b.has_recursion, 0
	.set _ZN9rocsparseL19gebsrmvn_4xn_kernelILj128ELj3ELj32E21rocsparse_complex_numIdEEEvi20rocsparse_direction_NS_24const_host_device_scalarIT2_EEPKiS8_PKS5_SA_S6_PS5_21rocsparse_index_base_b.has_indirect_call, 0
	.section	.AMDGPU.csdata,"",@progbits
; Kernel info:
; codeLenInByte = 3212
; TotalNumSgprs: 16
; NumVgprs: 90
; ScratchSize: 0
; MemoryBound: 0
; FloatMode: 240
; IeeeMode: 1
; LDSByteSize: 0 bytes/workgroup (compile time only)
; SGPRBlocks: 0
; VGPRBlocks: 5
; NumSGPRsForWavesPerEU: 16
; NumVGPRsForWavesPerEU: 90
; NamedBarCnt: 0
; Occupancy: 10
; WaveLimiterHint : 1
; COMPUTE_PGM_RSRC2:SCRATCH_EN: 0
; COMPUTE_PGM_RSRC2:USER_SGPR: 2
; COMPUTE_PGM_RSRC2:TRAP_HANDLER: 0
; COMPUTE_PGM_RSRC2:TGID_X_EN: 1
; COMPUTE_PGM_RSRC2:TGID_Y_EN: 0
; COMPUTE_PGM_RSRC2:TGID_Z_EN: 0
; COMPUTE_PGM_RSRC2:TIDIG_COMP_CNT: 0
	.section	.text._ZN9rocsparseL19gebsrmvn_4xn_kernelILj128ELj3ELj64E21rocsparse_complex_numIdEEEvi20rocsparse_direction_NS_24const_host_device_scalarIT2_EEPKiS8_PKS5_SA_S6_PS5_21rocsparse_index_base_b,"axG",@progbits,_ZN9rocsparseL19gebsrmvn_4xn_kernelILj128ELj3ELj64E21rocsparse_complex_numIdEEEvi20rocsparse_direction_NS_24const_host_device_scalarIT2_EEPKiS8_PKS5_SA_S6_PS5_21rocsparse_index_base_b,comdat
	.globl	_ZN9rocsparseL19gebsrmvn_4xn_kernelILj128ELj3ELj64E21rocsparse_complex_numIdEEEvi20rocsparse_direction_NS_24const_host_device_scalarIT2_EEPKiS8_PKS5_SA_S6_PS5_21rocsparse_index_base_b ; -- Begin function _ZN9rocsparseL19gebsrmvn_4xn_kernelILj128ELj3ELj64E21rocsparse_complex_numIdEEEvi20rocsparse_direction_NS_24const_host_device_scalarIT2_EEPKiS8_PKS5_SA_S6_PS5_21rocsparse_index_base_b
	.p2align	8
	.type	_ZN9rocsparseL19gebsrmvn_4xn_kernelILj128ELj3ELj64E21rocsparse_complex_numIdEEEvi20rocsparse_direction_NS_24const_host_device_scalarIT2_EEPKiS8_PKS5_SA_S6_PS5_21rocsparse_index_base_b,@function
_ZN9rocsparseL19gebsrmvn_4xn_kernelILj128ELj3ELj64E21rocsparse_complex_numIdEEEvi20rocsparse_direction_NS_24const_host_device_scalarIT2_EEPKiS8_PKS5_SA_S6_PS5_21rocsparse_index_base_b: ; @_ZN9rocsparseL19gebsrmvn_4xn_kernelILj128ELj3ELj64E21rocsparse_complex_numIdEEEvi20rocsparse_direction_NS_24const_host_device_scalarIT2_EEPKiS8_PKS5_SA_S6_PS5_21rocsparse_index_base_b
; %bb.0:
	s_clause 0x1
	s_load_b64 s[12:13], s[0:1], 0x50
	s_load_b64 s[2:3], s[0:1], 0x8
	v_mov_b32_e32 v1, 0
	s_add_nc_u64 s[4:5], s[0:1], 8
	s_load_b64 s[6:7], s[0:1], 0x38
	s_wait_kmcnt 0x0
	s_bitcmp1_b32 s13, 0
	s_cselect_b32 s3, s5, s3
	s_cselect_b32 s2, s4, s2
	flat_load_b128 v[2:5], v1, s[2:3]
	s_wait_xcnt 0x0
	s_add_nc_u64 s[2:3], s[0:1], 56
	s_delay_alu instid0(SALU_CYCLE_1)
	s_cselect_b32 s3, s3, s7
	s_cselect_b32 s2, s2, s6
	flat_load_b128 v[6:9], v1, s[2:3]
	s_wait_loadcnt_dscnt 0x101
	v_cmp_eq_f64_e32 vcc_lo, 0, v[2:3]
	s_wait_xcnt 0x0
	v_cmp_eq_f64_e64 s2, 0, v[4:5]
	s_and_b32 s4, vcc_lo, s2
	s_mov_b32 s2, -1
	s_and_saveexec_b32 s3, s4
	s_cbranch_execz .LBB125_2
; %bb.1:
	s_wait_loadcnt_dscnt 0x0
	v_cmp_neq_f64_e32 vcc_lo, 1.0, v[6:7]
	v_cmp_neq_f64_e64 s2, 0, v[8:9]
	s_or_b32 s2, vcc_lo, s2
	s_delay_alu instid0(SALU_CYCLE_1)
	s_or_not1_b32 s2, s2, exec_lo
.LBB125_2:
	s_or_b32 exec_lo, exec_lo, s3
	s_and_saveexec_b32 s3, s2
	s_cbranch_execz .LBB125_21
; %bb.3:
	s_load_b64 s[2:3], s[0:1], 0x0
	s_bfe_u32 s4, ttmp6, 0x4000c
	s_and_b32 s5, ttmp6, 15
	s_add_co_i32 s4, s4, 1
	s_getreg_b32 s6, hwreg(HW_REG_IB_STS2, 6, 4)
	s_mul_i32 s4, ttmp9, s4
	v_lshrrev_b32_e32 v1, 6, v0
	s_add_co_i32 s5, s5, s4
	s_cmp_eq_u32 s6, 0
	s_cselect_b32 s4, ttmp9, s5
	s_delay_alu instid0(VALU_DEP_1) | instid1(SALU_CYCLE_1)
	v_lshl_or_b32 v10, s4, 1, v1
	s_wait_kmcnt 0x0
	s_delay_alu instid0(VALU_DEP_1)
	v_cmp_gt_i32_e32 vcc_lo, s2, v10
	s_and_b32 exec_lo, exec_lo, vcc_lo
	s_cbranch_execz .LBB125_21
; %bb.4:
	s_load_b256 s[4:11], s[0:1], 0x18
	v_ashrrev_i32_e32 v11, 31, v10
	s_cmp_lg_u32 s3, 0
	s_wait_kmcnt 0x0
	s_delay_alu instid0(VALU_DEP_1)
	v_lshl_add_u64 v[12:13], v[10:11], 2, s[4:5]
	v_and_b32_e32 v11, 63, v0
	global_load_b64 v[12:13], v[12:13], off
	s_wait_loadcnt 0x0
	v_subrev_nc_u32_e32 v0, s12, v12
	v_subrev_nc_u32_e32 v26, s12, v13
	s_delay_alu instid0(VALU_DEP_2) | instskip(NEXT) | instid1(VALU_DEP_1)
	v_add_nc_u32_e32 v27, v0, v11
	v_cmp_lt_i32_e64 s2, v27, v26
	s_cbranch_scc0 .LBB125_10
; %bb.5:
	v_mov_b64_e32 v[0:1], 0
	v_mov_b64_e32 v[20:21], 0
	;; [unrolled: 1-line block ×8, first 2 shown]
	s_and_saveexec_b32 s3, s2
	s_cbranch_execz .LBB125_9
; %bb.6:
	v_mul_lo_u32 v28, v27, 12
	v_mov_b64_e32 v[0:1], 0
	v_mov_b64_e32 v[20:21], 0
	;; [unrolled: 1-line block ×8, first 2 shown]
	v_mov_b32_e32 v29, v27
	s_mov_b32 s4, 0
.LBB125_7:                              ; =>This Inner Loop Header: Depth=1
	global_load_b32 v46, v29, s[6:7] scale_offset
	s_clause 0x3
	global_load_b128 v[30:33], v28, s[8:9] offset:48 scale_offset
	global_load_b128 v[34:37], v28, s[8:9] offset:32 scale_offset
	;; [unrolled: 1-line block ×3, first 2 shown]
	global_load_b128 v[42:45], v28, s[8:9] scale_offset
	v_dual_add_nc_u32 v66, 4, v28 :: v_dual_add_nc_u32 v87, 8, v28
	s_wait_xcnt 0x4
	v_add_nc_u32_e32 v29, 64, v29
	s_wait_xcnt 0x0
	v_add_nc_u32_e32 v28, 0x300, v28
	s_delay_alu instid0(VALU_DEP_2) | instskip(SKIP_3) | instid1(VALU_DEP_1)
	v_cmp_ge_i32_e32 vcc_lo, v29, v26
	s_or_b32 s4, vcc_lo, s4
	s_wait_loadcnt 0x4
	v_subrev_nc_u32_e32 v46, s12, v46
	v_lshl_add_u32 v86, v46, 1, v46
	global_load_b128 v[46:49], v86, s[10:11] scale_offset
	s_clause 0x3
	global_load_b128 v[50:53], v66, s[8:9] offset:48 scale_offset
	global_load_b128 v[54:57], v66, s[8:9] offset:32 scale_offset
	;; [unrolled: 1-line block ×3, first 2 shown]
	global_load_b128 v[62:65], v66, s[8:9] scale_offset
	s_wait_xcnt 0x0
	v_dual_add_nc_u32 v66, 1, v86 :: v_dual_add_nc_u32 v86, 2, v86
	global_load_b128 v[66:69], v66, s[10:11] scale_offset
	s_clause 0x3
	global_load_b128 v[70:73], v87, s[8:9] offset:48 scale_offset
	global_load_b128 v[74:77], v87, s[8:9] offset:32 scale_offset
	;; [unrolled: 1-line block ×3, first 2 shown]
	global_load_b128 v[82:85], v87, s[8:9] scale_offset
	global_load_b128 v[86:89], v86, s[10:11] scale_offset
	s_wait_loadcnt 0xa
	v_fmac_f64_e32 v[20:21], v[42:43], v[46:47]
	v_fmac_f64_e32 v[0:1], v[44:45], v[46:47]
	v_fmac_f64_e32 v[24:25], v[38:39], v[46:47]
	v_fmac_f64_e32 v[16:17], v[40:41], v[46:47]
	v_fmac_f64_e32 v[22:23], v[34:35], v[46:47]
	v_fmac_f64_e32 v[14:15], v[36:37], v[46:47]
	v_fmac_f64_e32 v[18:19], v[30:31], v[46:47]
	v_fmac_f64_e32 v[12:13], v[32:33], v[46:47]
	v_fma_f64 v[20:21], -v[44:45], v[48:49], v[20:21]
	v_fmac_f64_e32 v[0:1], v[42:43], v[48:49]
	v_fma_f64 v[24:25], -v[40:41], v[48:49], v[24:25]
	v_fmac_f64_e32 v[16:17], v[38:39], v[48:49]
	v_fma_f64 v[22:23], -v[36:37], v[48:49], v[22:23]
	v_fmac_f64_e32 v[14:15], v[34:35], v[48:49]
	v_fma_f64 v[18:19], -v[32:33], v[48:49], v[18:19]
	v_fmac_f64_e32 v[12:13], v[30:31], v[48:49]
	s_wait_loadcnt 0x5
	v_fmac_f64_e32 v[20:21], v[62:63], v[66:67]
	v_fmac_f64_e32 v[0:1], v[64:65], v[66:67]
	v_fmac_f64_e32 v[24:25], v[58:59], v[66:67]
	v_fmac_f64_e32 v[16:17], v[60:61], v[66:67]
	v_fmac_f64_e32 v[22:23], v[54:55], v[66:67]
	v_fmac_f64_e32 v[14:15], v[56:57], v[66:67]
	v_fmac_f64_e32 v[18:19], v[50:51], v[66:67]
	v_fmac_f64_e32 v[12:13], v[52:53], v[66:67]
	v_fma_f64 v[20:21], -v[64:65], v[68:69], v[20:21]
	v_fmac_f64_e32 v[0:1], v[62:63], v[68:69]
	v_fma_f64 v[24:25], -v[60:61], v[68:69], v[24:25]
	v_fmac_f64_e32 v[16:17], v[58:59], v[68:69]
	v_fma_f64 v[22:23], -v[56:57], v[68:69], v[22:23]
	v_fmac_f64_e32 v[14:15], v[54:55], v[68:69]
	v_fma_f64 v[18:19], -v[52:53], v[68:69], v[18:19]
	v_fmac_f64_e32 v[12:13], v[50:51], v[68:69]
	;; [unrolled: 17-line block ×3, first 2 shown]
	s_and_not1_b32 exec_lo, exec_lo, s4
	s_cbranch_execnz .LBB125_7
; %bb.8:
	s_or_b32 exec_lo, exec_lo, s4
.LBB125_9:
	s_delay_alu instid0(SALU_CYCLE_1)
	s_or_b32 exec_lo, exec_lo, s3
	s_cbranch_execz .LBB125_11
	s_branch .LBB125_16
.LBB125_10:
                                        ; implicit-def: $vgpr0_vgpr1
                                        ; implicit-def: $vgpr20_vgpr21
                                        ; implicit-def: $vgpr18_vgpr19
                                        ; implicit-def: $vgpr12_vgpr13
                                        ; implicit-def: $vgpr22_vgpr23
                                        ; implicit-def: $vgpr14_vgpr15
                                        ; implicit-def: $vgpr24_vgpr25
                                        ; implicit-def: $vgpr16_vgpr17
.LBB125_11:
	v_mov_b64_e32 v[0:1], 0
	v_mov_b64_e32 v[20:21], 0
	;; [unrolled: 1-line block ×8, first 2 shown]
	s_and_saveexec_b32 s3, s2
	s_cbranch_execz .LBB125_15
; %bb.12:
	v_mad_u32 v28, v27, 12, 11
	v_mov_b64_e32 v[0:1], 0
	v_mov_b64_e32 v[20:21], 0
	;; [unrolled: 1-line block ×8, first 2 shown]
	s_mov_b32 s2, 0
.LBB125_13:                             ; =>This Inner Loop Header: Depth=1
	global_load_b32 v29, v27, s[6:7] scale_offset
	v_dual_add_nc_u32 v86, -11, v28 :: v_dual_add_nc_u32 v50, -5, v28
	v_dual_add_nc_u32 v51, -2, v28 :: v_dual_add_nc_u32 v66, -7, v28
	s_clause 0x4
	global_load_b128 v[30:33], v86, s[8:9] offset:48 scale_offset
	global_load_b128 v[34:37], v86, s[8:9] offset:16 scale_offset
	global_load_b128 v[38:41], v86, s[8:9] scale_offset
	global_load_b128 v[42:45], v50, s[8:9] scale_offset
	;; [unrolled: 1-line block ×3, first 2 shown]
	v_dual_add_nc_u32 v67, -4, v28 :: v_dual_add_nc_u32 v68, -1, v28
	s_wait_xcnt 0x5
	v_dual_add_nc_u32 v87, -6, v28 :: v_dual_add_nc_u32 v27, 64, v27
	s_delay_alu instid0(VALU_DEP_1) | instskip(SKIP_3) | instid1(VALU_DEP_1)
	v_cmp_ge_i32_e32 vcc_lo, v27, v26
	s_or_b32 s2, vcc_lo, s2
	s_wait_loadcnt 0x5
	v_subrev_nc_u32_e32 v29, s12, v29
	v_lshl_add_u32 v29, v29, 1, v29
	v_add_nc_u32_e32 v88, -3, v28
	global_load_b128 v[50:53], v29, s[10:11] scale_offset
	s_clause 0x2
	global_load_b128 v[54:57], v66, s[8:9] scale_offset
	global_load_b128 v[58:61], v67, s[8:9] scale_offset
	;; [unrolled: 1-line block ×3, first 2 shown]
	s_wait_xcnt 0x2
	v_dual_add_nc_u32 v66, 1, v29 :: v_dual_add_nc_u32 v29, 2, v29
	global_load_b128 v[66:69], v66, s[10:11] scale_offset
	s_clause 0x3
	global_load_b128 v[70:73], v28, s[8:9] scale_offset
	global_load_b128 v[74:77], v86, s[8:9] offset:32 scale_offset
	global_load_b128 v[78:81], v87, s[8:9] scale_offset
	global_load_b128 v[82:85], v88, s[8:9] scale_offset
	;; [unrolled: 1-line block ×3, first 2 shown]
	v_add_nc_u32_e32 v28, 0x300, v28
	s_wait_loadcnt 0x9
	v_fmac_f64_e32 v[20:21], v[38:39], v[50:51]
	v_fmac_f64_e32 v[0:1], v[40:41], v[50:51]
	v_fmac_f64_e32 v[24:25], v[30:31], v[50:51]
	v_fmac_f64_e32 v[16:17], v[32:33], v[50:51]
	v_fmac_f64_e32 v[22:23], v[42:43], v[50:51]
	v_fmac_f64_e32 v[14:15], v[44:45], v[50:51]
	v_fmac_f64_e32 v[18:19], v[46:47], v[50:51]
	v_fmac_f64_e32 v[12:13], v[48:49], v[50:51]
	v_fma_f64 v[20:21], -v[40:41], v[52:53], v[20:21]
	v_fmac_f64_e32 v[0:1], v[38:39], v[52:53]
	v_fma_f64 v[24:25], -v[32:33], v[52:53], v[24:25]
	v_fmac_f64_e32 v[16:17], v[30:31], v[52:53]
	v_fma_f64 v[22:23], -v[44:45], v[52:53], v[22:23]
	v_fmac_f64_e32 v[14:15], v[42:43], v[52:53]
	v_fma_f64 v[18:19], -v[48:49], v[52:53], v[18:19]
	v_fmac_f64_e32 v[12:13], v[46:47], v[52:53]
	s_wait_loadcnt 0x5
	v_fmac_f64_e32 v[20:21], v[34:35], v[66:67]
	v_fmac_f64_e32 v[0:1], v[36:37], v[66:67]
	v_fmac_f64_e32 v[24:25], v[54:55], v[66:67]
	v_fmac_f64_e32 v[16:17], v[56:57], v[66:67]
	v_fmac_f64_e32 v[22:23], v[58:59], v[66:67]
	v_fmac_f64_e32 v[14:15], v[60:61], v[66:67]
	v_fmac_f64_e32 v[18:19], v[62:63], v[66:67]
	v_fmac_f64_e32 v[12:13], v[64:65], v[66:67]
	v_fma_f64 v[20:21], -v[36:37], v[68:69], v[20:21]
	v_fmac_f64_e32 v[0:1], v[34:35], v[68:69]
	v_fma_f64 v[24:25], -v[56:57], v[68:69], v[24:25]
	v_fmac_f64_e32 v[16:17], v[54:55], v[68:69]
	v_fma_f64 v[22:23], -v[60:61], v[68:69], v[22:23]
	v_fmac_f64_e32 v[14:15], v[58:59], v[68:69]
	v_fma_f64 v[18:19], -v[64:65], v[68:69], v[18:19]
	v_fmac_f64_e32 v[12:13], v[62:63], v[68:69]
	;; [unrolled: 17-line block ×3, first 2 shown]
	s_and_not1_b32 exec_lo, exec_lo, s2
	s_cbranch_execnz .LBB125_13
; %bb.14:
	s_or_b32 exec_lo, exec_lo, s2
.LBB125_15:
	s_delay_alu instid0(SALU_CYCLE_1)
	s_or_b32 exec_lo, exec_lo, s3
.LBB125_16:
	v_mbcnt_lo_u32_b32 v44, -1, 0
	s_delay_alu instid0(VALU_DEP_1) | instskip(NEXT) | instid1(VALU_DEP_1)
	v_or_b32_e32 v26, 32, v44
	v_cmp_gt_i32_e32 vcc_lo, 32, v26
	v_cndmask_b32_e32 v26, v44, v26, vcc_lo
	s_delay_alu instid0(VALU_DEP_1)
	v_lshlrev_b32_e32 v41, 2, v26
	ds_bpermute_b32 v28, v41, v0
	ds_bpermute_b32 v29, v41, v1
	s_wait_dscnt 0x0
	v_add_f64_e32 v[0:1], v[0:1], v[28:29]
	ds_bpermute_b32 v26, v41, v20
	ds_bpermute_b32 v27, v41, v21
	;; [unrolled: 1-line block ×14, first 2 shown]
	s_wait_dscnt 0xc
	v_dual_add_f64 v[20:21], v[20:21], v[26:27] :: v_dual_bitop2_b32 v26, 16, v44 bitop3:0x14
	s_wait_dscnt 0xa
	v_add_f64_e32 v[14:15], v[14:15], v[36:37]
	s_wait_dscnt 0x8
	v_add_f64_e32 v[24:25], v[24:25], v[30:31]
	v_cmp_gt_i32_e32 vcc_lo, 32, v26
	s_wait_dscnt 0x4
	v_add_f64_e32 v[22:23], v[22:23], v[34:35]
	s_wait_dscnt 0x2
	v_add_f64_e32 v[18:19], v[18:19], v[38:39]
	v_cndmask_b32_e32 v26, v44, v26, vcc_lo
	v_add_f64_e32 v[16:17], v[16:17], v[32:33]
	s_wait_dscnt 0x0
	s_delay_alu instid0(VALU_DEP_2)
	v_dual_add_f64 v[12:13], v[12:13], v[40:41] :: v_dual_lshlrev_b32 v41, 2, v26
	ds_bpermute_b32 v28, v41, v0
	ds_bpermute_b32 v29, v41, v1
	;; [unrolled: 1-line block ×13, first 2 shown]
	s_wait_dscnt 0x9
	v_dual_add_f64 v[20:21], v[20:21], v[26:27] :: v_dual_bitop2_b32 v26, 8, v44 bitop3:0x14
	ds_bpermute_b32 v34, v41, v22
	ds_bpermute_b32 v35, v41, v23
	;; [unrolled: 1-line block ×3, first 2 shown]
	s_wait_dscnt 0xa
	v_add_f64_e32 v[14:15], v[14:15], v[36:37]
	v_cmp_gt_i32_e32 vcc_lo, 32, v26
	s_wait_dscnt 0x8
	v_add_f64_e32 v[24:25], v[24:25], v[30:31]
	v_cndmask_b32_e32 v26, v44, v26, vcc_lo
	s_wait_dscnt 0x4
	v_add_f64_e32 v[16:17], v[16:17], v[32:33]
	s_wait_dscnt 0x1
	v_add_f64_e32 v[22:23], v[22:23], v[34:35]
	s_wait_dscnt 0x0
	v_dual_add_f64 v[12:13], v[12:13], v[40:41] :: v_dual_lshlrev_b32 v41, 2, v26
	ds_bpermute_b32 v26, v41, v20
	ds_bpermute_b32 v27, v41, v21
	;; [unrolled: 1-line block ×8, first 2 shown]
	s_wait_dscnt 0x6
	v_dual_add_f64 v[20:21], v[20:21], v[26:27] :: v_dual_bitop2_b32 v26, 4, v44 bitop3:0x14
	v_add_f64_e32 v[18:19], v[18:19], v[38:39]
	ds_bpermute_b32 v34, v41, v22
	ds_bpermute_b32 v35, v41, v23
	s_wait_dscnt 0x6
	v_add_f64_e32 v[14:15], v[14:15], v[36:37]
	v_cmp_gt_i32_e32 vcc_lo, 32, v26
	ds_bpermute_b32 v40, v41, v12
	s_wait_dscnt 0x5
	v_add_f64_e32 v[24:25], v[24:25], v[30:31]
	v_cndmask_b32_e32 v26, v44, v26, vcc_lo
	v_add_f64_e32 v[0:1], v[0:1], v[28:29]
	s_wait_dscnt 0x3
	v_add_f64_e32 v[16:17], v[16:17], v[32:33]
	ds_bpermute_b32 v38, v41, v18
	ds_bpermute_b32 v39, v41, v19
	;; [unrolled: 1-line block ×5, first 2 shown]
	s_wait_dscnt 0x0
	v_dual_add_f64 v[12:13], v[12:13], v[40:41] :: v_dual_lshlrev_b32 v41, 2, v26
	v_add_f64_e32 v[0:1], v[0:1], v[28:29]
	ds_bpermute_b32 v26, v41, v20
	ds_bpermute_b32 v27, v41, v21
	;; [unrolled: 1-line block ×8, first 2 shown]
	s_wait_dscnt 0x6
	v_add_f64_e32 v[20:21], v[20:21], v[26:27]
	s_wait_dscnt 0x2
	v_add_f64_e32 v[16:17], v[16:17], v[32:33]
	ds_bpermute_b32 v40, v41, v12
	s_wait_dscnt 0x1
	v_add_f64_e32 v[32:33], v[14:15], v[36:37]
	ds_bpermute_b32 v28, v41, v0
	ds_bpermute_b32 v29, v41, v1
	s_wait_dscnt 0x0
	v_add_f64_e32 v[26:27], v[0:1], v[28:29]
	v_dual_add_f64 v[28:29], v[24:25], v[30:31] :: v_dual_bitop2_b32 v0, 2, v44 bitop3:0x14
	s_delay_alu instid0(VALU_DEP_1) | instskip(SKIP_1) | instid1(VALU_DEP_1)
	v_cmp_gt_i32_e32 vcc_lo, 32, v0
	v_dual_add_f64 v[22:23], v[22:23], v[34:35] :: v_dual_cndmask_b32 v0, v44, v0, vcc_lo
	v_dual_add_f64 v[18:19], v[18:19], v[38:39] :: v_dual_lshlrev_b32 v24, 2, v0
	ds_bpermute_b32 v0, v24, v20
	ds_bpermute_b32 v1, v24, v21
	;; [unrolled: 1-line block ×4, first 2 shown]
	s_wait_dscnt 0x2
	v_add_f64_e32 v[0:1], v[20:21], v[0:1]
	ds_bpermute_b32 v34, v41, v22
	ds_bpermute_b32 v35, v41, v23
	;; [unrolled: 1-line block ×5, first 2 shown]
	s_wait_dscnt 0x3
	v_add_f64_e32 v[30:31], v[22:23], v[34:35]
	ds_bpermute_b32 v22, v24, v16
	ds_bpermute_b32 v23, v24, v17
	s_wait_dscnt 0x3
	v_add_f64_e32 v[18:19], v[18:19], v[38:39]
	s_wait_dscnt 0x2
	v_add_f64_e32 v[34:35], v[12:13], v[40:41]
	ds_bpermute_b32 v12, v24, v26
	ds_bpermute_b32 v13, v24, v27
	;; [unrolled: 1-line block ×4, first 2 shown]
	s_wait_dscnt 0x4
	v_add_f64_e32 v[22:23], v[16:17], v[22:23]
	s_wait_dscnt 0x0
	v_add_f64_e32 v[20:21], v[32:33], v[38:39]
	ds_bpermute_b32 v36, v24, v30
	ds_bpermute_b32 v37, v24, v31
	;; [unrolled: 1-line block ×6, first 2 shown]
	v_add_f64_e32 v[24:25], v[26:27], v[12:13]
	v_dual_add_f64 v[12:13], v[28:29], v[14:15] :: v_dual_bitop2_b32 v26, 1, v44 bitop3:0x14
	s_delay_alu instid0(VALU_DEP_1) | instskip(SKIP_4) | instid1(VALU_DEP_2)
	v_cmp_gt_i32_e32 vcc_lo, 32, v26
	s_wait_dscnt 0x4
	v_dual_add_f64 v[14:15], v[30:31], v[36:37] :: v_dual_cndmask_b32 v26, v44, v26, vcc_lo
	v_cmp_eq_u32_e32 vcc_lo, 63, v11
	s_wait_dscnt 0x2
	v_dual_add_f64 v[16:17], v[18:19], v[40:41] :: v_dual_lshlrev_b32 v29, 2, v26
	s_wait_dscnt 0x0
	v_add_f64_e32 v[18:19], v[34:35], v[42:43]
	ds_bpermute_b32 v40, v29, v0
	ds_bpermute_b32 v41, v29, v1
	;; [unrolled: 1-line block ×16, first 2 shown]
	s_and_b32 exec_lo, exec_lo, vcc_lo
	s_cbranch_execz .LBB125_21
; %bb.17:
	v_cmp_eq_f64_e32 vcc_lo, 0, v[6:7]
	v_cmp_eq_f64_e64 s2, 0, v[8:9]
	s_wait_dscnt 0xe
	v_add_f64_e32 v[0:1], v[0:1], v[40:41]
	s_wait_dscnt 0x8
	v_add_f64_e32 v[24:25], v[24:25], v[38:39]
	s_wait_dscnt 0x6
	v_add_f64_e32 v[12:13], v[12:13], v[36:37]
	v_add_f64_e32 v[22:23], v[22:23], v[34:35]
	s_wait_dscnt 0x4
	v_add_f64_e32 v[14:15], v[14:15], v[32:33]
	v_add_f64_e32 v[20:21], v[20:21], v[30:31]
	s_wait_dscnt 0x2
	v_add_f64_e32 v[16:17], v[16:17], v[26:27]
	s_wait_dscnt 0x0
	v_add_f64_e32 v[18:19], v[18:19], v[28:29]
	s_load_b64 s[0:1], s[0:1], 0x48
	s_and_b32 s2, vcc_lo, s2
	s_delay_alu instid0(SALU_CYCLE_1) | instskip(NEXT) | instid1(SALU_CYCLE_1)
	s_and_saveexec_b32 s3, s2
	s_xor_b32 s2, exec_lo, s3
	s_cbranch_execz .LBB125_19
; %bb.18:
	v_mul_f64_e64 v[6:7], v[24:25], -v[4:5]
	v_mul_f64_e32 v[8:9], v[2:3], v[24:25]
	v_mul_f64_e64 v[24:25], v[22:23], -v[4:5]
	v_mul_f64_e32 v[26:27], v[2:3], v[22:23]
	;; [unrolled: 2-line block ×4, first 2 shown]
                                        ; implicit-def: $vgpr18_vgpr19
	v_fmac_f64_e32 v[6:7], v[2:3], v[0:1]
	v_fmac_f64_e32 v[8:9], v[4:5], v[0:1]
	v_fmac_f64_e32 v[24:25], v[2:3], v[12:13]
	v_fmac_f64_e32 v[26:27], v[4:5], v[12:13]
	v_fmac_f64_e32 v[28:29], v[2:3], v[14:15]
	v_fmac_f64_e32 v[30:31], v[4:5], v[14:15]
	v_fmac_f64_e32 v[20:21], v[2:3], v[16:17]
	v_fmac_f64_e32 v[22:23], v[4:5], v[16:17]
	v_lshlrev_b32_e32 v0, 2, v10
                                        ; implicit-def: $vgpr10
                                        ; implicit-def: $vgpr12_vgpr13
                                        ; implicit-def: $vgpr14_vgpr15
                                        ; implicit-def: $vgpr16_vgpr17
                                        ; implicit-def: $vgpr4_vgpr5
	s_wait_kmcnt 0x0
	s_clause 0x3
	global_store_b128 v0, v[6:9], s[0:1] scale_offset
	global_store_b128 v0, v[24:27], s[0:1] offset:16 scale_offset
	global_store_b128 v0, v[28:31], s[0:1] offset:32 scale_offset
	;; [unrolled: 1-line block ×3, first 2 shown]
                                        ; implicit-def: $vgpr0_vgpr1
                                        ; implicit-def: $vgpr24_vgpr25
                                        ; implicit-def: $vgpr22_vgpr23
                                        ; implicit-def: $vgpr20_vgpr21
                                        ; implicit-def: $vgpr8_vgpr9
.LBB125_19:
	s_wait_xcnt 0x0
	s_and_not1_saveexec_b32 s2, s2
	s_cbranch_execz .LBB125_21
; %bb.20:
	v_dual_mul_f64 v[42:43], v[24:25], -v[4:5] :: v_dual_lshlrev_b32 v52, 2, v10
	v_mul_f64_e32 v[24:25], v[2:3], v[24:25]
	v_mul_f64_e64 v[46:47], v[22:23], -v[4:5]
	v_mul_f64_e32 v[44:45], v[2:3], v[22:23]
	s_wait_kmcnt 0x0
	s_clause 0x3
	global_load_b128 v[26:29], v52, s[0:1] scale_offset
	global_load_b128 v[30:33], v52, s[0:1] offset:16 scale_offset
	global_load_b128 v[34:37], v52, s[0:1] offset:32 scale_offset
	;; [unrolled: 1-line block ×3, first 2 shown]
	v_mul_f64_e64 v[48:49], v[20:21], -v[4:5]
	v_mul_f64_e32 v[20:21], v[2:3], v[20:21]
	v_mul_f64_e64 v[50:51], v[18:19], -v[4:5]
	v_mul_f64_e32 v[10:11], v[2:3], v[18:19]
	v_fmac_f64_e32 v[42:43], v[2:3], v[0:1]
	v_fmac_f64_e32 v[24:25], v[4:5], v[0:1]
	;; [unrolled: 1-line block ×8, first 2 shown]
	s_wait_loadcnt 0x3
	v_fmac_f64_e32 v[42:43], v[6:7], v[26:27]
	v_fmac_f64_e32 v[24:25], v[8:9], v[26:27]
	s_wait_loadcnt 0x2
	v_fmac_f64_e32 v[46:47], v[6:7], v[30:31]
	v_fmac_f64_e32 v[44:45], v[8:9], v[30:31]
	;; [unrolled: 3-line block ×4, first 2 shown]
	v_fma_f64 v[22:23], -v[8:9], v[28:29], v[42:43]
	v_fmac_f64_e32 v[24:25], v[6:7], v[28:29]
	v_fma_f64 v[42:43], -v[8:9], v[32:33], v[46:47]
	v_fmac_f64_e32 v[44:45], v[6:7], v[32:33]
	;; [unrolled: 2-line block ×4, first 2 shown]
	s_clause 0x3
	global_store_b128 v52, v[22:25], s[0:1] scale_offset
	global_store_b128 v52, v[42:45], s[0:1] offset:16 scale_offset
	global_store_b128 v52, v[18:21], s[0:1] offset:32 scale_offset
	;; [unrolled: 1-line block ×3, first 2 shown]
.LBB125_21:
	s_sendmsg sendmsg(MSG_DEALLOC_VGPRS)
	s_endpgm
	.section	.rodata,"a",@progbits
	.p2align	6, 0x0
	.amdhsa_kernel _ZN9rocsparseL19gebsrmvn_4xn_kernelILj128ELj3ELj64E21rocsparse_complex_numIdEEEvi20rocsparse_direction_NS_24const_host_device_scalarIT2_EEPKiS8_PKS5_SA_S6_PS5_21rocsparse_index_base_b
		.amdhsa_group_segment_fixed_size 0
		.amdhsa_private_segment_fixed_size 0
		.amdhsa_kernarg_size 88
		.amdhsa_user_sgpr_count 2
		.amdhsa_user_sgpr_dispatch_ptr 0
		.amdhsa_user_sgpr_queue_ptr 0
		.amdhsa_user_sgpr_kernarg_segment_ptr 1
		.amdhsa_user_sgpr_dispatch_id 0
		.amdhsa_user_sgpr_kernarg_preload_length 0
		.amdhsa_user_sgpr_kernarg_preload_offset 0
		.amdhsa_user_sgpr_private_segment_size 0
		.amdhsa_wavefront_size32 1
		.amdhsa_uses_dynamic_stack 0
		.amdhsa_enable_private_segment 0
		.amdhsa_system_sgpr_workgroup_id_x 1
		.amdhsa_system_sgpr_workgroup_id_y 0
		.amdhsa_system_sgpr_workgroup_id_z 0
		.amdhsa_system_sgpr_workgroup_info 0
		.amdhsa_system_vgpr_workitem_id 0
		.amdhsa_next_free_vgpr 90
		.amdhsa_next_free_sgpr 14
		.amdhsa_named_barrier_count 0
		.amdhsa_reserve_vcc 1
		.amdhsa_float_round_mode_32 0
		.amdhsa_float_round_mode_16_64 0
		.amdhsa_float_denorm_mode_32 3
		.amdhsa_float_denorm_mode_16_64 3
		.amdhsa_fp16_overflow 0
		.amdhsa_memory_ordered 1
		.amdhsa_forward_progress 1
		.amdhsa_inst_pref_size 27
		.amdhsa_round_robin_scheduling 0
		.amdhsa_exception_fp_ieee_invalid_op 0
		.amdhsa_exception_fp_denorm_src 0
		.amdhsa_exception_fp_ieee_div_zero 0
		.amdhsa_exception_fp_ieee_overflow 0
		.amdhsa_exception_fp_ieee_underflow 0
		.amdhsa_exception_fp_ieee_inexact 0
		.amdhsa_exception_int_div_zero 0
	.end_amdhsa_kernel
	.section	.text._ZN9rocsparseL19gebsrmvn_4xn_kernelILj128ELj3ELj64E21rocsparse_complex_numIdEEEvi20rocsparse_direction_NS_24const_host_device_scalarIT2_EEPKiS8_PKS5_SA_S6_PS5_21rocsparse_index_base_b,"axG",@progbits,_ZN9rocsparseL19gebsrmvn_4xn_kernelILj128ELj3ELj64E21rocsparse_complex_numIdEEEvi20rocsparse_direction_NS_24const_host_device_scalarIT2_EEPKiS8_PKS5_SA_S6_PS5_21rocsparse_index_base_b,comdat
.Lfunc_end125:
	.size	_ZN9rocsparseL19gebsrmvn_4xn_kernelILj128ELj3ELj64E21rocsparse_complex_numIdEEEvi20rocsparse_direction_NS_24const_host_device_scalarIT2_EEPKiS8_PKS5_SA_S6_PS5_21rocsparse_index_base_b, .Lfunc_end125-_ZN9rocsparseL19gebsrmvn_4xn_kernelILj128ELj3ELj64E21rocsparse_complex_numIdEEEvi20rocsparse_direction_NS_24const_host_device_scalarIT2_EEPKiS8_PKS5_SA_S6_PS5_21rocsparse_index_base_b
                                        ; -- End function
	.set _ZN9rocsparseL19gebsrmvn_4xn_kernelILj128ELj3ELj64E21rocsparse_complex_numIdEEEvi20rocsparse_direction_NS_24const_host_device_scalarIT2_EEPKiS8_PKS5_SA_S6_PS5_21rocsparse_index_base_b.num_vgpr, 90
	.set _ZN9rocsparseL19gebsrmvn_4xn_kernelILj128ELj3ELj64E21rocsparse_complex_numIdEEEvi20rocsparse_direction_NS_24const_host_device_scalarIT2_EEPKiS8_PKS5_SA_S6_PS5_21rocsparse_index_base_b.num_agpr, 0
	.set _ZN9rocsparseL19gebsrmvn_4xn_kernelILj128ELj3ELj64E21rocsparse_complex_numIdEEEvi20rocsparse_direction_NS_24const_host_device_scalarIT2_EEPKiS8_PKS5_SA_S6_PS5_21rocsparse_index_base_b.numbered_sgpr, 14
	.set _ZN9rocsparseL19gebsrmvn_4xn_kernelILj128ELj3ELj64E21rocsparse_complex_numIdEEEvi20rocsparse_direction_NS_24const_host_device_scalarIT2_EEPKiS8_PKS5_SA_S6_PS5_21rocsparse_index_base_b.num_named_barrier, 0
	.set _ZN9rocsparseL19gebsrmvn_4xn_kernelILj128ELj3ELj64E21rocsparse_complex_numIdEEEvi20rocsparse_direction_NS_24const_host_device_scalarIT2_EEPKiS8_PKS5_SA_S6_PS5_21rocsparse_index_base_b.private_seg_size, 0
	.set _ZN9rocsparseL19gebsrmvn_4xn_kernelILj128ELj3ELj64E21rocsparse_complex_numIdEEEvi20rocsparse_direction_NS_24const_host_device_scalarIT2_EEPKiS8_PKS5_SA_S6_PS5_21rocsparse_index_base_b.uses_vcc, 1
	.set _ZN9rocsparseL19gebsrmvn_4xn_kernelILj128ELj3ELj64E21rocsparse_complex_numIdEEEvi20rocsparse_direction_NS_24const_host_device_scalarIT2_EEPKiS8_PKS5_SA_S6_PS5_21rocsparse_index_base_b.uses_flat_scratch, 0
	.set _ZN9rocsparseL19gebsrmvn_4xn_kernelILj128ELj3ELj64E21rocsparse_complex_numIdEEEvi20rocsparse_direction_NS_24const_host_device_scalarIT2_EEPKiS8_PKS5_SA_S6_PS5_21rocsparse_index_base_b.has_dyn_sized_stack, 0
	.set _ZN9rocsparseL19gebsrmvn_4xn_kernelILj128ELj3ELj64E21rocsparse_complex_numIdEEEvi20rocsparse_direction_NS_24const_host_device_scalarIT2_EEPKiS8_PKS5_SA_S6_PS5_21rocsparse_index_base_b.has_recursion, 0
	.set _ZN9rocsparseL19gebsrmvn_4xn_kernelILj128ELj3ELj64E21rocsparse_complex_numIdEEEvi20rocsparse_direction_NS_24const_host_device_scalarIT2_EEPKiS8_PKS5_SA_S6_PS5_21rocsparse_index_base_b.has_indirect_call, 0
	.section	.AMDGPU.csdata,"",@progbits
; Kernel info:
; codeLenInByte = 3428
; TotalNumSgprs: 16
; NumVgprs: 90
; ScratchSize: 0
; MemoryBound: 0
; FloatMode: 240
; IeeeMode: 1
; LDSByteSize: 0 bytes/workgroup (compile time only)
; SGPRBlocks: 0
; VGPRBlocks: 5
; NumSGPRsForWavesPerEU: 16
; NumVGPRsForWavesPerEU: 90
; NamedBarCnt: 0
; Occupancy: 10
; WaveLimiterHint : 1
; COMPUTE_PGM_RSRC2:SCRATCH_EN: 0
; COMPUTE_PGM_RSRC2:USER_SGPR: 2
; COMPUTE_PGM_RSRC2:TRAP_HANDLER: 0
; COMPUTE_PGM_RSRC2:TGID_X_EN: 1
; COMPUTE_PGM_RSRC2:TGID_Y_EN: 0
; COMPUTE_PGM_RSRC2:TGID_Z_EN: 0
; COMPUTE_PGM_RSRC2:TIDIG_COMP_CNT: 0
	.section	.text._ZN9rocsparseL19gebsrmvn_4xn_kernelILj128ELj5ELj4E21rocsparse_complex_numIdEEEvi20rocsparse_direction_NS_24const_host_device_scalarIT2_EEPKiS8_PKS5_SA_S6_PS5_21rocsparse_index_base_b,"axG",@progbits,_ZN9rocsparseL19gebsrmvn_4xn_kernelILj128ELj5ELj4E21rocsparse_complex_numIdEEEvi20rocsparse_direction_NS_24const_host_device_scalarIT2_EEPKiS8_PKS5_SA_S6_PS5_21rocsparse_index_base_b,comdat
	.globl	_ZN9rocsparseL19gebsrmvn_4xn_kernelILj128ELj5ELj4E21rocsparse_complex_numIdEEEvi20rocsparse_direction_NS_24const_host_device_scalarIT2_EEPKiS8_PKS5_SA_S6_PS5_21rocsparse_index_base_b ; -- Begin function _ZN9rocsparseL19gebsrmvn_4xn_kernelILj128ELj5ELj4E21rocsparse_complex_numIdEEEvi20rocsparse_direction_NS_24const_host_device_scalarIT2_EEPKiS8_PKS5_SA_S6_PS5_21rocsparse_index_base_b
	.p2align	8
	.type	_ZN9rocsparseL19gebsrmvn_4xn_kernelILj128ELj5ELj4E21rocsparse_complex_numIdEEEvi20rocsparse_direction_NS_24const_host_device_scalarIT2_EEPKiS8_PKS5_SA_S6_PS5_21rocsparse_index_base_b,@function
_ZN9rocsparseL19gebsrmvn_4xn_kernelILj128ELj5ELj4E21rocsparse_complex_numIdEEEvi20rocsparse_direction_NS_24const_host_device_scalarIT2_EEPKiS8_PKS5_SA_S6_PS5_21rocsparse_index_base_b: ; @_ZN9rocsparseL19gebsrmvn_4xn_kernelILj128ELj5ELj4E21rocsparse_complex_numIdEEEvi20rocsparse_direction_NS_24const_host_device_scalarIT2_EEPKiS8_PKS5_SA_S6_PS5_21rocsparse_index_base_b
; %bb.0:
	s_clause 0x1
	s_load_b64 s[12:13], s[0:1], 0x50
	s_load_b64 s[2:3], s[0:1], 0x8
	v_mov_b32_e32 v1, 0
	s_add_nc_u64 s[4:5], s[0:1], 8
	s_load_b64 s[6:7], s[0:1], 0x38
	s_wait_kmcnt 0x0
	s_bitcmp1_b32 s13, 0
	s_cselect_b32 s3, s5, s3
	s_cselect_b32 s2, s4, s2
	flat_load_b128 v[2:5], v1, s[2:3]
	s_wait_xcnt 0x0
	s_add_nc_u64 s[2:3], s[0:1], 56
	s_delay_alu instid0(SALU_CYCLE_1)
	s_cselect_b32 s3, s3, s7
	s_cselect_b32 s2, s2, s6
	flat_load_b128 v[6:9], v1, s[2:3]
	s_wait_loadcnt_dscnt 0x101
	v_cmp_eq_f64_e32 vcc_lo, 0, v[2:3]
	s_wait_xcnt 0x0
	v_cmp_eq_f64_e64 s2, 0, v[4:5]
	s_and_b32 s4, vcc_lo, s2
	s_mov_b32 s2, -1
	s_and_saveexec_b32 s3, s4
	s_cbranch_execz .LBB126_2
; %bb.1:
	s_wait_loadcnt_dscnt 0x0
	v_cmp_neq_f64_e32 vcc_lo, 1.0, v[6:7]
	v_cmp_neq_f64_e64 s2, 0, v[8:9]
	s_or_b32 s2, vcc_lo, s2
	s_delay_alu instid0(SALU_CYCLE_1)
	s_or_not1_b32 s2, s2, exec_lo
.LBB126_2:
	s_or_b32 exec_lo, exec_lo, s3
	s_and_saveexec_b32 s3, s2
	s_cbranch_execz .LBB126_21
; %bb.3:
	s_load_b64 s[2:3], s[0:1], 0x0
	s_bfe_u32 s4, ttmp6, 0x4000c
	s_and_b32 s5, ttmp6, 15
	s_add_co_i32 s4, s4, 1
	s_getreg_b32 s6, hwreg(HW_REG_IB_STS2, 6, 4)
	s_mul_i32 s4, ttmp9, s4
	v_lshrrev_b32_e32 v1, 2, v0
	s_add_co_i32 s5, s5, s4
	s_cmp_eq_u32 s6, 0
	s_cselect_b32 s4, ttmp9, s5
	s_delay_alu instid0(VALU_DEP_1) | instid1(SALU_CYCLE_1)
	v_lshl_or_b32 v10, s4, 5, v1
	s_wait_kmcnt 0x0
	s_delay_alu instid0(VALU_DEP_1)
	v_cmp_gt_i32_e32 vcc_lo, s2, v10
	s_and_b32 exec_lo, exec_lo, vcc_lo
	s_cbranch_execz .LBB126_21
; %bb.4:
	s_load_b256 s[4:11], s[0:1], 0x18
	v_ashrrev_i32_e32 v11, 31, v10
	s_cmp_lg_u32 s3, 0
	s_wait_kmcnt 0x0
	s_delay_alu instid0(VALU_DEP_1)
	v_lshl_add_u64 v[12:13], v[10:11], 2, s[4:5]
	v_and_b32_e32 v11, 3, v0
	global_load_b64 v[12:13], v[12:13], off
	s_wait_loadcnt 0x0
	v_subrev_nc_u32_e32 v0, s12, v12
	v_subrev_nc_u32_e32 v26, s12, v13
	s_delay_alu instid0(VALU_DEP_2) | instskip(NEXT) | instid1(VALU_DEP_1)
	v_add_nc_u32_e32 v27, v0, v11
	v_cmp_lt_i32_e64 s2, v27, v26
	s_cbranch_scc0 .LBB126_10
; %bb.5:
	v_mov_b64_e32 v[0:1], 0
	v_mov_b64_e32 v[24:25], 0
	;; [unrolled: 1-line block ×8, first 2 shown]
	s_and_saveexec_b32 s3, s2
	s_cbranch_execz .LBB126_9
; %bb.6:
	v_mad_u32 v28, v27, 20, 16
	v_mov_b64_e32 v[0:1], 0
	v_mov_b64_e32 v[24:25], 0
	;; [unrolled: 1-line block ×8, first 2 shown]
	v_mov_b32_e32 v29, v27
	s_mov_b32 s4, 0
.LBB126_7:                              ; =>This Inner Loop Header: Depth=1
	global_load_b32 v46, v29, s[6:7] scale_offset
	v_dual_add_nc_u32 v47, -16, v28 :: v_dual_add_nc_u32 v66, -12, v28
	v_dual_add_nc_u32 v86, -8, v28 :: v_dual_add_nc_u32 v118, -4, v28
	s_clause 0x3
	global_load_b128 v[30:33], v47, s[8:9] offset:48 scale_offset
	global_load_b128 v[34:37], v47, s[8:9] offset:32 scale_offset
	;; [unrolled: 1-line block ×3, first 2 shown]
	global_load_b128 v[42:45], v47, s[8:9] scale_offset
	s_wait_xcnt 0x4
	v_add_nc_u32_e32 v29, 4, v29
	s_delay_alu instid0(VALU_DEP_1) | instskip(SKIP_3) | instid1(VALU_DEP_1)
	v_cmp_ge_i32_e32 vcc_lo, v29, v26
	s_or_b32 s4, vcc_lo, s4
	s_wait_loadcnt 0x4
	v_subrev_nc_u32_e32 v46, s12, v46
	v_lshl_add_u32 v120, v46, 2, v46
	global_load_b128 v[46:49], v120, s[10:11] scale_offset
	s_clause 0x3
	global_load_b128 v[50:53], v66, s[8:9] offset:48 scale_offset
	global_load_b128 v[54:57], v66, s[8:9] offset:32 scale_offset
	;; [unrolled: 1-line block ×3, first 2 shown]
	global_load_b128 v[62:65], v66, s[8:9] scale_offset
	s_wait_xcnt 0x0
	v_add_nc_u32_e32 v66, 1, v120
	global_load_b128 v[66:69], v66, s[10:11] scale_offset
	s_clause 0x3
	global_load_b128 v[70:73], v86, s[8:9] offset:48 scale_offset
	global_load_b128 v[74:77], v86, s[8:9] offset:32 scale_offset
	;; [unrolled: 1-line block ×3, first 2 shown]
	global_load_b128 v[82:85], v86, s[8:9] scale_offset
	s_wait_xcnt 0x0
	v_add_nc_u32_e32 v86, 2, v120
	global_load_b128 v[86:89], v86, s[10:11] scale_offset
	s_clause 0x6
	global_load_b128 v[90:93], v28, s[8:9] offset:48 scale_offset
	global_load_b128 v[94:97], v28, s[8:9] offset:32 scale_offset
	;; [unrolled: 1-line block ×6, first 2 shown]
	global_load_b128 v[114:117], v118, s[8:9] scale_offset
	s_wait_loadcnt 0x11
	v_fmac_f64_e32 v[24:25], v[42:43], v[46:47]
	v_fmac_f64_e32 v[0:1], v[44:45], v[46:47]
	;; [unrolled: 1-line block ×8, first 2 shown]
	s_wait_xcnt 0x0
	v_fma_f64 v[118:119], -v[44:45], v[48:49], v[24:25]
	v_add_nc_u32_e32 v24, 3, v120
	v_fmac_f64_e32 v[0:1], v[42:43], v[48:49]
	v_fmac_f64_e32 v[16:17], v[38:39], v[48:49]
	v_add_nc_u32_e32 v38, 4, v120
	v_fma_f64 v[40:41], -v[40:41], v[48:49], v[22:23]
	global_load_b128 v[42:45], v24, s[10:11] scale_offset
	v_fma_f64 v[20:21], -v[36:37], v[48:49], v[20:21]
	v_fmac_f64_e32 v[14:15], v[34:35], v[48:49]
	global_load_b128 v[34:37], v38, s[10:11] scale_offset
	global_load_b128 v[22:25], v28, s[8:9] scale_offset
	v_fma_f64 v[18:19], -v[32:33], v[48:49], v[18:19]
	v_fmac_f64_e32 v[12:13], v[30:31], v[48:49]
	s_wait_xcnt 0x0
	v_add_nc_u32_e32 v28, 0x50, v28
	s_wait_loadcnt 0xf
	v_fmac_f64_e32 v[118:119], v[62:63], v[66:67]
	v_fmac_f64_e32 v[0:1], v[64:65], v[66:67]
	;; [unrolled: 1-line block ×8, first 2 shown]
	v_fma_f64 v[30:31], -v[64:65], v[68:69], v[118:119]
	v_fmac_f64_e32 v[0:1], v[62:63], v[68:69]
	v_fmac_f64_e32 v[16:17], v[58:59], v[68:69]
	v_fma_f64 v[32:33], -v[60:61], v[68:69], v[40:41]
	v_fma_f64 v[20:21], -v[56:57], v[68:69], v[20:21]
	v_fmac_f64_e32 v[14:15], v[54:55], v[68:69]
	v_fma_f64 v[18:19], -v[52:53], v[68:69], v[18:19]
	v_fmac_f64_e32 v[12:13], v[50:51], v[68:69]
	s_wait_loadcnt 0xa
	v_fmac_f64_e32 v[30:31], v[82:83], v[86:87]
	v_fmac_f64_e32 v[0:1], v[84:85], v[86:87]
	;; [unrolled: 1-line block ×8, first 2 shown]
	v_fma_f64 v[30:31], -v[84:85], v[88:89], v[30:31]
	v_fmac_f64_e32 v[0:1], v[82:83], v[88:89]
	v_fmac_f64_e32 v[16:17], v[78:79], v[88:89]
	v_fma_f64 v[32:33], -v[80:81], v[88:89], v[32:33]
	v_fma_f64 v[20:21], -v[76:77], v[88:89], v[20:21]
	v_fmac_f64_e32 v[14:15], v[74:75], v[88:89]
	v_fma_f64 v[18:19], -v[72:73], v[88:89], v[18:19]
	v_fmac_f64_e32 v[12:13], v[70:71], v[88:89]
	s_wait_loadcnt 0x2
	v_fmac_f64_e32 v[30:31], v[114:115], v[42:43]
	v_fmac_f64_e32 v[0:1], v[116:117], v[42:43]
	;; [unrolled: 1-line block ×8, first 2 shown]
	v_fma_f64 v[30:31], -v[116:117], v[44:45], v[30:31]
	v_fmac_f64_e32 v[0:1], v[114:115], v[44:45]
	v_fma_f64 v[32:33], -v[112:113], v[44:45], v[32:33]
	v_fmac_f64_e32 v[16:17], v[110:111], v[44:45]
	;; [unrolled: 2-line block ×4, first 2 shown]
	s_wait_loadcnt 0x0
	v_fmac_f64_e32 v[30:31], v[22:23], v[34:35]
	v_fmac_f64_e32 v[0:1], v[24:25], v[34:35]
	v_fmac_f64_e32 v[32:33], v[98:99], v[34:35]
	v_fmac_f64_e32 v[16:17], v[100:101], v[34:35]
	v_fmac_f64_e32 v[20:21], v[94:95], v[34:35]
	v_fmac_f64_e32 v[14:15], v[96:97], v[34:35]
	v_fmac_f64_e32 v[18:19], v[90:91], v[34:35]
	v_fmac_f64_e32 v[12:13], v[92:93], v[34:35]
	v_fma_f64 v[24:25], -v[24:25], v[36:37], v[30:31]
	v_fmac_f64_e32 v[0:1], v[22:23], v[36:37]
	v_fma_f64 v[22:23], -v[100:101], v[36:37], v[32:33]
	v_fmac_f64_e32 v[16:17], v[98:99], v[36:37]
	;; [unrolled: 2-line block ×4, first 2 shown]
	s_and_not1_b32 exec_lo, exec_lo, s4
	s_cbranch_execnz .LBB126_7
; %bb.8:
	s_or_b32 exec_lo, exec_lo, s4
.LBB126_9:
	s_delay_alu instid0(SALU_CYCLE_1)
	s_or_b32 exec_lo, exec_lo, s3
	s_cbranch_execz .LBB126_11
	s_branch .LBB126_16
.LBB126_10:
                                        ; implicit-def: $vgpr0_vgpr1
                                        ; implicit-def: $vgpr24_vgpr25
                                        ; implicit-def: $vgpr18_vgpr19
                                        ; implicit-def: $vgpr12_vgpr13
                                        ; implicit-def: $vgpr20_vgpr21
                                        ; implicit-def: $vgpr14_vgpr15
                                        ; implicit-def: $vgpr22_vgpr23
                                        ; implicit-def: $vgpr16_vgpr17
.LBB126_11:
	v_mov_b64_e32 v[0:1], 0
	v_mov_b64_e32 v[24:25], 0
	;; [unrolled: 1-line block ×8, first 2 shown]
	s_and_saveexec_b32 s3, s2
	s_cbranch_execz .LBB126_15
; %bb.12:
	v_mad_u32 v28, v27, 20, 19
	v_mov_b64_e32 v[0:1], 0
	v_mov_b64_e32 v[24:25], 0
	;; [unrolled: 1-line block ×8, first 2 shown]
	s_mov_b32 s2, 0
.LBB126_13:                             ; =>This Inner Loop Header: Depth=1
	global_load_b32 v29, v27, s[6:7] scale_offset
	v_dual_add_nc_u32 v91, -14, v28 :: v_dual_add_nc_u32 v92, -9, v28
	v_dual_add_nc_u32 v93, -4, v28 :: v_dual_add_nc_u32 v94, -13, v28
	v_subrev_nc_u32_e32 v90, 19, v28
	v_dual_add_nc_u32 v95, -8, v28 :: v_dual_add_nc_u32 v96, -3, v28
	v_dual_add_nc_u32 v97, -12, v28 :: v_dual_add_nc_u32 v98, -7, v28
	;; [unrolled: 1-line block ×4, first 2 shown]
	s_clause 0xf
	global_load_b128 v[30:33], v28, s[8:9] scale_offset
	global_load_b128 v[34:37], v91, s[8:9] scale_offset
	;; [unrolled: 1-line block ×5, first 2 shown]
	global_load_b128 v[50:53], v90, s[8:9] offset:16 scale_offset
	global_load_b128 v[54:57], v94, s[8:9] scale_offset
	global_load_b128 v[58:61], v95, s[8:9] scale_offset
	;; [unrolled: 1-line block ×3, first 2 shown]
	global_load_b128 v[66:69], v90, s[8:9] offset:48 scale_offset
	global_load_b128 v[70:73], v90, s[8:9] offset:32 scale_offset
	global_load_b128 v[74:77], v97, s[8:9] scale_offset
	global_load_b128 v[78:81], v98, s[8:9] scale_offset
	;; [unrolled: 1-line block ×4, first 2 shown]
	; meta instruction
	; meta instruction
	; meta instruction
	; meta instruction
	; meta instruction
	; meta instruction
	; meta instruction
	; meta instruction
	; meta instruction
	; meta instruction
	; meta instruction
	global_load_b128 v[90:93], v101, s[8:9] scale_offset
	v_dual_add_nc_u32 v105, -15, v28 :: v_dual_add_nc_u32 v106, -10, v28
	v_add_nc_u32_e32 v27, 4, v27
	s_delay_alu instid0(VALU_DEP_1) | instskip(SKIP_3) | instid1(VALU_DEP_1)
	v_cmp_ge_i32_e32 vcc_lo, v27, v26
	s_or_b32 s2, vcc_lo, s2
	s_wait_loadcnt 0x10
	v_subrev_nc_u32_e32 v29, s12, v29
	v_lshl_add_u32 v29, v29, 2, v29
	v_add_nc_u32_e32 v107, -5, v28
	v_add_nc_u32_e32 v28, 0x50, v28
	global_load_b128 v[94:97], v29, s[10:11] scale_offset
	s_wait_loadcnt 0x0
	v_fmac_f64_e32 v[24:25], v[46:47], v[94:95]
	v_fmac_f64_e32 v[0:1], v[48:49], v[94:95]
	;; [unrolled: 1-line block ×8, first 2 shown]
	v_fma_f64 v[98:99], -v[48:49], v[96:97], v[24:25]
	v_add_nc_u32_e32 v24, 1, v29
	v_fmac_f64_e32 v[0:1], v[46:47], v[96:97]
	v_fma_f64 v[100:101], -v[36:37], v[96:97], v[22:23]
	v_add_nc_u32_e32 v22, 2, v29
	v_fmac_f64_e32 v[14:15], v[38:39], v[96:97]
	global_load_b128 v[46:49], v24, s[10:11] scale_offset
	v_add_nc_u32_e32 v38, 3, v29
	v_fmac_f64_e32 v[16:17], v[34:35], v[96:97]
	global_load_b128 v[22:25], v22, s[10:11] scale_offset
	v_fma_f64 v[102:103], -v[40:41], v[96:97], v[20:21]
	global_load_b128 v[34:37], v104, s[8:9] scale_offset
	global_load_b128 v[38:41], v38, s[10:11] scale_offset
	v_add_nc_u32_e32 v29, 4, v29
	v_fma_f64 v[94:95], -v[44:45], v[96:97], v[18:19]
	v_fmac_f64_e32 v[12:13], v[42:43], v[96:97]
	global_load_b128 v[18:21], v105, s[8:9] scale_offset
	s_wait_loadcnt 0x4
	v_fmac_f64_e32 v[98:99], v[50:51], v[46:47]
	v_fmac_f64_e32 v[0:1], v[52:53], v[46:47]
	;; [unrolled: 1-line block ×8, first 2 shown]
	v_fma_f64 v[96:97], -v[52:53], v[48:49], v[98:99]
	v_fmac_f64_e32 v[0:1], v[50:51], v[48:49]
	s_clause 0x1
	global_load_b128 v[42:45], v106, s[8:9] scale_offset
	global_load_b128 v[50:53], v107, s[8:9] scale_offset
	v_fma_f64 v[98:99], -v[56:57], v[48:49], v[100:101]
	v_fmac_f64_e32 v[16:17], v[54:55], v[48:49]
	global_load_b128 v[54:57], v29, s[10:11] scale_offset
	v_fma_f64 v[46:47], -v[60:61], v[48:49], v[102:103]
	v_fmac_f64_e32 v[14:15], v[58:59], v[48:49]
	v_fma_f64 v[58:59], -v[64:65], v[48:49], v[94:95]
	v_fmac_f64_e32 v[12:13], v[62:63], v[48:49]
	s_wait_loadcnt 0x6
	v_fmac_f64_e32 v[96:97], v[70:71], v[22:23]
	v_fmac_f64_e32 v[0:1], v[72:73], v[22:23]
	v_fmac_f64_e32 v[98:99], v[74:75], v[22:23]
	v_fmac_f64_e32 v[16:17], v[76:77], v[22:23]
	v_fmac_f64_e32 v[46:47], v[78:79], v[22:23]
	v_fmac_f64_e32 v[14:15], v[80:81], v[22:23]
	v_fmac_f64_e32 v[58:59], v[82:83], v[22:23]
	v_fmac_f64_e32 v[12:13], v[84:85], v[22:23]
	v_fma_f64 v[22:23], -v[72:73], v[24:25], v[96:97]
	v_fmac_f64_e32 v[0:1], v[70:71], v[24:25]
	v_fma_f64 v[48:49], -v[76:77], v[24:25], v[98:99]
	v_fmac_f64_e32 v[16:17], v[74:75], v[24:25]
	v_fma_f64 v[46:47], -v[80:81], v[24:25], v[46:47]
	v_fmac_f64_e32 v[14:15], v[78:79], v[24:25]
	v_fma_f64 v[58:59], -v[84:85], v[24:25], v[58:59]
	v_fmac_f64_e32 v[12:13], v[82:83], v[24:25]
	s_wait_loadcnt 0x4
	v_fmac_f64_e32 v[22:23], v[66:67], v[38:39]
	v_fmac_f64_e32 v[0:1], v[68:69], v[38:39]
	v_fmac_f64_e32 v[48:49], v[86:87], v[38:39]
	v_fmac_f64_e32 v[16:17], v[88:89], v[38:39]
	v_fmac_f64_e32 v[46:47], v[90:91], v[38:39]
	v_fmac_f64_e32 v[14:15], v[92:93], v[38:39]
	v_fmac_f64_e32 v[58:59], v[34:35], v[38:39]
	v_fmac_f64_e32 v[12:13], v[36:37], v[38:39]
	v_fma_f64 v[22:23], -v[68:69], v[40:41], v[22:23]
	v_fmac_f64_e32 v[0:1], v[66:67], v[40:41]
	v_fma_f64 v[38:39], -v[88:89], v[40:41], v[48:49]
	v_fmac_f64_e32 v[16:17], v[86:87], v[40:41]
	;; [unrolled: 17-line block ×3, first 2 shown]
	v_fma_f64 v[20:21], -v[52:53], v[56:57], v[46:47]
	v_fmac_f64_e32 v[14:15], v[50:51], v[56:57]
	v_fma_f64 v[18:19], -v[32:33], v[56:57], v[36:37]
	v_fmac_f64_e32 v[12:13], v[30:31], v[56:57]
	s_and_not1_b32 exec_lo, exec_lo, s2
	s_cbranch_execnz .LBB126_13
; %bb.14:
	s_or_b32 exec_lo, exec_lo, s2
.LBB126_15:
	s_delay_alu instid0(SALU_CYCLE_1)
	s_or_b32 exec_lo, exec_lo, s3
.LBB126_16:
	v_mbcnt_lo_u32_b32 v44, -1, 0
	s_delay_alu instid0(VALU_DEP_1) | instskip(NEXT) | instid1(VALU_DEP_1)
	v_xor_b32_e32 v26, 2, v44
	v_cmp_gt_i32_e32 vcc_lo, 32, v26
	v_cndmask_b32_e32 v26, v44, v26, vcc_lo
	s_delay_alu instid0(VALU_DEP_1)
	v_lshlrev_b32_e32 v30, 2, v26
	ds_bpermute_b32 v26, v30, v24
	ds_bpermute_b32 v27, v30, v25
	;; [unrolled: 1-line block ×16, first 2 shown]
	s_wait_dscnt 0xe
	v_add_f64_e32 v[30:31], v[24:25], v[26:27]
	s_wait_dscnt 0xc
	v_add_f64_e32 v[24:25], v[0:1], v[28:29]
	v_xor_b32_e32 v0, 1, v44
	s_wait_dscnt 0xa
	v_add_f64_e32 v[28:29], v[22:23], v[32:33]
	s_wait_dscnt 0x8
	v_add_f64_e32 v[22:23], v[16:17], v[34:35]
	v_cmp_gt_i32_e32 vcc_lo, 32, v0
	s_wait_dscnt 0x6
	v_add_f64_e32 v[26:27], v[20:21], v[36:37]
	s_wait_dscnt 0x4
	v_add_f64_e32 v[20:21], v[14:15], v[38:39]
	;; [unrolled: 2-line block ×3, first 2 shown]
	v_cndmask_b32_e32 v0, v44, v0, vcc_lo
	s_wait_dscnt 0x0
	v_add_f64_e32 v[18:19], v[12:13], v[42:43]
	v_cmp_eq_u32_e32 vcc_lo, 3, v11
	s_delay_alu instid0(VALU_DEP_3)
	v_lshlrev_b32_e32 v35, 2, v0
	ds_bpermute_b32 v0, v35, v30
	ds_bpermute_b32 v1, v35, v31
	;; [unrolled: 1-line block ×16, first 2 shown]
	s_and_b32 exec_lo, exec_lo, vcc_lo
	s_cbranch_execz .LBB126_21
; %bb.17:
	v_cmp_eq_f64_e32 vcc_lo, 0, v[6:7]
	v_cmp_eq_f64_e64 s2, 0, v[8:9]
	s_wait_dscnt 0xe
	v_add_f64_e32 v[0:1], v[30:31], v[0:1]
	s_wait_dscnt 0xc
	v_add_f64_e32 v[24:25], v[24:25], v[40:41]
	;; [unrolled: 2-line block ×8, first 2 shown]
	s_load_b64 s[0:1], s[0:1], 0x48
	s_and_b32 s2, vcc_lo, s2
	s_delay_alu instid0(SALU_CYCLE_1) | instskip(NEXT) | instid1(SALU_CYCLE_1)
	s_and_saveexec_b32 s3, s2
	s_xor_b32 s2, exec_lo, s3
	s_cbranch_execz .LBB126_19
; %bb.18:
	v_mul_f64_e64 v[6:7], v[24:25], -v[4:5]
	v_mul_f64_e32 v[8:9], v[2:3], v[24:25]
	v_mul_f64_e64 v[24:25], v[22:23], -v[4:5]
	v_mul_f64_e32 v[26:27], v[2:3], v[22:23]
	;; [unrolled: 2-line block ×4, first 2 shown]
                                        ; implicit-def: $vgpr18_vgpr19
	v_fmac_f64_e32 v[6:7], v[2:3], v[0:1]
	v_fmac_f64_e32 v[8:9], v[4:5], v[0:1]
	;; [unrolled: 1-line block ×8, first 2 shown]
	v_lshlrev_b32_e32 v0, 2, v10
                                        ; implicit-def: $vgpr10
                                        ; implicit-def: $vgpr12_vgpr13
                                        ; implicit-def: $vgpr14_vgpr15
                                        ; implicit-def: $vgpr16_vgpr17
                                        ; implicit-def: $vgpr4_vgpr5
	s_wait_kmcnt 0x0
	s_clause 0x3
	global_store_b128 v0, v[6:9], s[0:1] scale_offset
	global_store_b128 v0, v[24:27], s[0:1] offset:16 scale_offset
	global_store_b128 v0, v[28:31], s[0:1] offset:32 scale_offset
	;; [unrolled: 1-line block ×3, first 2 shown]
                                        ; implicit-def: $vgpr0_vgpr1
                                        ; implicit-def: $vgpr24_vgpr25
                                        ; implicit-def: $vgpr22_vgpr23
                                        ; implicit-def: $vgpr20_vgpr21
                                        ; implicit-def: $vgpr8_vgpr9
.LBB126_19:
	s_wait_xcnt 0x0
	s_and_not1_saveexec_b32 s2, s2
	s_cbranch_execz .LBB126_21
; %bb.20:
	v_dual_mul_f64 v[42:43], v[24:25], -v[4:5] :: v_dual_lshlrev_b32 v52, 2, v10
	v_mul_f64_e32 v[24:25], v[2:3], v[24:25]
	v_mul_f64_e64 v[46:47], v[22:23], -v[4:5]
	v_mul_f64_e32 v[44:45], v[2:3], v[22:23]
	s_wait_kmcnt 0x0
	s_clause 0x3
	global_load_b128 v[26:29], v52, s[0:1] scale_offset
	global_load_b128 v[30:33], v52, s[0:1] offset:16 scale_offset
	global_load_b128 v[34:37], v52, s[0:1] offset:32 scale_offset
	;; [unrolled: 1-line block ×3, first 2 shown]
	v_mul_f64_e64 v[48:49], v[20:21], -v[4:5]
	v_mul_f64_e32 v[20:21], v[2:3], v[20:21]
	v_mul_f64_e64 v[50:51], v[18:19], -v[4:5]
	v_mul_f64_e32 v[10:11], v[2:3], v[18:19]
	v_fmac_f64_e32 v[42:43], v[2:3], v[0:1]
	v_fmac_f64_e32 v[24:25], v[4:5], v[0:1]
	;; [unrolled: 1-line block ×8, first 2 shown]
	s_wait_loadcnt 0x3
	v_fmac_f64_e32 v[42:43], v[6:7], v[26:27]
	v_fmac_f64_e32 v[24:25], v[8:9], v[26:27]
	s_wait_loadcnt 0x2
	v_fmac_f64_e32 v[46:47], v[6:7], v[30:31]
	v_fmac_f64_e32 v[44:45], v[8:9], v[30:31]
	s_wait_loadcnt 0x1
	v_fmac_f64_e32 v[48:49], v[6:7], v[34:35]
	v_fmac_f64_e32 v[20:21], v[8:9], v[34:35]
	s_wait_loadcnt 0x0
	v_fmac_f64_e32 v[50:51], v[6:7], v[38:39]
	v_fmac_f64_e32 v[10:11], v[8:9], v[38:39]
	v_fma_f64 v[22:23], -v[8:9], v[28:29], v[42:43]
	v_fmac_f64_e32 v[24:25], v[6:7], v[28:29]
	v_fma_f64 v[42:43], -v[8:9], v[32:33], v[46:47]
	v_fmac_f64_e32 v[44:45], v[6:7], v[32:33]
	;; [unrolled: 2-line block ×4, first 2 shown]
	s_clause 0x3
	global_store_b128 v52, v[22:25], s[0:1] scale_offset
	global_store_b128 v52, v[42:45], s[0:1] offset:16 scale_offset
	global_store_b128 v52, v[18:21], s[0:1] offset:32 scale_offset
	;; [unrolled: 1-line block ×3, first 2 shown]
.LBB126_21:
	s_sendmsg sendmsg(MSG_DEALLOC_VGPRS)
	s_endpgm
	.section	.rodata,"a",@progbits
	.p2align	6, 0x0
	.amdhsa_kernel _ZN9rocsparseL19gebsrmvn_4xn_kernelILj128ELj5ELj4E21rocsparse_complex_numIdEEEvi20rocsparse_direction_NS_24const_host_device_scalarIT2_EEPKiS8_PKS5_SA_S6_PS5_21rocsparse_index_base_b
		.amdhsa_group_segment_fixed_size 0
		.amdhsa_private_segment_fixed_size 0
		.amdhsa_kernarg_size 88
		.amdhsa_user_sgpr_count 2
		.amdhsa_user_sgpr_dispatch_ptr 0
		.amdhsa_user_sgpr_queue_ptr 0
		.amdhsa_user_sgpr_kernarg_segment_ptr 1
		.amdhsa_user_sgpr_dispatch_id 0
		.amdhsa_user_sgpr_kernarg_preload_length 0
		.amdhsa_user_sgpr_kernarg_preload_offset 0
		.amdhsa_user_sgpr_private_segment_size 0
		.amdhsa_wavefront_size32 1
		.amdhsa_uses_dynamic_stack 0
		.amdhsa_enable_private_segment 0
		.amdhsa_system_sgpr_workgroup_id_x 1
		.amdhsa_system_sgpr_workgroup_id_y 0
		.amdhsa_system_sgpr_workgroup_id_z 0
		.amdhsa_system_sgpr_workgroup_info 0
		.amdhsa_system_vgpr_workitem_id 0
		.amdhsa_next_free_vgpr 121
		.amdhsa_next_free_sgpr 14
		.amdhsa_named_barrier_count 0
		.amdhsa_reserve_vcc 1
		.amdhsa_float_round_mode_32 0
		.amdhsa_float_round_mode_16_64 0
		.amdhsa_float_denorm_mode_32 3
		.amdhsa_float_denorm_mode_16_64 3
		.amdhsa_fp16_overflow 0
		.amdhsa_memory_ordered 1
		.amdhsa_forward_progress 1
		.amdhsa_inst_pref_size 26
		.amdhsa_round_robin_scheduling 0
		.amdhsa_exception_fp_ieee_invalid_op 0
		.amdhsa_exception_fp_denorm_src 0
		.amdhsa_exception_fp_ieee_div_zero 0
		.amdhsa_exception_fp_ieee_overflow 0
		.amdhsa_exception_fp_ieee_underflow 0
		.amdhsa_exception_fp_ieee_inexact 0
		.amdhsa_exception_int_div_zero 0
	.end_amdhsa_kernel
	.section	.text._ZN9rocsparseL19gebsrmvn_4xn_kernelILj128ELj5ELj4E21rocsparse_complex_numIdEEEvi20rocsparse_direction_NS_24const_host_device_scalarIT2_EEPKiS8_PKS5_SA_S6_PS5_21rocsparse_index_base_b,"axG",@progbits,_ZN9rocsparseL19gebsrmvn_4xn_kernelILj128ELj5ELj4E21rocsparse_complex_numIdEEEvi20rocsparse_direction_NS_24const_host_device_scalarIT2_EEPKiS8_PKS5_SA_S6_PS5_21rocsparse_index_base_b,comdat
.Lfunc_end126:
	.size	_ZN9rocsparseL19gebsrmvn_4xn_kernelILj128ELj5ELj4E21rocsparse_complex_numIdEEEvi20rocsparse_direction_NS_24const_host_device_scalarIT2_EEPKiS8_PKS5_SA_S6_PS5_21rocsparse_index_base_b, .Lfunc_end126-_ZN9rocsparseL19gebsrmvn_4xn_kernelILj128ELj5ELj4E21rocsparse_complex_numIdEEEvi20rocsparse_direction_NS_24const_host_device_scalarIT2_EEPKiS8_PKS5_SA_S6_PS5_21rocsparse_index_base_b
                                        ; -- End function
	.set _ZN9rocsparseL19gebsrmvn_4xn_kernelILj128ELj5ELj4E21rocsparse_complex_numIdEEEvi20rocsparse_direction_NS_24const_host_device_scalarIT2_EEPKiS8_PKS5_SA_S6_PS5_21rocsparse_index_base_b.num_vgpr, 121
	.set _ZN9rocsparseL19gebsrmvn_4xn_kernelILj128ELj5ELj4E21rocsparse_complex_numIdEEEvi20rocsparse_direction_NS_24const_host_device_scalarIT2_EEPKiS8_PKS5_SA_S6_PS5_21rocsparse_index_base_b.num_agpr, 0
	.set _ZN9rocsparseL19gebsrmvn_4xn_kernelILj128ELj5ELj4E21rocsparse_complex_numIdEEEvi20rocsparse_direction_NS_24const_host_device_scalarIT2_EEPKiS8_PKS5_SA_S6_PS5_21rocsparse_index_base_b.numbered_sgpr, 14
	.set _ZN9rocsparseL19gebsrmvn_4xn_kernelILj128ELj5ELj4E21rocsparse_complex_numIdEEEvi20rocsparse_direction_NS_24const_host_device_scalarIT2_EEPKiS8_PKS5_SA_S6_PS5_21rocsparse_index_base_b.num_named_barrier, 0
	.set _ZN9rocsparseL19gebsrmvn_4xn_kernelILj128ELj5ELj4E21rocsparse_complex_numIdEEEvi20rocsparse_direction_NS_24const_host_device_scalarIT2_EEPKiS8_PKS5_SA_S6_PS5_21rocsparse_index_base_b.private_seg_size, 0
	.set _ZN9rocsparseL19gebsrmvn_4xn_kernelILj128ELj5ELj4E21rocsparse_complex_numIdEEEvi20rocsparse_direction_NS_24const_host_device_scalarIT2_EEPKiS8_PKS5_SA_S6_PS5_21rocsparse_index_base_b.uses_vcc, 1
	.set _ZN9rocsparseL19gebsrmvn_4xn_kernelILj128ELj5ELj4E21rocsparse_complex_numIdEEEvi20rocsparse_direction_NS_24const_host_device_scalarIT2_EEPKiS8_PKS5_SA_S6_PS5_21rocsparse_index_base_b.uses_flat_scratch, 0
	.set _ZN9rocsparseL19gebsrmvn_4xn_kernelILj128ELj5ELj4E21rocsparse_complex_numIdEEEvi20rocsparse_direction_NS_24const_host_device_scalarIT2_EEPKiS8_PKS5_SA_S6_PS5_21rocsparse_index_base_b.has_dyn_sized_stack, 0
	.set _ZN9rocsparseL19gebsrmvn_4xn_kernelILj128ELj5ELj4E21rocsparse_complex_numIdEEEvi20rocsparse_direction_NS_24const_host_device_scalarIT2_EEPKiS8_PKS5_SA_S6_PS5_21rocsparse_index_base_b.has_recursion, 0
	.set _ZN9rocsparseL19gebsrmvn_4xn_kernelILj128ELj5ELj4E21rocsparse_complex_numIdEEEvi20rocsparse_direction_NS_24const_host_device_scalarIT2_EEPKiS8_PKS5_SA_S6_PS5_21rocsparse_index_base_b.has_indirect_call, 0
	.section	.AMDGPU.csdata,"",@progbits
; Kernel info:
; codeLenInByte = 3224
; TotalNumSgprs: 16
; NumVgprs: 121
; ScratchSize: 0
; MemoryBound: 0
; FloatMode: 240
; IeeeMode: 1
; LDSByteSize: 0 bytes/workgroup (compile time only)
; SGPRBlocks: 0
; VGPRBlocks: 7
; NumSGPRsForWavesPerEU: 16
; NumVGPRsForWavesPerEU: 121
; NamedBarCnt: 0
; Occupancy: 8
; WaveLimiterHint : 1
; COMPUTE_PGM_RSRC2:SCRATCH_EN: 0
; COMPUTE_PGM_RSRC2:USER_SGPR: 2
; COMPUTE_PGM_RSRC2:TRAP_HANDLER: 0
; COMPUTE_PGM_RSRC2:TGID_X_EN: 1
; COMPUTE_PGM_RSRC2:TGID_Y_EN: 0
; COMPUTE_PGM_RSRC2:TGID_Z_EN: 0
; COMPUTE_PGM_RSRC2:TIDIG_COMP_CNT: 0
	.section	.text._ZN9rocsparseL19gebsrmvn_4xn_kernelILj128ELj5ELj8E21rocsparse_complex_numIdEEEvi20rocsparse_direction_NS_24const_host_device_scalarIT2_EEPKiS8_PKS5_SA_S6_PS5_21rocsparse_index_base_b,"axG",@progbits,_ZN9rocsparseL19gebsrmvn_4xn_kernelILj128ELj5ELj8E21rocsparse_complex_numIdEEEvi20rocsparse_direction_NS_24const_host_device_scalarIT2_EEPKiS8_PKS5_SA_S6_PS5_21rocsparse_index_base_b,comdat
	.globl	_ZN9rocsparseL19gebsrmvn_4xn_kernelILj128ELj5ELj8E21rocsparse_complex_numIdEEEvi20rocsparse_direction_NS_24const_host_device_scalarIT2_EEPKiS8_PKS5_SA_S6_PS5_21rocsparse_index_base_b ; -- Begin function _ZN9rocsparseL19gebsrmvn_4xn_kernelILj128ELj5ELj8E21rocsparse_complex_numIdEEEvi20rocsparse_direction_NS_24const_host_device_scalarIT2_EEPKiS8_PKS5_SA_S6_PS5_21rocsparse_index_base_b
	.p2align	8
	.type	_ZN9rocsparseL19gebsrmvn_4xn_kernelILj128ELj5ELj8E21rocsparse_complex_numIdEEEvi20rocsparse_direction_NS_24const_host_device_scalarIT2_EEPKiS8_PKS5_SA_S6_PS5_21rocsparse_index_base_b,@function
_ZN9rocsparseL19gebsrmvn_4xn_kernelILj128ELj5ELj8E21rocsparse_complex_numIdEEEvi20rocsparse_direction_NS_24const_host_device_scalarIT2_EEPKiS8_PKS5_SA_S6_PS5_21rocsparse_index_base_b: ; @_ZN9rocsparseL19gebsrmvn_4xn_kernelILj128ELj5ELj8E21rocsparse_complex_numIdEEEvi20rocsparse_direction_NS_24const_host_device_scalarIT2_EEPKiS8_PKS5_SA_S6_PS5_21rocsparse_index_base_b
; %bb.0:
	s_clause 0x1
	s_load_b64 s[12:13], s[0:1], 0x50
	s_load_b64 s[2:3], s[0:1], 0x8
	v_mov_b32_e32 v1, 0
	s_add_nc_u64 s[4:5], s[0:1], 8
	s_load_b64 s[6:7], s[0:1], 0x38
	s_wait_kmcnt 0x0
	s_bitcmp1_b32 s13, 0
	s_cselect_b32 s3, s5, s3
	s_cselect_b32 s2, s4, s2
	flat_load_b128 v[2:5], v1, s[2:3]
	s_wait_xcnt 0x0
	s_add_nc_u64 s[2:3], s[0:1], 56
	s_delay_alu instid0(SALU_CYCLE_1)
	s_cselect_b32 s3, s3, s7
	s_cselect_b32 s2, s2, s6
	flat_load_b128 v[6:9], v1, s[2:3]
	s_wait_loadcnt_dscnt 0x101
	v_cmp_eq_f64_e32 vcc_lo, 0, v[2:3]
	s_wait_xcnt 0x0
	v_cmp_eq_f64_e64 s2, 0, v[4:5]
	s_and_b32 s4, vcc_lo, s2
	s_mov_b32 s2, -1
	s_and_saveexec_b32 s3, s4
	s_cbranch_execz .LBB127_2
; %bb.1:
	s_wait_loadcnt_dscnt 0x0
	v_cmp_neq_f64_e32 vcc_lo, 1.0, v[6:7]
	v_cmp_neq_f64_e64 s2, 0, v[8:9]
	s_or_b32 s2, vcc_lo, s2
	s_delay_alu instid0(SALU_CYCLE_1)
	s_or_not1_b32 s2, s2, exec_lo
.LBB127_2:
	s_or_b32 exec_lo, exec_lo, s3
	s_and_saveexec_b32 s3, s2
	s_cbranch_execz .LBB127_21
; %bb.3:
	s_load_b64 s[2:3], s[0:1], 0x0
	s_bfe_u32 s4, ttmp6, 0x4000c
	s_and_b32 s5, ttmp6, 15
	s_add_co_i32 s4, s4, 1
	s_getreg_b32 s6, hwreg(HW_REG_IB_STS2, 6, 4)
	s_mul_i32 s4, ttmp9, s4
	v_lshrrev_b32_e32 v1, 3, v0
	s_add_co_i32 s5, s5, s4
	s_cmp_eq_u32 s6, 0
	s_cselect_b32 s4, ttmp9, s5
	s_delay_alu instid0(VALU_DEP_1) | instid1(SALU_CYCLE_1)
	v_lshl_or_b32 v10, s4, 4, v1
	s_wait_kmcnt 0x0
	s_delay_alu instid0(VALU_DEP_1)
	v_cmp_gt_i32_e32 vcc_lo, s2, v10
	s_and_b32 exec_lo, exec_lo, vcc_lo
	s_cbranch_execz .LBB127_21
; %bb.4:
	s_load_b256 s[4:11], s[0:1], 0x18
	v_ashrrev_i32_e32 v11, 31, v10
	s_cmp_lg_u32 s3, 0
	s_wait_kmcnt 0x0
	s_delay_alu instid0(VALU_DEP_1)
	v_lshl_add_u64 v[12:13], v[10:11], 2, s[4:5]
	v_and_b32_e32 v11, 7, v0
	global_load_b64 v[12:13], v[12:13], off
	s_wait_loadcnt 0x0
	v_subrev_nc_u32_e32 v0, s12, v12
	v_subrev_nc_u32_e32 v26, s12, v13
	s_delay_alu instid0(VALU_DEP_2) | instskip(NEXT) | instid1(VALU_DEP_1)
	v_add_nc_u32_e32 v27, v0, v11
	v_cmp_lt_i32_e64 s2, v27, v26
	s_cbranch_scc0 .LBB127_10
; %bb.5:
	v_mov_b64_e32 v[0:1], 0
	v_mov_b64_e32 v[24:25], 0
	;; [unrolled: 1-line block ×8, first 2 shown]
	s_and_saveexec_b32 s3, s2
	s_cbranch_execz .LBB127_9
; %bb.6:
	v_mad_u32 v28, v27, 20, 16
	v_mov_b64_e32 v[0:1], 0
	v_mov_b64_e32 v[24:25], 0
	;; [unrolled: 1-line block ×8, first 2 shown]
	v_mov_b32_e32 v29, v27
	s_mov_b32 s4, 0
.LBB127_7:                              ; =>This Inner Loop Header: Depth=1
	global_load_b32 v46, v29, s[6:7] scale_offset
	v_dual_add_nc_u32 v47, -16, v28 :: v_dual_add_nc_u32 v66, -12, v28
	v_dual_add_nc_u32 v86, -8, v28 :: v_dual_add_nc_u32 v118, -4, v28
	s_clause 0x3
	global_load_b128 v[30:33], v47, s[8:9] offset:48 scale_offset
	global_load_b128 v[34:37], v47, s[8:9] offset:32 scale_offset
	;; [unrolled: 1-line block ×3, first 2 shown]
	global_load_b128 v[42:45], v47, s[8:9] scale_offset
	s_wait_xcnt 0x4
	v_add_nc_u32_e32 v29, 8, v29
	s_delay_alu instid0(VALU_DEP_1) | instskip(SKIP_3) | instid1(VALU_DEP_1)
	v_cmp_ge_i32_e32 vcc_lo, v29, v26
	s_or_b32 s4, vcc_lo, s4
	s_wait_loadcnt 0x4
	v_subrev_nc_u32_e32 v46, s12, v46
	v_lshl_add_u32 v120, v46, 2, v46
	global_load_b128 v[46:49], v120, s[10:11] scale_offset
	s_clause 0x3
	global_load_b128 v[50:53], v66, s[8:9] offset:48 scale_offset
	global_load_b128 v[54:57], v66, s[8:9] offset:32 scale_offset
	;; [unrolled: 1-line block ×3, first 2 shown]
	global_load_b128 v[62:65], v66, s[8:9] scale_offset
	s_wait_xcnt 0x0
	v_add_nc_u32_e32 v66, 1, v120
	global_load_b128 v[66:69], v66, s[10:11] scale_offset
	s_clause 0x3
	global_load_b128 v[70:73], v86, s[8:9] offset:48 scale_offset
	global_load_b128 v[74:77], v86, s[8:9] offset:32 scale_offset
	;; [unrolled: 1-line block ×3, first 2 shown]
	global_load_b128 v[82:85], v86, s[8:9] scale_offset
	s_wait_xcnt 0x0
	v_add_nc_u32_e32 v86, 2, v120
	global_load_b128 v[86:89], v86, s[10:11] scale_offset
	s_clause 0x6
	global_load_b128 v[90:93], v28, s[8:9] offset:48 scale_offset
	global_load_b128 v[94:97], v28, s[8:9] offset:32 scale_offset
	;; [unrolled: 1-line block ×6, first 2 shown]
	global_load_b128 v[114:117], v118, s[8:9] scale_offset
	s_wait_loadcnt 0x11
	v_fmac_f64_e32 v[24:25], v[42:43], v[46:47]
	v_fmac_f64_e32 v[0:1], v[44:45], v[46:47]
	;; [unrolled: 1-line block ×8, first 2 shown]
	s_wait_xcnt 0x0
	v_fma_f64 v[118:119], -v[44:45], v[48:49], v[24:25]
	v_add_nc_u32_e32 v24, 3, v120
	v_fmac_f64_e32 v[0:1], v[42:43], v[48:49]
	v_fmac_f64_e32 v[16:17], v[38:39], v[48:49]
	v_add_nc_u32_e32 v38, 4, v120
	v_fma_f64 v[40:41], -v[40:41], v[48:49], v[22:23]
	global_load_b128 v[42:45], v24, s[10:11] scale_offset
	v_fma_f64 v[20:21], -v[36:37], v[48:49], v[20:21]
	v_fmac_f64_e32 v[14:15], v[34:35], v[48:49]
	global_load_b128 v[34:37], v38, s[10:11] scale_offset
	global_load_b128 v[22:25], v28, s[8:9] scale_offset
	v_fma_f64 v[18:19], -v[32:33], v[48:49], v[18:19]
	v_fmac_f64_e32 v[12:13], v[30:31], v[48:49]
	s_wait_xcnt 0x0
	v_add_nc_u32_e32 v28, 0xa0, v28
	s_wait_loadcnt 0xf
	v_fmac_f64_e32 v[118:119], v[62:63], v[66:67]
	v_fmac_f64_e32 v[0:1], v[64:65], v[66:67]
	v_fmac_f64_e32 v[16:17], v[60:61], v[66:67]
	v_fmac_f64_e32 v[40:41], v[58:59], v[66:67]
	v_fmac_f64_e32 v[20:21], v[54:55], v[66:67]
	v_fmac_f64_e32 v[14:15], v[56:57], v[66:67]
	v_fmac_f64_e32 v[18:19], v[50:51], v[66:67]
	v_fmac_f64_e32 v[12:13], v[52:53], v[66:67]
	v_fma_f64 v[30:31], -v[64:65], v[68:69], v[118:119]
	v_fmac_f64_e32 v[0:1], v[62:63], v[68:69]
	v_fmac_f64_e32 v[16:17], v[58:59], v[68:69]
	v_fma_f64 v[32:33], -v[60:61], v[68:69], v[40:41]
	v_fma_f64 v[20:21], -v[56:57], v[68:69], v[20:21]
	v_fmac_f64_e32 v[14:15], v[54:55], v[68:69]
	v_fma_f64 v[18:19], -v[52:53], v[68:69], v[18:19]
	v_fmac_f64_e32 v[12:13], v[50:51], v[68:69]
	s_wait_loadcnt 0xa
	v_fmac_f64_e32 v[30:31], v[82:83], v[86:87]
	v_fmac_f64_e32 v[0:1], v[84:85], v[86:87]
	;; [unrolled: 1-line block ×8, first 2 shown]
	v_fma_f64 v[30:31], -v[84:85], v[88:89], v[30:31]
	v_fmac_f64_e32 v[0:1], v[82:83], v[88:89]
	v_fmac_f64_e32 v[16:17], v[78:79], v[88:89]
	v_fma_f64 v[32:33], -v[80:81], v[88:89], v[32:33]
	v_fma_f64 v[20:21], -v[76:77], v[88:89], v[20:21]
	v_fmac_f64_e32 v[14:15], v[74:75], v[88:89]
	v_fma_f64 v[18:19], -v[72:73], v[88:89], v[18:19]
	v_fmac_f64_e32 v[12:13], v[70:71], v[88:89]
	s_wait_loadcnt 0x2
	v_fmac_f64_e32 v[30:31], v[114:115], v[42:43]
	v_fmac_f64_e32 v[0:1], v[116:117], v[42:43]
	;; [unrolled: 1-line block ×8, first 2 shown]
	v_fma_f64 v[30:31], -v[116:117], v[44:45], v[30:31]
	v_fmac_f64_e32 v[0:1], v[114:115], v[44:45]
	v_fma_f64 v[32:33], -v[112:113], v[44:45], v[32:33]
	v_fmac_f64_e32 v[16:17], v[110:111], v[44:45]
	;; [unrolled: 2-line block ×4, first 2 shown]
	s_wait_loadcnt 0x0
	v_fmac_f64_e32 v[30:31], v[22:23], v[34:35]
	v_fmac_f64_e32 v[0:1], v[24:25], v[34:35]
	;; [unrolled: 1-line block ×8, first 2 shown]
	v_fma_f64 v[24:25], -v[24:25], v[36:37], v[30:31]
	v_fmac_f64_e32 v[0:1], v[22:23], v[36:37]
	v_fma_f64 v[22:23], -v[100:101], v[36:37], v[32:33]
	v_fmac_f64_e32 v[16:17], v[98:99], v[36:37]
	;; [unrolled: 2-line block ×4, first 2 shown]
	s_and_not1_b32 exec_lo, exec_lo, s4
	s_cbranch_execnz .LBB127_7
; %bb.8:
	s_or_b32 exec_lo, exec_lo, s4
.LBB127_9:
	s_delay_alu instid0(SALU_CYCLE_1)
	s_or_b32 exec_lo, exec_lo, s3
	s_cbranch_execz .LBB127_11
	s_branch .LBB127_16
.LBB127_10:
                                        ; implicit-def: $vgpr0_vgpr1
                                        ; implicit-def: $vgpr24_vgpr25
                                        ; implicit-def: $vgpr18_vgpr19
                                        ; implicit-def: $vgpr12_vgpr13
                                        ; implicit-def: $vgpr20_vgpr21
                                        ; implicit-def: $vgpr14_vgpr15
                                        ; implicit-def: $vgpr22_vgpr23
                                        ; implicit-def: $vgpr16_vgpr17
.LBB127_11:
	v_mov_b64_e32 v[0:1], 0
	v_mov_b64_e32 v[24:25], 0
	;; [unrolled: 1-line block ×8, first 2 shown]
	s_and_saveexec_b32 s3, s2
	s_cbranch_execz .LBB127_15
; %bb.12:
	v_mad_u32 v28, v27, 20, 19
	v_mov_b64_e32 v[0:1], 0
	v_mov_b64_e32 v[24:25], 0
	;; [unrolled: 1-line block ×8, first 2 shown]
	s_mov_b32 s2, 0
.LBB127_13:                             ; =>This Inner Loop Header: Depth=1
	global_load_b32 v29, v27, s[6:7] scale_offset
	v_dual_add_nc_u32 v91, -14, v28 :: v_dual_add_nc_u32 v92, -9, v28
	v_dual_add_nc_u32 v93, -4, v28 :: v_dual_add_nc_u32 v94, -13, v28
	v_subrev_nc_u32_e32 v90, 19, v28
	v_dual_add_nc_u32 v95, -8, v28 :: v_dual_add_nc_u32 v96, -3, v28
	v_dual_add_nc_u32 v97, -12, v28 :: v_dual_add_nc_u32 v98, -7, v28
	;; [unrolled: 1-line block ×4, first 2 shown]
	s_clause 0xf
	global_load_b128 v[30:33], v28, s[8:9] scale_offset
	global_load_b128 v[34:37], v91, s[8:9] scale_offset
	;; [unrolled: 1-line block ×5, first 2 shown]
	global_load_b128 v[50:53], v90, s[8:9] offset:16 scale_offset
	global_load_b128 v[54:57], v94, s[8:9] scale_offset
	global_load_b128 v[58:61], v95, s[8:9] scale_offset
	;; [unrolled: 1-line block ×3, first 2 shown]
	global_load_b128 v[66:69], v90, s[8:9] offset:48 scale_offset
	global_load_b128 v[70:73], v90, s[8:9] offset:32 scale_offset
	global_load_b128 v[74:77], v97, s[8:9] scale_offset
	global_load_b128 v[78:81], v98, s[8:9] scale_offset
	;; [unrolled: 1-line block ×4, first 2 shown]
	; meta instruction
	; meta instruction
	;; [unrolled: 1-line block ×11, first 2 shown]
	global_load_b128 v[90:93], v101, s[8:9] scale_offset
	v_dual_add_nc_u32 v105, -15, v28 :: v_dual_add_nc_u32 v106, -10, v28
	v_add_nc_u32_e32 v27, 8, v27
	s_delay_alu instid0(VALU_DEP_1) | instskip(SKIP_3) | instid1(VALU_DEP_1)
	v_cmp_ge_i32_e32 vcc_lo, v27, v26
	s_or_b32 s2, vcc_lo, s2
	s_wait_loadcnt 0x10
	v_subrev_nc_u32_e32 v29, s12, v29
	v_lshl_add_u32 v29, v29, 2, v29
	v_add_nc_u32_e32 v107, -5, v28
	v_add_nc_u32_e32 v28, 0xa0, v28
	global_load_b128 v[94:97], v29, s[10:11] scale_offset
	s_wait_loadcnt 0x0
	v_fmac_f64_e32 v[24:25], v[46:47], v[94:95]
	v_fmac_f64_e32 v[0:1], v[48:49], v[94:95]
	;; [unrolled: 1-line block ×8, first 2 shown]
	v_fma_f64 v[98:99], -v[48:49], v[96:97], v[24:25]
	v_add_nc_u32_e32 v24, 1, v29
	v_fmac_f64_e32 v[0:1], v[46:47], v[96:97]
	v_fma_f64 v[100:101], -v[36:37], v[96:97], v[22:23]
	v_add_nc_u32_e32 v22, 2, v29
	v_fmac_f64_e32 v[14:15], v[38:39], v[96:97]
	global_load_b128 v[46:49], v24, s[10:11] scale_offset
	v_add_nc_u32_e32 v38, 3, v29
	v_fmac_f64_e32 v[16:17], v[34:35], v[96:97]
	global_load_b128 v[22:25], v22, s[10:11] scale_offset
	v_fma_f64 v[102:103], -v[40:41], v[96:97], v[20:21]
	global_load_b128 v[34:37], v104, s[8:9] scale_offset
	global_load_b128 v[38:41], v38, s[10:11] scale_offset
	v_add_nc_u32_e32 v29, 4, v29
	v_fma_f64 v[94:95], -v[44:45], v[96:97], v[18:19]
	v_fmac_f64_e32 v[12:13], v[42:43], v[96:97]
	global_load_b128 v[18:21], v105, s[8:9] scale_offset
	s_wait_loadcnt 0x4
	v_fmac_f64_e32 v[98:99], v[50:51], v[46:47]
	v_fmac_f64_e32 v[0:1], v[52:53], v[46:47]
	;; [unrolled: 1-line block ×8, first 2 shown]
	v_fma_f64 v[96:97], -v[52:53], v[48:49], v[98:99]
	v_fmac_f64_e32 v[0:1], v[50:51], v[48:49]
	s_clause 0x1
	global_load_b128 v[42:45], v106, s[8:9] scale_offset
	global_load_b128 v[50:53], v107, s[8:9] scale_offset
	v_fma_f64 v[98:99], -v[56:57], v[48:49], v[100:101]
	v_fmac_f64_e32 v[16:17], v[54:55], v[48:49]
	global_load_b128 v[54:57], v29, s[10:11] scale_offset
	v_fma_f64 v[46:47], -v[60:61], v[48:49], v[102:103]
	v_fmac_f64_e32 v[14:15], v[58:59], v[48:49]
	v_fma_f64 v[58:59], -v[64:65], v[48:49], v[94:95]
	v_fmac_f64_e32 v[12:13], v[62:63], v[48:49]
	s_wait_loadcnt 0x6
	v_fmac_f64_e32 v[96:97], v[70:71], v[22:23]
	v_fmac_f64_e32 v[0:1], v[72:73], v[22:23]
	v_fmac_f64_e32 v[98:99], v[74:75], v[22:23]
	v_fmac_f64_e32 v[16:17], v[76:77], v[22:23]
	v_fmac_f64_e32 v[46:47], v[78:79], v[22:23]
	v_fmac_f64_e32 v[14:15], v[80:81], v[22:23]
	v_fmac_f64_e32 v[58:59], v[82:83], v[22:23]
	v_fmac_f64_e32 v[12:13], v[84:85], v[22:23]
	v_fma_f64 v[22:23], -v[72:73], v[24:25], v[96:97]
	v_fmac_f64_e32 v[0:1], v[70:71], v[24:25]
	v_fma_f64 v[48:49], -v[76:77], v[24:25], v[98:99]
	v_fmac_f64_e32 v[16:17], v[74:75], v[24:25]
	v_fma_f64 v[46:47], -v[80:81], v[24:25], v[46:47]
	v_fmac_f64_e32 v[14:15], v[78:79], v[24:25]
	v_fma_f64 v[58:59], -v[84:85], v[24:25], v[58:59]
	v_fmac_f64_e32 v[12:13], v[82:83], v[24:25]
	s_wait_loadcnt 0x4
	v_fmac_f64_e32 v[22:23], v[66:67], v[38:39]
	v_fmac_f64_e32 v[0:1], v[68:69], v[38:39]
	v_fmac_f64_e32 v[48:49], v[86:87], v[38:39]
	v_fmac_f64_e32 v[16:17], v[88:89], v[38:39]
	v_fmac_f64_e32 v[46:47], v[90:91], v[38:39]
	v_fmac_f64_e32 v[14:15], v[92:93], v[38:39]
	v_fmac_f64_e32 v[58:59], v[34:35], v[38:39]
	v_fmac_f64_e32 v[12:13], v[36:37], v[38:39]
	v_fma_f64 v[22:23], -v[68:69], v[40:41], v[22:23]
	v_fmac_f64_e32 v[0:1], v[66:67], v[40:41]
	v_fma_f64 v[38:39], -v[88:89], v[40:41], v[48:49]
	v_fmac_f64_e32 v[16:17], v[86:87], v[40:41]
	;; [unrolled: 17-line block ×3, first 2 shown]
	v_fma_f64 v[20:21], -v[52:53], v[56:57], v[46:47]
	v_fmac_f64_e32 v[14:15], v[50:51], v[56:57]
	v_fma_f64 v[18:19], -v[32:33], v[56:57], v[36:37]
	v_fmac_f64_e32 v[12:13], v[30:31], v[56:57]
	s_and_not1_b32 exec_lo, exec_lo, s2
	s_cbranch_execnz .LBB127_13
; %bb.14:
	s_or_b32 exec_lo, exec_lo, s2
.LBB127_15:
	s_delay_alu instid0(SALU_CYCLE_1)
	s_or_b32 exec_lo, exec_lo, s3
.LBB127_16:
	v_mbcnt_lo_u32_b32 v42, -1, 0
	s_delay_alu instid0(VALU_DEP_1) | instskip(NEXT) | instid1(VALU_DEP_1)
	v_xor_b32_e32 v26, 4, v42
	v_cmp_gt_i32_e32 vcc_lo, 32, v26
	v_cndmask_b32_e32 v26, v42, v26, vcc_lo
	s_delay_alu instid0(VALU_DEP_1)
	v_lshlrev_b32_e32 v41, 2, v26
	ds_bpermute_b32 v26, v41, v24
	ds_bpermute_b32 v27, v41, v25
	;; [unrolled: 1-line block ×4, first 2 shown]
	s_wait_dscnt 0x2
	v_add_f64_e32 v[24:25], v[24:25], v[26:27]
	s_wait_dscnt 0x0
	v_add_f64_e32 v[26:27], v[0:1], v[28:29]
	ds_bpermute_b32 v36, v41, v14
	ds_bpermute_b32 v37, v41, v15
	;; [unrolled: 1-line block ×12, first 2 shown]
	v_xor_b32_e32 v0, 2, v42
	s_delay_alu instid0(VALU_DEP_1)
	v_cmp_gt_i32_e32 vcc_lo, 32, v0
	s_wait_dscnt 0xa
	v_add_f64_e32 v[28:29], v[14:15], v[36:37]
	v_cndmask_b32_e32 v0, v42, v0, vcc_lo
	s_wait_dscnt 0x8
	v_add_f64_e32 v[22:23], v[22:23], v[30:31]
	s_wait_dscnt 0x6
	v_add_f64_e32 v[16:17], v[16:17], v[32:33]
	;; [unrolled: 2-line block ×5, first 2 shown]
	v_lshlrev_b32_e32 v41, 2, v0
	ds_bpermute_b32 v0, v41, v24
	ds_bpermute_b32 v1, v41, v25
	;; [unrolled: 1-line block ×16, first 2 shown]
	s_wait_dscnt 0xe
	v_add_f64_e32 v[0:1], v[24:25], v[0:1]
	s_wait_dscnt 0xc
	v_dual_add_f64 v[24:25], v[26:27], v[12:13] :: v_dual_bitop2_b32 v26, 1, v42 bitop3:0x14
	s_delay_alu instid0(VALU_DEP_1)
	v_cmp_gt_i32_e32 vcc_lo, 32, v26
	s_wait_dscnt 0x8
	v_add_f64_e32 v[12:13], v[22:23], v[14:15]
	s_wait_dscnt 0x6
	v_dual_add_f64 v[22:23], v[16:17], v[32:33] :: v_dual_cndmask_b32 v26, v42, v26, vcc_lo
	v_cmp_eq_u32_e32 vcc_lo, 7, v11
	s_wait_dscnt 0x4
	v_add_f64_e32 v[14:15], v[20:21], v[34:35]
	v_add_f64_e32 v[20:21], v[28:29], v[36:37]
	s_wait_dscnt 0x2
	v_add_f64_e32 v[16:17], v[18:19], v[38:39]
	s_wait_dscnt 0x0
	v_dual_add_f64 v[18:19], v[30:31], v[40:41] :: v_dual_lshlrev_b32 v29, 2, v26
	ds_bpermute_b32 v40, v29, v0
	ds_bpermute_b32 v41, v29, v1
	;; [unrolled: 1-line block ×16, first 2 shown]
	s_and_b32 exec_lo, exec_lo, vcc_lo
	s_cbranch_execz .LBB127_21
; %bb.17:
	v_cmp_eq_f64_e32 vcc_lo, 0, v[6:7]
	v_cmp_eq_f64_e64 s2, 0, v[8:9]
	s_wait_dscnt 0xe
	v_add_f64_e32 v[0:1], v[0:1], v[40:41]
	s_wait_dscnt 0xc
	v_add_f64_e32 v[24:25], v[24:25], v[38:39]
	;; [unrolled: 2-line block ×8, first 2 shown]
	s_load_b64 s[0:1], s[0:1], 0x48
	s_and_b32 s2, vcc_lo, s2
	s_delay_alu instid0(SALU_CYCLE_1) | instskip(NEXT) | instid1(SALU_CYCLE_1)
	s_and_saveexec_b32 s3, s2
	s_xor_b32 s2, exec_lo, s3
	s_cbranch_execz .LBB127_19
; %bb.18:
	v_mul_f64_e64 v[6:7], v[24:25], -v[4:5]
	v_mul_f64_e32 v[8:9], v[2:3], v[24:25]
	v_mul_f64_e64 v[24:25], v[22:23], -v[4:5]
	v_mul_f64_e32 v[26:27], v[2:3], v[22:23]
	;; [unrolled: 2-line block ×4, first 2 shown]
                                        ; implicit-def: $vgpr18_vgpr19
	v_fmac_f64_e32 v[6:7], v[2:3], v[0:1]
	v_fmac_f64_e32 v[8:9], v[4:5], v[0:1]
	;; [unrolled: 1-line block ×8, first 2 shown]
	v_lshlrev_b32_e32 v0, 2, v10
                                        ; implicit-def: $vgpr10
                                        ; implicit-def: $vgpr12_vgpr13
                                        ; implicit-def: $vgpr14_vgpr15
                                        ; implicit-def: $vgpr16_vgpr17
                                        ; implicit-def: $vgpr4_vgpr5
	s_wait_kmcnt 0x0
	s_clause 0x3
	global_store_b128 v0, v[6:9], s[0:1] scale_offset
	global_store_b128 v0, v[24:27], s[0:1] offset:16 scale_offset
	global_store_b128 v0, v[28:31], s[0:1] offset:32 scale_offset
	;; [unrolled: 1-line block ×3, first 2 shown]
                                        ; implicit-def: $vgpr0_vgpr1
                                        ; implicit-def: $vgpr24_vgpr25
                                        ; implicit-def: $vgpr22_vgpr23
                                        ; implicit-def: $vgpr20_vgpr21
                                        ; implicit-def: $vgpr8_vgpr9
.LBB127_19:
	s_wait_xcnt 0x0
	s_and_not1_saveexec_b32 s2, s2
	s_cbranch_execz .LBB127_21
; %bb.20:
	v_dual_mul_f64 v[42:43], v[24:25], -v[4:5] :: v_dual_lshlrev_b32 v52, 2, v10
	v_mul_f64_e32 v[24:25], v[2:3], v[24:25]
	v_mul_f64_e64 v[46:47], v[22:23], -v[4:5]
	v_mul_f64_e32 v[44:45], v[2:3], v[22:23]
	s_wait_kmcnt 0x0
	s_clause 0x3
	global_load_b128 v[26:29], v52, s[0:1] scale_offset
	global_load_b128 v[30:33], v52, s[0:1] offset:16 scale_offset
	global_load_b128 v[34:37], v52, s[0:1] offset:32 scale_offset
	;; [unrolled: 1-line block ×3, first 2 shown]
	v_mul_f64_e64 v[48:49], v[20:21], -v[4:5]
	v_mul_f64_e32 v[20:21], v[2:3], v[20:21]
	v_mul_f64_e64 v[50:51], v[18:19], -v[4:5]
	v_mul_f64_e32 v[10:11], v[2:3], v[18:19]
	v_fmac_f64_e32 v[42:43], v[2:3], v[0:1]
	v_fmac_f64_e32 v[24:25], v[4:5], v[0:1]
	;; [unrolled: 1-line block ×8, first 2 shown]
	s_wait_loadcnt 0x3
	v_fmac_f64_e32 v[42:43], v[6:7], v[26:27]
	v_fmac_f64_e32 v[24:25], v[8:9], v[26:27]
	s_wait_loadcnt 0x2
	v_fmac_f64_e32 v[46:47], v[6:7], v[30:31]
	v_fmac_f64_e32 v[44:45], v[8:9], v[30:31]
	;; [unrolled: 3-line block ×4, first 2 shown]
	v_fma_f64 v[22:23], -v[8:9], v[28:29], v[42:43]
	v_fmac_f64_e32 v[24:25], v[6:7], v[28:29]
	v_fma_f64 v[42:43], -v[8:9], v[32:33], v[46:47]
	v_fmac_f64_e32 v[44:45], v[6:7], v[32:33]
	;; [unrolled: 2-line block ×4, first 2 shown]
	s_clause 0x3
	global_store_b128 v52, v[22:25], s[0:1] scale_offset
	global_store_b128 v52, v[42:45], s[0:1] offset:16 scale_offset
	global_store_b128 v52, v[18:21], s[0:1] offset:32 scale_offset
	global_store_b128 v52, v[8:11], s[0:1] offset:48 scale_offset
.LBB127_21:
	s_sendmsg sendmsg(MSG_DEALLOC_VGPRS)
	s_endpgm
	.section	.rodata,"a",@progbits
	.p2align	6, 0x0
	.amdhsa_kernel _ZN9rocsparseL19gebsrmvn_4xn_kernelILj128ELj5ELj8E21rocsparse_complex_numIdEEEvi20rocsparse_direction_NS_24const_host_device_scalarIT2_EEPKiS8_PKS5_SA_S6_PS5_21rocsparse_index_base_b
		.amdhsa_group_segment_fixed_size 0
		.amdhsa_private_segment_fixed_size 0
		.amdhsa_kernarg_size 88
		.amdhsa_user_sgpr_count 2
		.amdhsa_user_sgpr_dispatch_ptr 0
		.amdhsa_user_sgpr_queue_ptr 0
		.amdhsa_user_sgpr_kernarg_segment_ptr 1
		.amdhsa_user_sgpr_dispatch_id 0
		.amdhsa_user_sgpr_kernarg_preload_length 0
		.amdhsa_user_sgpr_kernarg_preload_offset 0
		.amdhsa_user_sgpr_private_segment_size 0
		.amdhsa_wavefront_size32 1
		.amdhsa_uses_dynamic_stack 0
		.amdhsa_enable_private_segment 0
		.amdhsa_system_sgpr_workgroup_id_x 1
		.amdhsa_system_sgpr_workgroup_id_y 0
		.amdhsa_system_sgpr_workgroup_id_z 0
		.amdhsa_system_sgpr_workgroup_info 0
		.amdhsa_system_vgpr_workitem_id 0
		.amdhsa_next_free_vgpr 121
		.amdhsa_next_free_sgpr 14
		.amdhsa_named_barrier_count 0
		.amdhsa_reserve_vcc 1
		.amdhsa_float_round_mode_32 0
		.amdhsa_float_round_mode_16_64 0
		.amdhsa_float_denorm_mode_32 3
		.amdhsa_float_denorm_mode_16_64 3
		.amdhsa_fp16_overflow 0
		.amdhsa_memory_ordered 1
		.amdhsa_forward_progress 1
		.amdhsa_inst_pref_size 27
		.amdhsa_round_robin_scheduling 0
		.amdhsa_exception_fp_ieee_invalid_op 0
		.amdhsa_exception_fp_denorm_src 0
		.amdhsa_exception_fp_ieee_div_zero 0
		.amdhsa_exception_fp_ieee_overflow 0
		.amdhsa_exception_fp_ieee_underflow 0
		.amdhsa_exception_fp_ieee_inexact 0
		.amdhsa_exception_int_div_zero 0
	.end_amdhsa_kernel
	.section	.text._ZN9rocsparseL19gebsrmvn_4xn_kernelILj128ELj5ELj8E21rocsparse_complex_numIdEEEvi20rocsparse_direction_NS_24const_host_device_scalarIT2_EEPKiS8_PKS5_SA_S6_PS5_21rocsparse_index_base_b,"axG",@progbits,_ZN9rocsparseL19gebsrmvn_4xn_kernelILj128ELj5ELj8E21rocsparse_complex_numIdEEEvi20rocsparse_direction_NS_24const_host_device_scalarIT2_EEPKiS8_PKS5_SA_S6_PS5_21rocsparse_index_base_b,comdat
.Lfunc_end127:
	.size	_ZN9rocsparseL19gebsrmvn_4xn_kernelILj128ELj5ELj8E21rocsparse_complex_numIdEEEvi20rocsparse_direction_NS_24const_host_device_scalarIT2_EEPKiS8_PKS5_SA_S6_PS5_21rocsparse_index_base_b, .Lfunc_end127-_ZN9rocsparseL19gebsrmvn_4xn_kernelILj128ELj5ELj8E21rocsparse_complex_numIdEEEvi20rocsparse_direction_NS_24const_host_device_scalarIT2_EEPKiS8_PKS5_SA_S6_PS5_21rocsparse_index_base_b
                                        ; -- End function
	.set _ZN9rocsparseL19gebsrmvn_4xn_kernelILj128ELj5ELj8E21rocsparse_complex_numIdEEEvi20rocsparse_direction_NS_24const_host_device_scalarIT2_EEPKiS8_PKS5_SA_S6_PS5_21rocsparse_index_base_b.num_vgpr, 121
	.set _ZN9rocsparseL19gebsrmvn_4xn_kernelILj128ELj5ELj8E21rocsparse_complex_numIdEEEvi20rocsparse_direction_NS_24const_host_device_scalarIT2_EEPKiS8_PKS5_SA_S6_PS5_21rocsparse_index_base_b.num_agpr, 0
	.set _ZN9rocsparseL19gebsrmvn_4xn_kernelILj128ELj5ELj8E21rocsparse_complex_numIdEEEvi20rocsparse_direction_NS_24const_host_device_scalarIT2_EEPKiS8_PKS5_SA_S6_PS5_21rocsparse_index_base_b.numbered_sgpr, 14
	.set _ZN9rocsparseL19gebsrmvn_4xn_kernelILj128ELj5ELj8E21rocsparse_complex_numIdEEEvi20rocsparse_direction_NS_24const_host_device_scalarIT2_EEPKiS8_PKS5_SA_S6_PS5_21rocsparse_index_base_b.num_named_barrier, 0
	.set _ZN9rocsparseL19gebsrmvn_4xn_kernelILj128ELj5ELj8E21rocsparse_complex_numIdEEEvi20rocsparse_direction_NS_24const_host_device_scalarIT2_EEPKiS8_PKS5_SA_S6_PS5_21rocsparse_index_base_b.private_seg_size, 0
	.set _ZN9rocsparseL19gebsrmvn_4xn_kernelILj128ELj5ELj8E21rocsparse_complex_numIdEEEvi20rocsparse_direction_NS_24const_host_device_scalarIT2_EEPKiS8_PKS5_SA_S6_PS5_21rocsparse_index_base_b.uses_vcc, 1
	.set _ZN9rocsparseL19gebsrmvn_4xn_kernelILj128ELj5ELj8E21rocsparse_complex_numIdEEEvi20rocsparse_direction_NS_24const_host_device_scalarIT2_EEPKiS8_PKS5_SA_S6_PS5_21rocsparse_index_base_b.uses_flat_scratch, 0
	.set _ZN9rocsparseL19gebsrmvn_4xn_kernelILj128ELj5ELj8E21rocsparse_complex_numIdEEEvi20rocsparse_direction_NS_24const_host_device_scalarIT2_EEPKiS8_PKS5_SA_S6_PS5_21rocsparse_index_base_b.has_dyn_sized_stack, 0
	.set _ZN9rocsparseL19gebsrmvn_4xn_kernelILj128ELj5ELj8E21rocsparse_complex_numIdEEEvi20rocsparse_direction_NS_24const_host_device_scalarIT2_EEPKiS8_PKS5_SA_S6_PS5_21rocsparse_index_base_b.has_recursion, 0
	.set _ZN9rocsparseL19gebsrmvn_4xn_kernelILj128ELj5ELj8E21rocsparse_complex_numIdEEEvi20rocsparse_direction_NS_24const_host_device_scalarIT2_EEPKiS8_PKS5_SA_S6_PS5_21rocsparse_index_base_b.has_indirect_call, 0
	.section	.AMDGPU.csdata,"",@progbits
; Kernel info:
; codeLenInByte = 3444
; TotalNumSgprs: 16
; NumVgprs: 121
; ScratchSize: 0
; MemoryBound: 0
; FloatMode: 240
; IeeeMode: 1
; LDSByteSize: 0 bytes/workgroup (compile time only)
; SGPRBlocks: 0
; VGPRBlocks: 7
; NumSGPRsForWavesPerEU: 16
; NumVGPRsForWavesPerEU: 121
; NamedBarCnt: 0
; Occupancy: 8
; WaveLimiterHint : 1
; COMPUTE_PGM_RSRC2:SCRATCH_EN: 0
; COMPUTE_PGM_RSRC2:USER_SGPR: 2
; COMPUTE_PGM_RSRC2:TRAP_HANDLER: 0
; COMPUTE_PGM_RSRC2:TGID_X_EN: 1
; COMPUTE_PGM_RSRC2:TGID_Y_EN: 0
; COMPUTE_PGM_RSRC2:TGID_Z_EN: 0
; COMPUTE_PGM_RSRC2:TIDIG_COMP_CNT: 0
	.section	.text._ZN9rocsparseL19gebsrmvn_4xn_kernelILj128ELj5ELj16E21rocsparse_complex_numIdEEEvi20rocsparse_direction_NS_24const_host_device_scalarIT2_EEPKiS8_PKS5_SA_S6_PS5_21rocsparse_index_base_b,"axG",@progbits,_ZN9rocsparseL19gebsrmvn_4xn_kernelILj128ELj5ELj16E21rocsparse_complex_numIdEEEvi20rocsparse_direction_NS_24const_host_device_scalarIT2_EEPKiS8_PKS5_SA_S6_PS5_21rocsparse_index_base_b,comdat
	.globl	_ZN9rocsparseL19gebsrmvn_4xn_kernelILj128ELj5ELj16E21rocsparse_complex_numIdEEEvi20rocsparse_direction_NS_24const_host_device_scalarIT2_EEPKiS8_PKS5_SA_S6_PS5_21rocsparse_index_base_b ; -- Begin function _ZN9rocsparseL19gebsrmvn_4xn_kernelILj128ELj5ELj16E21rocsparse_complex_numIdEEEvi20rocsparse_direction_NS_24const_host_device_scalarIT2_EEPKiS8_PKS5_SA_S6_PS5_21rocsparse_index_base_b
	.p2align	8
	.type	_ZN9rocsparseL19gebsrmvn_4xn_kernelILj128ELj5ELj16E21rocsparse_complex_numIdEEEvi20rocsparse_direction_NS_24const_host_device_scalarIT2_EEPKiS8_PKS5_SA_S6_PS5_21rocsparse_index_base_b,@function
_ZN9rocsparseL19gebsrmvn_4xn_kernelILj128ELj5ELj16E21rocsparse_complex_numIdEEEvi20rocsparse_direction_NS_24const_host_device_scalarIT2_EEPKiS8_PKS5_SA_S6_PS5_21rocsparse_index_base_b: ; @_ZN9rocsparseL19gebsrmvn_4xn_kernelILj128ELj5ELj16E21rocsparse_complex_numIdEEEvi20rocsparse_direction_NS_24const_host_device_scalarIT2_EEPKiS8_PKS5_SA_S6_PS5_21rocsparse_index_base_b
; %bb.0:
	s_clause 0x1
	s_load_b64 s[12:13], s[0:1], 0x50
	s_load_b64 s[2:3], s[0:1], 0x8
	v_mov_b32_e32 v1, 0
	s_add_nc_u64 s[4:5], s[0:1], 8
	s_load_b64 s[6:7], s[0:1], 0x38
	s_wait_kmcnt 0x0
	s_bitcmp1_b32 s13, 0
	s_cselect_b32 s3, s5, s3
	s_cselect_b32 s2, s4, s2
	flat_load_b128 v[2:5], v1, s[2:3]
	s_wait_xcnt 0x0
	s_add_nc_u64 s[2:3], s[0:1], 56
	s_delay_alu instid0(SALU_CYCLE_1)
	s_cselect_b32 s3, s3, s7
	s_cselect_b32 s2, s2, s6
	flat_load_b128 v[6:9], v1, s[2:3]
	s_wait_loadcnt_dscnt 0x101
	v_cmp_eq_f64_e32 vcc_lo, 0, v[2:3]
	s_wait_xcnt 0x0
	v_cmp_eq_f64_e64 s2, 0, v[4:5]
	s_and_b32 s4, vcc_lo, s2
	s_mov_b32 s2, -1
	s_and_saveexec_b32 s3, s4
	s_cbranch_execz .LBB128_2
; %bb.1:
	s_wait_loadcnt_dscnt 0x0
	v_cmp_neq_f64_e32 vcc_lo, 1.0, v[6:7]
	v_cmp_neq_f64_e64 s2, 0, v[8:9]
	s_or_b32 s2, vcc_lo, s2
	s_delay_alu instid0(SALU_CYCLE_1)
	s_or_not1_b32 s2, s2, exec_lo
.LBB128_2:
	s_or_b32 exec_lo, exec_lo, s3
	s_and_saveexec_b32 s3, s2
	s_cbranch_execz .LBB128_21
; %bb.3:
	s_load_b64 s[2:3], s[0:1], 0x0
	s_bfe_u32 s4, ttmp6, 0x4000c
	s_and_b32 s5, ttmp6, 15
	s_add_co_i32 s4, s4, 1
	s_getreg_b32 s6, hwreg(HW_REG_IB_STS2, 6, 4)
	s_mul_i32 s4, ttmp9, s4
	v_lshrrev_b32_e32 v1, 4, v0
	s_add_co_i32 s5, s5, s4
	s_cmp_eq_u32 s6, 0
	s_cselect_b32 s4, ttmp9, s5
	s_delay_alu instid0(VALU_DEP_1) | instid1(SALU_CYCLE_1)
	v_lshl_or_b32 v10, s4, 3, v1
	s_wait_kmcnt 0x0
	s_delay_alu instid0(VALU_DEP_1)
	v_cmp_gt_i32_e32 vcc_lo, s2, v10
	s_and_b32 exec_lo, exec_lo, vcc_lo
	s_cbranch_execz .LBB128_21
; %bb.4:
	s_load_b256 s[4:11], s[0:1], 0x18
	v_ashrrev_i32_e32 v11, 31, v10
	s_cmp_lg_u32 s3, 0
	s_wait_kmcnt 0x0
	s_delay_alu instid0(VALU_DEP_1)
	v_lshl_add_u64 v[12:13], v[10:11], 2, s[4:5]
	v_and_b32_e32 v11, 15, v0
	global_load_b64 v[12:13], v[12:13], off
	s_wait_loadcnt 0x0
	v_subrev_nc_u32_e32 v0, s12, v12
	v_subrev_nc_u32_e32 v26, s12, v13
	s_delay_alu instid0(VALU_DEP_2) | instskip(NEXT) | instid1(VALU_DEP_1)
	v_add_nc_u32_e32 v27, v0, v11
	v_cmp_lt_i32_e64 s2, v27, v26
	s_cbranch_scc0 .LBB128_10
; %bb.5:
	v_mov_b64_e32 v[0:1], 0
	v_mov_b64_e32 v[24:25], 0
	;; [unrolled: 1-line block ×8, first 2 shown]
	s_and_saveexec_b32 s3, s2
	s_cbranch_execz .LBB128_9
; %bb.6:
	v_mad_u32 v28, v27, 20, 16
	v_mov_b64_e32 v[0:1], 0
	v_mov_b64_e32 v[24:25], 0
	;; [unrolled: 1-line block ×8, first 2 shown]
	v_mov_b32_e32 v29, v27
	s_mov_b32 s4, 0
.LBB128_7:                              ; =>This Inner Loop Header: Depth=1
	global_load_b32 v46, v29, s[6:7] scale_offset
	v_dual_add_nc_u32 v47, -16, v28 :: v_dual_add_nc_u32 v66, -12, v28
	v_dual_add_nc_u32 v86, -8, v28 :: v_dual_add_nc_u32 v118, -4, v28
	s_clause 0x3
	global_load_b128 v[30:33], v47, s[8:9] offset:48 scale_offset
	global_load_b128 v[34:37], v47, s[8:9] offset:32 scale_offset
	;; [unrolled: 1-line block ×3, first 2 shown]
	global_load_b128 v[42:45], v47, s[8:9] scale_offset
	s_wait_xcnt 0x4
	v_add_nc_u32_e32 v29, 16, v29
	s_delay_alu instid0(VALU_DEP_1) | instskip(SKIP_3) | instid1(VALU_DEP_1)
	v_cmp_ge_i32_e32 vcc_lo, v29, v26
	s_or_b32 s4, vcc_lo, s4
	s_wait_loadcnt 0x4
	v_subrev_nc_u32_e32 v46, s12, v46
	v_lshl_add_u32 v120, v46, 2, v46
	global_load_b128 v[46:49], v120, s[10:11] scale_offset
	s_clause 0x3
	global_load_b128 v[50:53], v66, s[8:9] offset:48 scale_offset
	global_load_b128 v[54:57], v66, s[8:9] offset:32 scale_offset
	;; [unrolled: 1-line block ×3, first 2 shown]
	global_load_b128 v[62:65], v66, s[8:9] scale_offset
	s_wait_xcnt 0x0
	v_add_nc_u32_e32 v66, 1, v120
	global_load_b128 v[66:69], v66, s[10:11] scale_offset
	s_clause 0x3
	global_load_b128 v[70:73], v86, s[8:9] offset:48 scale_offset
	global_load_b128 v[74:77], v86, s[8:9] offset:32 scale_offset
	;; [unrolled: 1-line block ×3, first 2 shown]
	global_load_b128 v[82:85], v86, s[8:9] scale_offset
	s_wait_xcnt 0x0
	v_add_nc_u32_e32 v86, 2, v120
	global_load_b128 v[86:89], v86, s[10:11] scale_offset
	s_clause 0x6
	global_load_b128 v[90:93], v28, s[8:9] offset:48 scale_offset
	global_load_b128 v[94:97], v28, s[8:9] offset:32 scale_offset
	;; [unrolled: 1-line block ×6, first 2 shown]
	global_load_b128 v[114:117], v118, s[8:9] scale_offset
	s_wait_loadcnt 0x11
	v_fmac_f64_e32 v[24:25], v[42:43], v[46:47]
	v_fmac_f64_e32 v[0:1], v[44:45], v[46:47]
	;; [unrolled: 1-line block ×8, first 2 shown]
	s_wait_xcnt 0x0
	v_fma_f64 v[118:119], -v[44:45], v[48:49], v[24:25]
	v_add_nc_u32_e32 v24, 3, v120
	v_fmac_f64_e32 v[0:1], v[42:43], v[48:49]
	v_fmac_f64_e32 v[16:17], v[38:39], v[48:49]
	v_add_nc_u32_e32 v38, 4, v120
	v_fma_f64 v[40:41], -v[40:41], v[48:49], v[22:23]
	global_load_b128 v[42:45], v24, s[10:11] scale_offset
	v_fma_f64 v[20:21], -v[36:37], v[48:49], v[20:21]
	v_fmac_f64_e32 v[14:15], v[34:35], v[48:49]
	global_load_b128 v[34:37], v38, s[10:11] scale_offset
	global_load_b128 v[22:25], v28, s[8:9] scale_offset
	v_fma_f64 v[18:19], -v[32:33], v[48:49], v[18:19]
	v_fmac_f64_e32 v[12:13], v[30:31], v[48:49]
	s_wait_xcnt 0x0
	v_add_nc_u32_e32 v28, 0x140, v28
	s_wait_loadcnt 0xf
	v_fmac_f64_e32 v[118:119], v[62:63], v[66:67]
	v_fmac_f64_e32 v[0:1], v[64:65], v[66:67]
	;; [unrolled: 1-line block ×8, first 2 shown]
	v_fma_f64 v[30:31], -v[64:65], v[68:69], v[118:119]
	v_fmac_f64_e32 v[0:1], v[62:63], v[68:69]
	v_fmac_f64_e32 v[16:17], v[58:59], v[68:69]
	v_fma_f64 v[32:33], -v[60:61], v[68:69], v[40:41]
	v_fma_f64 v[20:21], -v[56:57], v[68:69], v[20:21]
	v_fmac_f64_e32 v[14:15], v[54:55], v[68:69]
	v_fma_f64 v[18:19], -v[52:53], v[68:69], v[18:19]
	v_fmac_f64_e32 v[12:13], v[50:51], v[68:69]
	s_wait_loadcnt 0xa
	v_fmac_f64_e32 v[30:31], v[82:83], v[86:87]
	v_fmac_f64_e32 v[0:1], v[84:85], v[86:87]
	;; [unrolled: 1-line block ×8, first 2 shown]
	v_fma_f64 v[30:31], -v[84:85], v[88:89], v[30:31]
	v_fmac_f64_e32 v[0:1], v[82:83], v[88:89]
	v_fmac_f64_e32 v[16:17], v[78:79], v[88:89]
	v_fma_f64 v[32:33], -v[80:81], v[88:89], v[32:33]
	v_fma_f64 v[20:21], -v[76:77], v[88:89], v[20:21]
	v_fmac_f64_e32 v[14:15], v[74:75], v[88:89]
	v_fma_f64 v[18:19], -v[72:73], v[88:89], v[18:19]
	v_fmac_f64_e32 v[12:13], v[70:71], v[88:89]
	s_wait_loadcnt 0x2
	v_fmac_f64_e32 v[30:31], v[114:115], v[42:43]
	v_fmac_f64_e32 v[0:1], v[116:117], v[42:43]
	;; [unrolled: 1-line block ×8, first 2 shown]
	v_fma_f64 v[30:31], -v[116:117], v[44:45], v[30:31]
	v_fmac_f64_e32 v[0:1], v[114:115], v[44:45]
	v_fma_f64 v[32:33], -v[112:113], v[44:45], v[32:33]
	v_fmac_f64_e32 v[16:17], v[110:111], v[44:45]
	v_fma_f64 v[20:21], -v[108:109], v[44:45], v[20:21]
	v_fmac_f64_e32 v[14:15], v[106:107], v[44:45]
	v_fma_f64 v[18:19], -v[104:105], v[44:45], v[18:19]
	v_fmac_f64_e32 v[12:13], v[102:103], v[44:45]
	s_wait_loadcnt 0x0
	v_fmac_f64_e32 v[30:31], v[22:23], v[34:35]
	v_fmac_f64_e32 v[0:1], v[24:25], v[34:35]
	;; [unrolled: 1-line block ×8, first 2 shown]
	v_fma_f64 v[24:25], -v[24:25], v[36:37], v[30:31]
	v_fmac_f64_e32 v[0:1], v[22:23], v[36:37]
	v_fma_f64 v[22:23], -v[100:101], v[36:37], v[32:33]
	v_fmac_f64_e32 v[16:17], v[98:99], v[36:37]
	;; [unrolled: 2-line block ×4, first 2 shown]
	s_and_not1_b32 exec_lo, exec_lo, s4
	s_cbranch_execnz .LBB128_7
; %bb.8:
	s_or_b32 exec_lo, exec_lo, s4
.LBB128_9:
	s_delay_alu instid0(SALU_CYCLE_1)
	s_or_b32 exec_lo, exec_lo, s3
	s_cbranch_execz .LBB128_11
	s_branch .LBB128_16
.LBB128_10:
                                        ; implicit-def: $vgpr0_vgpr1
                                        ; implicit-def: $vgpr24_vgpr25
                                        ; implicit-def: $vgpr18_vgpr19
                                        ; implicit-def: $vgpr12_vgpr13
                                        ; implicit-def: $vgpr20_vgpr21
                                        ; implicit-def: $vgpr14_vgpr15
                                        ; implicit-def: $vgpr22_vgpr23
                                        ; implicit-def: $vgpr16_vgpr17
.LBB128_11:
	v_mov_b64_e32 v[0:1], 0
	v_mov_b64_e32 v[24:25], 0
	;; [unrolled: 1-line block ×8, first 2 shown]
	s_and_saveexec_b32 s3, s2
	s_cbranch_execz .LBB128_15
; %bb.12:
	v_mad_u32 v28, v27, 20, 19
	v_mov_b64_e32 v[0:1], 0
	v_mov_b64_e32 v[24:25], 0
	;; [unrolled: 1-line block ×8, first 2 shown]
	s_mov_b32 s2, 0
.LBB128_13:                             ; =>This Inner Loop Header: Depth=1
	global_load_b32 v29, v27, s[6:7] scale_offset
	v_dual_add_nc_u32 v91, -14, v28 :: v_dual_add_nc_u32 v92, -9, v28
	v_dual_add_nc_u32 v93, -4, v28 :: v_dual_add_nc_u32 v94, -13, v28
	v_subrev_nc_u32_e32 v90, 19, v28
	v_dual_add_nc_u32 v95, -8, v28 :: v_dual_add_nc_u32 v96, -3, v28
	v_dual_add_nc_u32 v97, -12, v28 :: v_dual_add_nc_u32 v98, -7, v28
	;; [unrolled: 1-line block ×4, first 2 shown]
	s_clause 0xf
	global_load_b128 v[30:33], v28, s[8:9] scale_offset
	global_load_b128 v[34:37], v91, s[8:9] scale_offset
	;; [unrolled: 1-line block ×5, first 2 shown]
	global_load_b128 v[50:53], v90, s[8:9] offset:16 scale_offset
	global_load_b128 v[54:57], v94, s[8:9] scale_offset
	global_load_b128 v[58:61], v95, s[8:9] scale_offset
	;; [unrolled: 1-line block ×3, first 2 shown]
	global_load_b128 v[66:69], v90, s[8:9] offset:48 scale_offset
	global_load_b128 v[70:73], v90, s[8:9] offset:32 scale_offset
	global_load_b128 v[74:77], v97, s[8:9] scale_offset
	global_load_b128 v[78:81], v98, s[8:9] scale_offset
	;; [unrolled: 1-line block ×4, first 2 shown]
	; meta instruction
	; meta instruction
	;; [unrolled: 1-line block ×11, first 2 shown]
	global_load_b128 v[90:93], v101, s[8:9] scale_offset
	v_dual_add_nc_u32 v105, -15, v28 :: v_dual_add_nc_u32 v106, -10, v28
	v_add_nc_u32_e32 v27, 16, v27
	s_delay_alu instid0(VALU_DEP_1) | instskip(SKIP_3) | instid1(VALU_DEP_1)
	v_cmp_ge_i32_e32 vcc_lo, v27, v26
	s_or_b32 s2, vcc_lo, s2
	s_wait_loadcnt 0x10
	v_subrev_nc_u32_e32 v29, s12, v29
	v_lshl_add_u32 v29, v29, 2, v29
	v_add_nc_u32_e32 v107, -5, v28
	v_add_nc_u32_e32 v28, 0x140, v28
	global_load_b128 v[94:97], v29, s[10:11] scale_offset
	s_wait_loadcnt 0x0
	v_fmac_f64_e32 v[24:25], v[46:47], v[94:95]
	v_fmac_f64_e32 v[0:1], v[48:49], v[94:95]
	;; [unrolled: 1-line block ×8, first 2 shown]
	v_fma_f64 v[98:99], -v[48:49], v[96:97], v[24:25]
	v_add_nc_u32_e32 v24, 1, v29
	v_fmac_f64_e32 v[0:1], v[46:47], v[96:97]
	v_fma_f64 v[100:101], -v[36:37], v[96:97], v[22:23]
	v_add_nc_u32_e32 v22, 2, v29
	v_fmac_f64_e32 v[14:15], v[38:39], v[96:97]
	global_load_b128 v[46:49], v24, s[10:11] scale_offset
	v_add_nc_u32_e32 v38, 3, v29
	v_fmac_f64_e32 v[16:17], v[34:35], v[96:97]
	global_load_b128 v[22:25], v22, s[10:11] scale_offset
	v_fma_f64 v[102:103], -v[40:41], v[96:97], v[20:21]
	global_load_b128 v[34:37], v104, s[8:9] scale_offset
	global_load_b128 v[38:41], v38, s[10:11] scale_offset
	v_add_nc_u32_e32 v29, 4, v29
	v_fma_f64 v[94:95], -v[44:45], v[96:97], v[18:19]
	v_fmac_f64_e32 v[12:13], v[42:43], v[96:97]
	global_load_b128 v[18:21], v105, s[8:9] scale_offset
	s_wait_loadcnt 0x4
	v_fmac_f64_e32 v[98:99], v[50:51], v[46:47]
	v_fmac_f64_e32 v[0:1], v[52:53], v[46:47]
	;; [unrolled: 1-line block ×8, first 2 shown]
	v_fma_f64 v[96:97], -v[52:53], v[48:49], v[98:99]
	v_fmac_f64_e32 v[0:1], v[50:51], v[48:49]
	s_clause 0x1
	global_load_b128 v[42:45], v106, s[8:9] scale_offset
	global_load_b128 v[50:53], v107, s[8:9] scale_offset
	v_fma_f64 v[98:99], -v[56:57], v[48:49], v[100:101]
	v_fmac_f64_e32 v[16:17], v[54:55], v[48:49]
	global_load_b128 v[54:57], v29, s[10:11] scale_offset
	v_fma_f64 v[46:47], -v[60:61], v[48:49], v[102:103]
	v_fmac_f64_e32 v[14:15], v[58:59], v[48:49]
	v_fma_f64 v[58:59], -v[64:65], v[48:49], v[94:95]
	v_fmac_f64_e32 v[12:13], v[62:63], v[48:49]
	s_wait_loadcnt 0x6
	v_fmac_f64_e32 v[96:97], v[70:71], v[22:23]
	v_fmac_f64_e32 v[0:1], v[72:73], v[22:23]
	v_fmac_f64_e32 v[98:99], v[74:75], v[22:23]
	v_fmac_f64_e32 v[16:17], v[76:77], v[22:23]
	v_fmac_f64_e32 v[46:47], v[78:79], v[22:23]
	v_fmac_f64_e32 v[14:15], v[80:81], v[22:23]
	v_fmac_f64_e32 v[58:59], v[82:83], v[22:23]
	v_fmac_f64_e32 v[12:13], v[84:85], v[22:23]
	v_fma_f64 v[22:23], -v[72:73], v[24:25], v[96:97]
	v_fmac_f64_e32 v[0:1], v[70:71], v[24:25]
	v_fma_f64 v[48:49], -v[76:77], v[24:25], v[98:99]
	v_fmac_f64_e32 v[16:17], v[74:75], v[24:25]
	v_fma_f64 v[46:47], -v[80:81], v[24:25], v[46:47]
	v_fmac_f64_e32 v[14:15], v[78:79], v[24:25]
	v_fma_f64 v[58:59], -v[84:85], v[24:25], v[58:59]
	v_fmac_f64_e32 v[12:13], v[82:83], v[24:25]
	s_wait_loadcnt 0x4
	v_fmac_f64_e32 v[22:23], v[66:67], v[38:39]
	v_fmac_f64_e32 v[0:1], v[68:69], v[38:39]
	v_fmac_f64_e32 v[48:49], v[86:87], v[38:39]
	v_fmac_f64_e32 v[16:17], v[88:89], v[38:39]
	v_fmac_f64_e32 v[46:47], v[90:91], v[38:39]
	v_fmac_f64_e32 v[14:15], v[92:93], v[38:39]
	v_fmac_f64_e32 v[58:59], v[34:35], v[38:39]
	v_fmac_f64_e32 v[12:13], v[36:37], v[38:39]
	v_fma_f64 v[22:23], -v[68:69], v[40:41], v[22:23]
	v_fmac_f64_e32 v[0:1], v[66:67], v[40:41]
	v_fma_f64 v[38:39], -v[88:89], v[40:41], v[48:49]
	v_fmac_f64_e32 v[16:17], v[86:87], v[40:41]
	;; [unrolled: 17-line block ×3, first 2 shown]
	v_fma_f64 v[20:21], -v[52:53], v[56:57], v[46:47]
	v_fmac_f64_e32 v[14:15], v[50:51], v[56:57]
	v_fma_f64 v[18:19], -v[32:33], v[56:57], v[36:37]
	v_fmac_f64_e32 v[12:13], v[30:31], v[56:57]
	s_and_not1_b32 exec_lo, exec_lo, s2
	s_cbranch_execnz .LBB128_13
; %bb.14:
	s_or_b32 exec_lo, exec_lo, s2
.LBB128_15:
	s_delay_alu instid0(SALU_CYCLE_1)
	s_or_b32 exec_lo, exec_lo, s3
.LBB128_16:
	v_mbcnt_lo_u32_b32 v42, -1, 0
	s_delay_alu instid0(VALU_DEP_1) | instskip(NEXT) | instid1(VALU_DEP_1)
	v_xor_b32_e32 v26, 8, v42
	v_cmp_gt_i32_e32 vcc_lo, 32, v26
	v_cndmask_b32_e32 v26, v42, v26, vcc_lo
	s_delay_alu instid0(VALU_DEP_1)
	v_lshlrev_b32_e32 v41, 2, v26
	ds_bpermute_b32 v36, v41, v14
	ds_bpermute_b32 v37, v41, v15
	s_wait_dscnt 0x0
	v_add_f64_e32 v[14:15], v[14:15], v[36:37]
	ds_bpermute_b32 v26, v41, v24
	ds_bpermute_b32 v27, v41, v25
	;; [unrolled: 1-line block ×14, first 2 shown]
	s_wait_dscnt 0xc
	v_add_f64_e32 v[24:25], v[24:25], v[26:27]
	s_wait_dscnt 0xa
	v_dual_add_f64 v[0:1], v[0:1], v[28:29] :: v_dual_bitop2_b32 v26, 4, v42 bitop3:0x14
	s_delay_alu instid0(VALU_DEP_1)
	v_cmp_gt_i32_e32 vcc_lo, 32, v26
	s_wait_dscnt 0x6
	v_add_f64_e32 v[16:17], v[16:17], v[32:33]
	s_wait_dscnt 0x4
	v_add_f64_e32 v[20:21], v[20:21], v[34:35]
	;; [unrolled: 2-line block ×3, first 2 shown]
	s_wait_dscnt 0x0
	v_dual_add_f64 v[12:13], v[12:13], v[40:41] :: v_dual_cndmask_b32 v26, v42, v26, vcc_lo
	s_delay_alu instid0(VALU_DEP_1)
	v_lshlrev_b32_e32 v41, 2, v26
	ds_bpermute_b32 v26, v41, v24
	ds_bpermute_b32 v27, v41, v25
	;; [unrolled: 1-line block ×4, first 2 shown]
	s_wait_dscnt 0x2
	v_add_f64_e32 v[24:25], v[24:25], v[26:27]
	s_wait_dscnt 0x0
	v_add_f64_e32 v[26:27], v[0:1], v[28:29]
	ds_bpermute_b32 v36, v41, v14
	ds_bpermute_b32 v37, v41, v15
	;; [unrolled: 1-line block ×9, first 2 shown]
	v_xor_b32_e32 v0, 2, v42
	s_delay_alu instid0(VALU_DEP_1)
	v_cmp_gt_i32_e32 vcc_lo, 32, v0
	v_cndmask_b32_e32 v0, v42, v0, vcc_lo
	v_add_f64_e32 v[22:23], v[22:23], v[30:31]
	s_wait_dscnt 0x7
	v_add_f64_e32 v[28:29], v[14:15], v[36:37]
	s_wait_dscnt 0x5
	v_add_f64_e32 v[16:17], v[16:17], v[32:33]
	s_wait_dscnt 0x3
	v_add_f64_e32 v[20:21], v[20:21], v[34:35]
	s_wait_dscnt 0x1
	v_add_f64_e32 v[18:19], v[18:19], v[38:39]
	ds_bpermute_b32 v30, v41, v22
	ds_bpermute_b32 v31, v41, v23
	;; [unrolled: 1-line block ×3, first 2 shown]
	s_wait_dscnt 0x1
	v_add_f64_e32 v[22:23], v[22:23], v[30:31]
	s_wait_dscnt 0x0
	v_add_f64_e32 v[30:31], v[12:13], v[40:41]
	v_lshlrev_b32_e32 v41, 2, v0
	ds_bpermute_b32 v0, v41, v24
	ds_bpermute_b32 v1, v41, v25
	;; [unrolled: 1-line block ×12, first 2 shown]
	s_wait_dscnt 0xa
	v_add_f64_e32 v[0:1], v[24:25], v[0:1]
	s_wait_dscnt 0x8
	v_dual_add_f64 v[24:25], v[26:27], v[12:13] :: v_dual_bitop2_b32 v26, 1, v42 bitop3:0x14
	ds_bpermute_b32 v14, v41, v22
	ds_bpermute_b32 v15, v41, v23
	;; [unrolled: 1-line block ×4, first 2 shown]
	v_cmp_gt_i32_e32 vcc_lo, 32, v26
	v_cndmask_b32_e32 v26, v42, v26, vcc_lo
	v_cmp_eq_u32_e32 vcc_lo, 15, v11
	s_wait_dscnt 0x2
	v_add_f64_e32 v[12:13], v[22:23], v[14:15]
	v_add_f64_e32 v[22:23], v[16:17], v[32:33]
	;; [unrolled: 1-line block ×5, first 2 shown]
	s_wait_dscnt 0x0
	v_dual_add_f64 v[18:19], v[30:31], v[40:41] :: v_dual_lshlrev_b32 v29, 2, v26
	ds_bpermute_b32 v40, v29, v0
	ds_bpermute_b32 v41, v29, v1
	;; [unrolled: 1-line block ×16, first 2 shown]
	s_and_b32 exec_lo, exec_lo, vcc_lo
	s_cbranch_execz .LBB128_21
; %bb.17:
	v_cmp_eq_f64_e32 vcc_lo, 0, v[6:7]
	v_cmp_eq_f64_e64 s2, 0, v[8:9]
	s_wait_dscnt 0xe
	v_add_f64_e32 v[0:1], v[0:1], v[40:41]
	s_wait_dscnt 0xc
	v_add_f64_e32 v[24:25], v[24:25], v[38:39]
	s_wait_dscnt 0xa
	v_add_f64_e32 v[12:13], v[12:13], v[36:37]
	s_wait_dscnt 0x8
	v_add_f64_e32 v[22:23], v[22:23], v[34:35]
	s_wait_dscnt 0x6
	v_add_f64_e32 v[14:15], v[14:15], v[32:33]
	s_wait_dscnt 0x4
	v_add_f64_e32 v[20:21], v[20:21], v[30:31]
	s_wait_dscnt 0x2
	v_add_f64_e32 v[16:17], v[16:17], v[26:27]
	s_wait_dscnt 0x0
	v_add_f64_e32 v[18:19], v[18:19], v[28:29]
	s_load_b64 s[0:1], s[0:1], 0x48
	s_and_b32 s2, vcc_lo, s2
	s_delay_alu instid0(SALU_CYCLE_1) | instskip(NEXT) | instid1(SALU_CYCLE_1)
	s_and_saveexec_b32 s3, s2
	s_xor_b32 s2, exec_lo, s3
	s_cbranch_execz .LBB128_19
; %bb.18:
	v_mul_f64_e64 v[6:7], v[24:25], -v[4:5]
	v_mul_f64_e32 v[8:9], v[2:3], v[24:25]
	v_mul_f64_e64 v[24:25], v[22:23], -v[4:5]
	v_mul_f64_e32 v[26:27], v[2:3], v[22:23]
	;; [unrolled: 2-line block ×4, first 2 shown]
                                        ; implicit-def: $vgpr18_vgpr19
	v_fmac_f64_e32 v[6:7], v[2:3], v[0:1]
	v_fmac_f64_e32 v[8:9], v[4:5], v[0:1]
	;; [unrolled: 1-line block ×8, first 2 shown]
	v_lshlrev_b32_e32 v0, 2, v10
                                        ; implicit-def: $vgpr10
                                        ; implicit-def: $vgpr12_vgpr13
                                        ; implicit-def: $vgpr14_vgpr15
                                        ; implicit-def: $vgpr16_vgpr17
                                        ; implicit-def: $vgpr4_vgpr5
	s_wait_kmcnt 0x0
	s_clause 0x3
	global_store_b128 v0, v[6:9], s[0:1] scale_offset
	global_store_b128 v0, v[24:27], s[0:1] offset:16 scale_offset
	global_store_b128 v0, v[28:31], s[0:1] offset:32 scale_offset
	;; [unrolled: 1-line block ×3, first 2 shown]
                                        ; implicit-def: $vgpr0_vgpr1
                                        ; implicit-def: $vgpr24_vgpr25
                                        ; implicit-def: $vgpr22_vgpr23
                                        ; implicit-def: $vgpr20_vgpr21
                                        ; implicit-def: $vgpr8_vgpr9
.LBB128_19:
	s_wait_xcnt 0x0
	s_and_not1_saveexec_b32 s2, s2
	s_cbranch_execz .LBB128_21
; %bb.20:
	v_dual_mul_f64 v[42:43], v[24:25], -v[4:5] :: v_dual_lshlrev_b32 v52, 2, v10
	v_mul_f64_e32 v[24:25], v[2:3], v[24:25]
	v_mul_f64_e64 v[46:47], v[22:23], -v[4:5]
	v_mul_f64_e32 v[44:45], v[2:3], v[22:23]
	s_wait_kmcnt 0x0
	s_clause 0x3
	global_load_b128 v[26:29], v52, s[0:1] scale_offset
	global_load_b128 v[30:33], v52, s[0:1] offset:16 scale_offset
	global_load_b128 v[34:37], v52, s[0:1] offset:32 scale_offset
	;; [unrolled: 1-line block ×3, first 2 shown]
	v_mul_f64_e64 v[48:49], v[20:21], -v[4:5]
	v_mul_f64_e32 v[20:21], v[2:3], v[20:21]
	v_mul_f64_e64 v[50:51], v[18:19], -v[4:5]
	v_mul_f64_e32 v[10:11], v[2:3], v[18:19]
	v_fmac_f64_e32 v[42:43], v[2:3], v[0:1]
	v_fmac_f64_e32 v[24:25], v[4:5], v[0:1]
	;; [unrolled: 1-line block ×8, first 2 shown]
	s_wait_loadcnt 0x3
	v_fmac_f64_e32 v[42:43], v[6:7], v[26:27]
	v_fmac_f64_e32 v[24:25], v[8:9], v[26:27]
	s_wait_loadcnt 0x2
	v_fmac_f64_e32 v[46:47], v[6:7], v[30:31]
	v_fmac_f64_e32 v[44:45], v[8:9], v[30:31]
	;; [unrolled: 3-line block ×4, first 2 shown]
	v_fma_f64 v[22:23], -v[8:9], v[28:29], v[42:43]
	v_fmac_f64_e32 v[24:25], v[6:7], v[28:29]
	v_fma_f64 v[42:43], -v[8:9], v[32:33], v[46:47]
	v_fmac_f64_e32 v[44:45], v[6:7], v[32:33]
	;; [unrolled: 2-line block ×4, first 2 shown]
	s_clause 0x3
	global_store_b128 v52, v[22:25], s[0:1] scale_offset
	global_store_b128 v52, v[42:45], s[0:1] offset:16 scale_offset
	global_store_b128 v52, v[18:21], s[0:1] offset:32 scale_offset
	;; [unrolled: 1-line block ×3, first 2 shown]
.LBB128_21:
	s_sendmsg sendmsg(MSG_DEALLOC_VGPRS)
	s_endpgm
	.section	.rodata,"a",@progbits
	.p2align	6, 0x0
	.amdhsa_kernel _ZN9rocsparseL19gebsrmvn_4xn_kernelILj128ELj5ELj16E21rocsparse_complex_numIdEEEvi20rocsparse_direction_NS_24const_host_device_scalarIT2_EEPKiS8_PKS5_SA_S6_PS5_21rocsparse_index_base_b
		.amdhsa_group_segment_fixed_size 0
		.amdhsa_private_segment_fixed_size 0
		.amdhsa_kernarg_size 88
		.amdhsa_user_sgpr_count 2
		.amdhsa_user_sgpr_dispatch_ptr 0
		.amdhsa_user_sgpr_queue_ptr 0
		.amdhsa_user_sgpr_kernarg_segment_ptr 1
		.amdhsa_user_sgpr_dispatch_id 0
		.amdhsa_user_sgpr_kernarg_preload_length 0
		.amdhsa_user_sgpr_kernarg_preload_offset 0
		.amdhsa_user_sgpr_private_segment_size 0
		.amdhsa_wavefront_size32 1
		.amdhsa_uses_dynamic_stack 0
		.amdhsa_enable_private_segment 0
		.amdhsa_system_sgpr_workgroup_id_x 1
		.amdhsa_system_sgpr_workgroup_id_y 0
		.amdhsa_system_sgpr_workgroup_id_z 0
		.amdhsa_system_sgpr_workgroup_info 0
		.amdhsa_system_vgpr_workitem_id 0
		.amdhsa_next_free_vgpr 121
		.amdhsa_next_free_sgpr 14
		.amdhsa_named_barrier_count 0
		.amdhsa_reserve_vcc 1
		.amdhsa_float_round_mode_32 0
		.amdhsa_float_round_mode_16_64 0
		.amdhsa_float_denorm_mode_32 3
		.amdhsa_float_denorm_mode_16_64 3
		.amdhsa_fp16_overflow 0
		.amdhsa_memory_ordered 1
		.amdhsa_forward_progress 1
		.amdhsa_inst_pref_size 29
		.amdhsa_round_robin_scheduling 0
		.amdhsa_exception_fp_ieee_invalid_op 0
		.amdhsa_exception_fp_denorm_src 0
		.amdhsa_exception_fp_ieee_div_zero 0
		.amdhsa_exception_fp_ieee_overflow 0
		.amdhsa_exception_fp_ieee_underflow 0
		.amdhsa_exception_fp_ieee_inexact 0
		.amdhsa_exception_int_div_zero 0
	.end_amdhsa_kernel
	.section	.text._ZN9rocsparseL19gebsrmvn_4xn_kernelILj128ELj5ELj16E21rocsparse_complex_numIdEEEvi20rocsparse_direction_NS_24const_host_device_scalarIT2_EEPKiS8_PKS5_SA_S6_PS5_21rocsparse_index_base_b,"axG",@progbits,_ZN9rocsparseL19gebsrmvn_4xn_kernelILj128ELj5ELj16E21rocsparse_complex_numIdEEEvi20rocsparse_direction_NS_24const_host_device_scalarIT2_EEPKiS8_PKS5_SA_S6_PS5_21rocsparse_index_base_b,comdat
.Lfunc_end128:
	.size	_ZN9rocsparseL19gebsrmvn_4xn_kernelILj128ELj5ELj16E21rocsparse_complex_numIdEEEvi20rocsparse_direction_NS_24const_host_device_scalarIT2_EEPKiS8_PKS5_SA_S6_PS5_21rocsparse_index_base_b, .Lfunc_end128-_ZN9rocsparseL19gebsrmvn_4xn_kernelILj128ELj5ELj16E21rocsparse_complex_numIdEEEvi20rocsparse_direction_NS_24const_host_device_scalarIT2_EEPKiS8_PKS5_SA_S6_PS5_21rocsparse_index_base_b
                                        ; -- End function
	.set _ZN9rocsparseL19gebsrmvn_4xn_kernelILj128ELj5ELj16E21rocsparse_complex_numIdEEEvi20rocsparse_direction_NS_24const_host_device_scalarIT2_EEPKiS8_PKS5_SA_S6_PS5_21rocsparse_index_base_b.num_vgpr, 121
	.set _ZN9rocsparseL19gebsrmvn_4xn_kernelILj128ELj5ELj16E21rocsparse_complex_numIdEEEvi20rocsparse_direction_NS_24const_host_device_scalarIT2_EEPKiS8_PKS5_SA_S6_PS5_21rocsparse_index_base_b.num_agpr, 0
	.set _ZN9rocsparseL19gebsrmvn_4xn_kernelILj128ELj5ELj16E21rocsparse_complex_numIdEEEvi20rocsparse_direction_NS_24const_host_device_scalarIT2_EEPKiS8_PKS5_SA_S6_PS5_21rocsparse_index_base_b.numbered_sgpr, 14
	.set _ZN9rocsparseL19gebsrmvn_4xn_kernelILj128ELj5ELj16E21rocsparse_complex_numIdEEEvi20rocsparse_direction_NS_24const_host_device_scalarIT2_EEPKiS8_PKS5_SA_S6_PS5_21rocsparse_index_base_b.num_named_barrier, 0
	.set _ZN9rocsparseL19gebsrmvn_4xn_kernelILj128ELj5ELj16E21rocsparse_complex_numIdEEEvi20rocsparse_direction_NS_24const_host_device_scalarIT2_EEPKiS8_PKS5_SA_S6_PS5_21rocsparse_index_base_b.private_seg_size, 0
	.set _ZN9rocsparseL19gebsrmvn_4xn_kernelILj128ELj5ELj16E21rocsparse_complex_numIdEEEvi20rocsparse_direction_NS_24const_host_device_scalarIT2_EEPKiS8_PKS5_SA_S6_PS5_21rocsparse_index_base_b.uses_vcc, 1
	.set _ZN9rocsparseL19gebsrmvn_4xn_kernelILj128ELj5ELj16E21rocsparse_complex_numIdEEEvi20rocsparse_direction_NS_24const_host_device_scalarIT2_EEPKiS8_PKS5_SA_S6_PS5_21rocsparse_index_base_b.uses_flat_scratch, 0
	.set _ZN9rocsparseL19gebsrmvn_4xn_kernelILj128ELj5ELj16E21rocsparse_complex_numIdEEEvi20rocsparse_direction_NS_24const_host_device_scalarIT2_EEPKiS8_PKS5_SA_S6_PS5_21rocsparse_index_base_b.has_dyn_sized_stack, 0
	.set _ZN9rocsparseL19gebsrmvn_4xn_kernelILj128ELj5ELj16E21rocsparse_complex_numIdEEEvi20rocsparse_direction_NS_24const_host_device_scalarIT2_EEPKiS8_PKS5_SA_S6_PS5_21rocsparse_index_base_b.has_recursion, 0
	.set _ZN9rocsparseL19gebsrmvn_4xn_kernelILj128ELj5ELj16E21rocsparse_complex_numIdEEEvi20rocsparse_direction_NS_24const_host_device_scalarIT2_EEPKiS8_PKS5_SA_S6_PS5_21rocsparse_index_base_b.has_indirect_call, 0
	.section	.AMDGPU.csdata,"",@progbits
; Kernel info:
; codeLenInByte = 3644
; TotalNumSgprs: 16
; NumVgprs: 121
; ScratchSize: 0
; MemoryBound: 0
; FloatMode: 240
; IeeeMode: 1
; LDSByteSize: 0 bytes/workgroup (compile time only)
; SGPRBlocks: 0
; VGPRBlocks: 7
; NumSGPRsForWavesPerEU: 16
; NumVGPRsForWavesPerEU: 121
; NamedBarCnt: 0
; Occupancy: 8
; WaveLimiterHint : 1
; COMPUTE_PGM_RSRC2:SCRATCH_EN: 0
; COMPUTE_PGM_RSRC2:USER_SGPR: 2
; COMPUTE_PGM_RSRC2:TRAP_HANDLER: 0
; COMPUTE_PGM_RSRC2:TGID_X_EN: 1
; COMPUTE_PGM_RSRC2:TGID_Y_EN: 0
; COMPUTE_PGM_RSRC2:TGID_Z_EN: 0
; COMPUTE_PGM_RSRC2:TIDIG_COMP_CNT: 0
	.section	.text._ZN9rocsparseL19gebsrmvn_4xn_kernelILj128ELj5ELj32E21rocsparse_complex_numIdEEEvi20rocsparse_direction_NS_24const_host_device_scalarIT2_EEPKiS8_PKS5_SA_S6_PS5_21rocsparse_index_base_b,"axG",@progbits,_ZN9rocsparseL19gebsrmvn_4xn_kernelILj128ELj5ELj32E21rocsparse_complex_numIdEEEvi20rocsparse_direction_NS_24const_host_device_scalarIT2_EEPKiS8_PKS5_SA_S6_PS5_21rocsparse_index_base_b,comdat
	.globl	_ZN9rocsparseL19gebsrmvn_4xn_kernelILj128ELj5ELj32E21rocsparse_complex_numIdEEEvi20rocsparse_direction_NS_24const_host_device_scalarIT2_EEPKiS8_PKS5_SA_S6_PS5_21rocsparse_index_base_b ; -- Begin function _ZN9rocsparseL19gebsrmvn_4xn_kernelILj128ELj5ELj32E21rocsparse_complex_numIdEEEvi20rocsparse_direction_NS_24const_host_device_scalarIT2_EEPKiS8_PKS5_SA_S6_PS5_21rocsparse_index_base_b
	.p2align	8
	.type	_ZN9rocsparseL19gebsrmvn_4xn_kernelILj128ELj5ELj32E21rocsparse_complex_numIdEEEvi20rocsparse_direction_NS_24const_host_device_scalarIT2_EEPKiS8_PKS5_SA_S6_PS5_21rocsparse_index_base_b,@function
_ZN9rocsparseL19gebsrmvn_4xn_kernelILj128ELj5ELj32E21rocsparse_complex_numIdEEEvi20rocsparse_direction_NS_24const_host_device_scalarIT2_EEPKiS8_PKS5_SA_S6_PS5_21rocsparse_index_base_b: ; @_ZN9rocsparseL19gebsrmvn_4xn_kernelILj128ELj5ELj32E21rocsparse_complex_numIdEEEvi20rocsparse_direction_NS_24const_host_device_scalarIT2_EEPKiS8_PKS5_SA_S6_PS5_21rocsparse_index_base_b
; %bb.0:
	s_clause 0x1
	s_load_b64 s[12:13], s[0:1], 0x50
	s_load_b64 s[2:3], s[0:1], 0x8
	v_mov_b32_e32 v1, 0
	s_add_nc_u64 s[4:5], s[0:1], 8
	s_load_b64 s[6:7], s[0:1], 0x38
	s_wait_kmcnt 0x0
	s_bitcmp1_b32 s13, 0
	s_cselect_b32 s3, s5, s3
	s_cselect_b32 s2, s4, s2
	flat_load_b128 v[2:5], v1, s[2:3]
	s_wait_xcnt 0x0
	s_add_nc_u64 s[2:3], s[0:1], 56
	s_delay_alu instid0(SALU_CYCLE_1)
	s_cselect_b32 s3, s3, s7
	s_cselect_b32 s2, s2, s6
	flat_load_b128 v[6:9], v1, s[2:3]
	s_wait_loadcnt_dscnt 0x101
	v_cmp_eq_f64_e32 vcc_lo, 0, v[2:3]
	s_wait_xcnt 0x0
	v_cmp_eq_f64_e64 s2, 0, v[4:5]
	s_and_b32 s4, vcc_lo, s2
	s_mov_b32 s2, -1
	s_and_saveexec_b32 s3, s4
	s_cbranch_execz .LBB129_2
; %bb.1:
	s_wait_loadcnt_dscnt 0x0
	v_cmp_neq_f64_e32 vcc_lo, 1.0, v[6:7]
	v_cmp_neq_f64_e64 s2, 0, v[8:9]
	s_or_b32 s2, vcc_lo, s2
	s_delay_alu instid0(SALU_CYCLE_1)
	s_or_not1_b32 s2, s2, exec_lo
.LBB129_2:
	s_or_b32 exec_lo, exec_lo, s3
	s_and_saveexec_b32 s3, s2
	s_cbranch_execz .LBB129_21
; %bb.3:
	s_load_b64 s[2:3], s[0:1], 0x0
	s_bfe_u32 s4, ttmp6, 0x4000c
	s_and_b32 s5, ttmp6, 15
	s_add_co_i32 s4, s4, 1
	s_getreg_b32 s6, hwreg(HW_REG_IB_STS2, 6, 4)
	s_mul_i32 s4, ttmp9, s4
	v_lshrrev_b32_e32 v1, 5, v0
	s_add_co_i32 s5, s5, s4
	s_cmp_eq_u32 s6, 0
	s_cselect_b32 s4, ttmp9, s5
	s_delay_alu instid0(VALU_DEP_1) | instid1(SALU_CYCLE_1)
	v_lshl_or_b32 v10, s4, 2, v1
	s_wait_kmcnt 0x0
	s_delay_alu instid0(VALU_DEP_1)
	v_cmp_gt_i32_e32 vcc_lo, s2, v10
	s_and_b32 exec_lo, exec_lo, vcc_lo
	s_cbranch_execz .LBB129_21
; %bb.4:
	s_load_b256 s[4:11], s[0:1], 0x18
	v_ashrrev_i32_e32 v11, 31, v10
	s_cmp_lg_u32 s3, 0
	s_wait_kmcnt 0x0
	s_delay_alu instid0(VALU_DEP_1)
	v_lshl_add_u64 v[12:13], v[10:11], 2, s[4:5]
	v_and_b32_e32 v11, 31, v0
	global_load_b64 v[12:13], v[12:13], off
	s_wait_loadcnt 0x0
	v_subrev_nc_u32_e32 v0, s12, v12
	v_subrev_nc_u32_e32 v26, s12, v13
	s_delay_alu instid0(VALU_DEP_2) | instskip(NEXT) | instid1(VALU_DEP_1)
	v_add_nc_u32_e32 v27, v0, v11
	v_cmp_lt_i32_e64 s2, v27, v26
	s_cbranch_scc0 .LBB129_10
; %bb.5:
	v_mov_b64_e32 v[0:1], 0
	v_mov_b64_e32 v[24:25], 0
	v_mov_b64_e32 v[18:19], 0
	v_mov_b64_e32 v[12:13], 0
	v_mov_b64_e32 v[20:21], 0
	v_mov_b64_e32 v[14:15], 0
	v_mov_b64_e32 v[22:23], 0
	v_mov_b64_e32 v[16:17], 0
	s_and_saveexec_b32 s3, s2
	s_cbranch_execz .LBB129_9
; %bb.6:
	v_mad_u32 v28, v27, 20, 16
	v_mov_b64_e32 v[0:1], 0
	v_mov_b64_e32 v[24:25], 0
	;; [unrolled: 1-line block ×8, first 2 shown]
	v_mov_b32_e32 v29, v27
	s_mov_b32 s4, 0
.LBB129_7:                              ; =>This Inner Loop Header: Depth=1
	global_load_b32 v46, v29, s[6:7] scale_offset
	v_dual_add_nc_u32 v47, -16, v28 :: v_dual_add_nc_u32 v66, -12, v28
	v_dual_add_nc_u32 v86, -8, v28 :: v_dual_add_nc_u32 v118, -4, v28
	s_clause 0x3
	global_load_b128 v[30:33], v47, s[8:9] offset:48 scale_offset
	global_load_b128 v[34:37], v47, s[8:9] offset:32 scale_offset
	;; [unrolled: 1-line block ×3, first 2 shown]
	global_load_b128 v[42:45], v47, s[8:9] scale_offset
	s_wait_xcnt 0x4
	v_add_nc_u32_e32 v29, 32, v29
	s_delay_alu instid0(VALU_DEP_1) | instskip(SKIP_3) | instid1(VALU_DEP_1)
	v_cmp_ge_i32_e32 vcc_lo, v29, v26
	s_or_b32 s4, vcc_lo, s4
	s_wait_loadcnt 0x4
	v_subrev_nc_u32_e32 v46, s12, v46
	v_lshl_add_u32 v120, v46, 2, v46
	global_load_b128 v[46:49], v120, s[10:11] scale_offset
	s_clause 0x3
	global_load_b128 v[50:53], v66, s[8:9] offset:48 scale_offset
	global_load_b128 v[54:57], v66, s[8:9] offset:32 scale_offset
	;; [unrolled: 1-line block ×3, first 2 shown]
	global_load_b128 v[62:65], v66, s[8:9] scale_offset
	s_wait_xcnt 0x0
	v_add_nc_u32_e32 v66, 1, v120
	global_load_b128 v[66:69], v66, s[10:11] scale_offset
	s_clause 0x3
	global_load_b128 v[70:73], v86, s[8:9] offset:48 scale_offset
	global_load_b128 v[74:77], v86, s[8:9] offset:32 scale_offset
	global_load_b128 v[78:81], v86, s[8:9] offset:16 scale_offset
	global_load_b128 v[82:85], v86, s[8:9] scale_offset
	s_wait_xcnt 0x0
	v_add_nc_u32_e32 v86, 2, v120
	global_load_b128 v[86:89], v86, s[10:11] scale_offset
	s_clause 0x6
	global_load_b128 v[90:93], v28, s[8:9] offset:48 scale_offset
	global_load_b128 v[94:97], v28, s[8:9] offset:32 scale_offset
	;; [unrolled: 1-line block ×6, first 2 shown]
	global_load_b128 v[114:117], v118, s[8:9] scale_offset
	s_wait_loadcnt 0x11
	v_fmac_f64_e32 v[24:25], v[42:43], v[46:47]
	v_fmac_f64_e32 v[0:1], v[44:45], v[46:47]
	v_fmac_f64_e32 v[16:17], v[40:41], v[46:47]
	v_fmac_f64_e32 v[22:23], v[38:39], v[46:47]
	v_fmac_f64_e32 v[20:21], v[34:35], v[46:47]
	v_fmac_f64_e32 v[14:15], v[36:37], v[46:47]
	v_fmac_f64_e32 v[18:19], v[30:31], v[46:47]
	v_fmac_f64_e32 v[12:13], v[32:33], v[46:47]
	s_wait_xcnt 0x0
	v_fma_f64 v[118:119], -v[44:45], v[48:49], v[24:25]
	v_add_nc_u32_e32 v24, 3, v120
	v_fmac_f64_e32 v[0:1], v[42:43], v[48:49]
	v_fmac_f64_e32 v[16:17], v[38:39], v[48:49]
	v_add_nc_u32_e32 v38, 4, v120
	v_fma_f64 v[40:41], -v[40:41], v[48:49], v[22:23]
	global_load_b128 v[42:45], v24, s[10:11] scale_offset
	v_fma_f64 v[20:21], -v[36:37], v[48:49], v[20:21]
	v_fmac_f64_e32 v[14:15], v[34:35], v[48:49]
	global_load_b128 v[34:37], v38, s[10:11] scale_offset
	global_load_b128 v[22:25], v28, s[8:9] scale_offset
	v_fma_f64 v[18:19], -v[32:33], v[48:49], v[18:19]
	v_fmac_f64_e32 v[12:13], v[30:31], v[48:49]
	s_wait_xcnt 0x0
	v_add_nc_u32_e32 v28, 0x280, v28
	s_wait_loadcnt 0xf
	v_fmac_f64_e32 v[118:119], v[62:63], v[66:67]
	v_fmac_f64_e32 v[0:1], v[64:65], v[66:67]
	;; [unrolled: 1-line block ×8, first 2 shown]
	v_fma_f64 v[30:31], -v[64:65], v[68:69], v[118:119]
	v_fmac_f64_e32 v[0:1], v[62:63], v[68:69]
	v_fmac_f64_e32 v[16:17], v[58:59], v[68:69]
	v_fma_f64 v[32:33], -v[60:61], v[68:69], v[40:41]
	v_fma_f64 v[20:21], -v[56:57], v[68:69], v[20:21]
	v_fmac_f64_e32 v[14:15], v[54:55], v[68:69]
	v_fma_f64 v[18:19], -v[52:53], v[68:69], v[18:19]
	v_fmac_f64_e32 v[12:13], v[50:51], v[68:69]
	s_wait_loadcnt 0xa
	v_fmac_f64_e32 v[30:31], v[82:83], v[86:87]
	v_fmac_f64_e32 v[0:1], v[84:85], v[86:87]
	;; [unrolled: 1-line block ×8, first 2 shown]
	v_fma_f64 v[30:31], -v[84:85], v[88:89], v[30:31]
	v_fmac_f64_e32 v[0:1], v[82:83], v[88:89]
	v_fmac_f64_e32 v[16:17], v[78:79], v[88:89]
	v_fma_f64 v[32:33], -v[80:81], v[88:89], v[32:33]
	v_fma_f64 v[20:21], -v[76:77], v[88:89], v[20:21]
	v_fmac_f64_e32 v[14:15], v[74:75], v[88:89]
	v_fma_f64 v[18:19], -v[72:73], v[88:89], v[18:19]
	v_fmac_f64_e32 v[12:13], v[70:71], v[88:89]
	s_wait_loadcnt 0x2
	v_fmac_f64_e32 v[30:31], v[114:115], v[42:43]
	v_fmac_f64_e32 v[0:1], v[116:117], v[42:43]
	;; [unrolled: 1-line block ×8, first 2 shown]
	v_fma_f64 v[30:31], -v[116:117], v[44:45], v[30:31]
	v_fmac_f64_e32 v[0:1], v[114:115], v[44:45]
	v_fma_f64 v[32:33], -v[112:113], v[44:45], v[32:33]
	v_fmac_f64_e32 v[16:17], v[110:111], v[44:45]
	;; [unrolled: 2-line block ×4, first 2 shown]
	s_wait_loadcnt 0x0
	v_fmac_f64_e32 v[30:31], v[22:23], v[34:35]
	v_fmac_f64_e32 v[0:1], v[24:25], v[34:35]
	;; [unrolled: 1-line block ×8, first 2 shown]
	v_fma_f64 v[24:25], -v[24:25], v[36:37], v[30:31]
	v_fmac_f64_e32 v[0:1], v[22:23], v[36:37]
	v_fma_f64 v[22:23], -v[100:101], v[36:37], v[32:33]
	v_fmac_f64_e32 v[16:17], v[98:99], v[36:37]
	;; [unrolled: 2-line block ×4, first 2 shown]
	s_and_not1_b32 exec_lo, exec_lo, s4
	s_cbranch_execnz .LBB129_7
; %bb.8:
	s_or_b32 exec_lo, exec_lo, s4
.LBB129_9:
	s_delay_alu instid0(SALU_CYCLE_1)
	s_or_b32 exec_lo, exec_lo, s3
	s_cbranch_execz .LBB129_11
	s_branch .LBB129_16
.LBB129_10:
                                        ; implicit-def: $vgpr0_vgpr1
                                        ; implicit-def: $vgpr24_vgpr25
                                        ; implicit-def: $vgpr18_vgpr19
                                        ; implicit-def: $vgpr12_vgpr13
                                        ; implicit-def: $vgpr20_vgpr21
                                        ; implicit-def: $vgpr14_vgpr15
                                        ; implicit-def: $vgpr22_vgpr23
                                        ; implicit-def: $vgpr16_vgpr17
.LBB129_11:
	v_mov_b64_e32 v[0:1], 0
	v_mov_b64_e32 v[24:25], 0
	;; [unrolled: 1-line block ×8, first 2 shown]
	s_and_saveexec_b32 s3, s2
	s_cbranch_execz .LBB129_15
; %bb.12:
	v_mad_u32 v28, v27, 20, 19
	v_mov_b64_e32 v[0:1], 0
	v_mov_b64_e32 v[24:25], 0
	v_mov_b64_e32 v[18:19], 0
	v_mov_b64_e32 v[12:13], 0
	v_mov_b64_e32 v[20:21], 0
	v_mov_b64_e32 v[14:15], 0
	v_mov_b64_e32 v[22:23], 0
	v_mov_b64_e32 v[16:17], 0
	s_mov_b32 s2, 0
.LBB129_13:                             ; =>This Inner Loop Header: Depth=1
	global_load_b32 v29, v27, s[6:7] scale_offset
	v_dual_add_nc_u32 v91, -14, v28 :: v_dual_add_nc_u32 v92, -9, v28
	v_dual_add_nc_u32 v93, -4, v28 :: v_dual_add_nc_u32 v94, -13, v28
	v_subrev_nc_u32_e32 v90, 19, v28
	v_dual_add_nc_u32 v95, -8, v28 :: v_dual_add_nc_u32 v96, -3, v28
	v_dual_add_nc_u32 v97, -12, v28 :: v_dual_add_nc_u32 v98, -7, v28
	;; [unrolled: 1-line block ×4, first 2 shown]
	s_clause 0xf
	global_load_b128 v[30:33], v28, s[8:9] scale_offset
	global_load_b128 v[34:37], v91, s[8:9] scale_offset
	;; [unrolled: 1-line block ×5, first 2 shown]
	global_load_b128 v[50:53], v90, s[8:9] offset:16 scale_offset
	global_load_b128 v[54:57], v94, s[8:9] scale_offset
	global_load_b128 v[58:61], v95, s[8:9] scale_offset
	;; [unrolled: 1-line block ×3, first 2 shown]
	global_load_b128 v[66:69], v90, s[8:9] offset:48 scale_offset
	global_load_b128 v[70:73], v90, s[8:9] offset:32 scale_offset
	global_load_b128 v[74:77], v97, s[8:9] scale_offset
	global_load_b128 v[78:81], v98, s[8:9] scale_offset
	;; [unrolled: 1-line block ×4, first 2 shown]
	; meta instruction
	; meta instruction
	;; [unrolled: 1-line block ×11, first 2 shown]
	global_load_b128 v[90:93], v101, s[8:9] scale_offset
	v_dual_add_nc_u32 v105, -15, v28 :: v_dual_add_nc_u32 v106, -10, v28
	v_add_nc_u32_e32 v27, 32, v27
	s_delay_alu instid0(VALU_DEP_1) | instskip(SKIP_3) | instid1(VALU_DEP_1)
	v_cmp_ge_i32_e32 vcc_lo, v27, v26
	s_or_b32 s2, vcc_lo, s2
	s_wait_loadcnt 0x10
	v_subrev_nc_u32_e32 v29, s12, v29
	v_lshl_add_u32 v29, v29, 2, v29
	v_add_nc_u32_e32 v107, -5, v28
	v_add_nc_u32_e32 v28, 0x280, v28
	global_load_b128 v[94:97], v29, s[10:11] scale_offset
	s_wait_loadcnt 0x0
	v_fmac_f64_e32 v[24:25], v[46:47], v[94:95]
	v_fmac_f64_e32 v[0:1], v[48:49], v[94:95]
	v_fmac_f64_e32 v[22:23], v[34:35], v[94:95]
	v_fmac_f64_e32 v[14:15], v[40:41], v[94:95]
	v_fmac_f64_e32 v[20:21], v[38:39], v[94:95]
	v_fmac_f64_e32 v[16:17], v[36:37], v[94:95]
	v_fmac_f64_e32 v[18:19], v[42:43], v[94:95]
	v_fmac_f64_e32 v[12:13], v[44:45], v[94:95]
	v_fma_f64 v[98:99], -v[48:49], v[96:97], v[24:25]
	v_add_nc_u32_e32 v24, 1, v29
	v_fmac_f64_e32 v[0:1], v[46:47], v[96:97]
	v_fma_f64 v[100:101], -v[36:37], v[96:97], v[22:23]
	v_add_nc_u32_e32 v22, 2, v29
	v_fmac_f64_e32 v[14:15], v[38:39], v[96:97]
	global_load_b128 v[46:49], v24, s[10:11] scale_offset
	v_add_nc_u32_e32 v38, 3, v29
	v_fmac_f64_e32 v[16:17], v[34:35], v[96:97]
	global_load_b128 v[22:25], v22, s[10:11] scale_offset
	v_fma_f64 v[102:103], -v[40:41], v[96:97], v[20:21]
	global_load_b128 v[34:37], v104, s[8:9] scale_offset
	global_load_b128 v[38:41], v38, s[10:11] scale_offset
	v_add_nc_u32_e32 v29, 4, v29
	v_fma_f64 v[94:95], -v[44:45], v[96:97], v[18:19]
	v_fmac_f64_e32 v[12:13], v[42:43], v[96:97]
	global_load_b128 v[18:21], v105, s[8:9] scale_offset
	s_wait_loadcnt 0x4
	v_fmac_f64_e32 v[98:99], v[50:51], v[46:47]
	v_fmac_f64_e32 v[0:1], v[52:53], v[46:47]
	;; [unrolled: 1-line block ×8, first 2 shown]
	v_fma_f64 v[96:97], -v[52:53], v[48:49], v[98:99]
	v_fmac_f64_e32 v[0:1], v[50:51], v[48:49]
	s_clause 0x1
	global_load_b128 v[42:45], v106, s[8:9] scale_offset
	global_load_b128 v[50:53], v107, s[8:9] scale_offset
	v_fma_f64 v[98:99], -v[56:57], v[48:49], v[100:101]
	v_fmac_f64_e32 v[16:17], v[54:55], v[48:49]
	global_load_b128 v[54:57], v29, s[10:11] scale_offset
	v_fma_f64 v[46:47], -v[60:61], v[48:49], v[102:103]
	v_fmac_f64_e32 v[14:15], v[58:59], v[48:49]
	v_fma_f64 v[58:59], -v[64:65], v[48:49], v[94:95]
	v_fmac_f64_e32 v[12:13], v[62:63], v[48:49]
	s_wait_loadcnt 0x6
	v_fmac_f64_e32 v[96:97], v[70:71], v[22:23]
	v_fmac_f64_e32 v[0:1], v[72:73], v[22:23]
	v_fmac_f64_e32 v[98:99], v[74:75], v[22:23]
	v_fmac_f64_e32 v[16:17], v[76:77], v[22:23]
	v_fmac_f64_e32 v[46:47], v[78:79], v[22:23]
	v_fmac_f64_e32 v[14:15], v[80:81], v[22:23]
	v_fmac_f64_e32 v[58:59], v[82:83], v[22:23]
	v_fmac_f64_e32 v[12:13], v[84:85], v[22:23]
	v_fma_f64 v[22:23], -v[72:73], v[24:25], v[96:97]
	v_fmac_f64_e32 v[0:1], v[70:71], v[24:25]
	v_fma_f64 v[48:49], -v[76:77], v[24:25], v[98:99]
	v_fmac_f64_e32 v[16:17], v[74:75], v[24:25]
	v_fma_f64 v[46:47], -v[80:81], v[24:25], v[46:47]
	v_fmac_f64_e32 v[14:15], v[78:79], v[24:25]
	v_fma_f64 v[58:59], -v[84:85], v[24:25], v[58:59]
	v_fmac_f64_e32 v[12:13], v[82:83], v[24:25]
	s_wait_loadcnt 0x4
	v_fmac_f64_e32 v[22:23], v[66:67], v[38:39]
	v_fmac_f64_e32 v[0:1], v[68:69], v[38:39]
	v_fmac_f64_e32 v[48:49], v[86:87], v[38:39]
	v_fmac_f64_e32 v[16:17], v[88:89], v[38:39]
	v_fmac_f64_e32 v[46:47], v[90:91], v[38:39]
	v_fmac_f64_e32 v[14:15], v[92:93], v[38:39]
	v_fmac_f64_e32 v[58:59], v[34:35], v[38:39]
	v_fmac_f64_e32 v[12:13], v[36:37], v[38:39]
	v_fma_f64 v[22:23], -v[68:69], v[40:41], v[22:23]
	v_fmac_f64_e32 v[0:1], v[66:67], v[40:41]
	v_fma_f64 v[38:39], -v[88:89], v[40:41], v[48:49]
	v_fmac_f64_e32 v[16:17], v[86:87], v[40:41]
	;; [unrolled: 17-line block ×3, first 2 shown]
	v_fma_f64 v[20:21], -v[52:53], v[56:57], v[46:47]
	v_fmac_f64_e32 v[14:15], v[50:51], v[56:57]
	v_fma_f64 v[18:19], -v[32:33], v[56:57], v[36:37]
	v_fmac_f64_e32 v[12:13], v[30:31], v[56:57]
	s_and_not1_b32 exec_lo, exec_lo, s2
	s_cbranch_execnz .LBB129_13
; %bb.14:
	s_or_b32 exec_lo, exec_lo, s2
.LBB129_15:
	s_delay_alu instid0(SALU_CYCLE_1)
	s_or_b32 exec_lo, exec_lo, s3
.LBB129_16:
	v_mbcnt_lo_u32_b32 v42, -1, 0
	s_delay_alu instid0(VALU_DEP_1) | instskip(NEXT) | instid1(VALU_DEP_1)
	v_xor_b32_e32 v26, 16, v42
	v_cmp_gt_i32_e32 vcc_lo, 32, v26
	v_cndmask_b32_e32 v26, v42, v26, vcc_lo
	s_delay_alu instid0(VALU_DEP_1)
	v_lshlrev_b32_e32 v41, 2, v26
	ds_bpermute_b32 v36, v41, v14
	ds_bpermute_b32 v37, v41, v15
	s_wait_dscnt 0x0
	v_add_f64_e32 v[14:15], v[14:15], v[36:37]
	ds_bpermute_b32 v32, v41, v16
	ds_bpermute_b32 v33, v41, v17
	;; [unrolled: 1-line block ×14, first 2 shown]
	s_wait_dscnt 0xc
	v_add_f64_e32 v[16:17], v[16:17], v[32:33]
	s_wait_dscnt 0xa
	v_add_f64_e32 v[24:25], v[24:25], v[26:27]
	s_wait_dscnt 0x8
	v_dual_add_f64 v[0:1], v[0:1], v[28:29] :: v_dual_bitop2_b32 v26, 8, v42 bitop3:0x14
	s_wait_dscnt 0x6
	v_add_f64_e32 v[22:23], v[22:23], v[30:31]
	s_delay_alu instid0(VALU_DEP_2)
	v_cmp_gt_i32_e32 vcc_lo, 32, v26
	s_wait_dscnt 0x4
	v_add_f64_e32 v[20:21], v[20:21], v[34:35]
	s_wait_dscnt 0x2
	v_add_f64_e32 v[18:19], v[18:19], v[38:39]
	s_wait_dscnt 0x0
	v_dual_add_f64 v[12:13], v[12:13], v[40:41] :: v_dual_cndmask_b32 v26, v42, v26, vcc_lo
	s_delay_alu instid0(VALU_DEP_1)
	v_lshlrev_b32_e32 v41, 2, v26
	ds_bpermute_b32 v32, v41, v16
	ds_bpermute_b32 v33, v41, v17
	s_wait_dscnt 0x0
	v_add_f64_e32 v[16:17], v[16:17], v[32:33]
	ds_bpermute_b32 v26, v41, v24
	ds_bpermute_b32 v27, v41, v25
	;; [unrolled: 1-line block ×14, first 2 shown]
	s_wait_dscnt 0xc
	v_add_f64_e32 v[24:25], v[24:25], v[26:27]
	s_wait_dscnt 0xa
	v_dual_add_f64 v[0:1], v[0:1], v[28:29] :: v_dual_bitop2_b32 v26, 4, v42 bitop3:0x14
	s_wait_dscnt 0x8
	v_add_f64_e32 v[14:15], v[14:15], v[36:37]
	s_delay_alu instid0(VALU_DEP_2)
	v_cmp_gt_i32_e32 vcc_lo, 32, v26
	s_wait_dscnt 0x6
	v_add_f64_e32 v[22:23], v[22:23], v[30:31]
	s_wait_dscnt 0x4
	v_add_f64_e32 v[20:21], v[20:21], v[34:35]
	;; [unrolled: 2-line block ×3, first 2 shown]
	s_wait_dscnt 0x0
	v_dual_add_f64 v[12:13], v[12:13], v[40:41] :: v_dual_cndmask_b32 v26, v42, v26, vcc_lo
	s_delay_alu instid0(VALU_DEP_1)
	v_lshlrev_b32_e32 v41, 2, v26
	ds_bpermute_b32 v26, v41, v24
	ds_bpermute_b32 v27, v41, v25
	;; [unrolled: 1-line block ×4, first 2 shown]
	s_wait_dscnt 0x2
	v_add_f64_e32 v[24:25], v[24:25], v[26:27]
	s_wait_dscnt 0x0
	v_add_f64_e32 v[26:27], v[0:1], v[28:29]
	ds_bpermute_b32 v32, v41, v16
	ds_bpermute_b32 v33, v41, v17
	;; [unrolled: 1-line block ×12, first 2 shown]
	v_xor_b32_e32 v0, 2, v42
	s_delay_alu instid0(VALU_DEP_1)
	v_cmp_gt_i32_e32 vcc_lo, 32, v0
	s_wait_dscnt 0xa
	v_add_f64_e32 v[16:17], v[16:17], v[32:33]
	v_cndmask_b32_e32 v0, v42, v0, vcc_lo
	s_wait_dscnt 0x8
	v_add_f64_e32 v[22:23], v[22:23], v[30:31]
	s_wait_dscnt 0x6
	v_add_f64_e32 v[20:21], v[20:21], v[34:35]
	;; [unrolled: 2-line block ×5, first 2 shown]
	v_lshlrev_b32_e32 v41, 2, v0
	ds_bpermute_b32 v0, v41, v24
	ds_bpermute_b32 v1, v41, v25
	;; [unrolled: 1-line block ×9, first 2 shown]
	s_wait_dscnt 0x7
	v_add_f64_e32 v[0:1], v[24:25], v[0:1]
	ds_bpermute_b32 v35, v41, v21
	s_wait_dscnt 0x6
	v_dual_add_f64 v[24:25], v[26:27], v[12:13] :: v_dual_bitop2_b32 v26, 1, v42 bitop3:0x14
	ds_bpermute_b32 v36, v41, v28
	ds_bpermute_b32 v37, v41, v29
	;; [unrolled: 1-line block ×4, first 2 shown]
	v_cmp_gt_i32_e32 vcc_lo, 32, v26
	v_cndmask_b32_e32 v26, v42, v26, vcc_lo
	ds_bpermute_b32 v40, v41, v30
	ds_bpermute_b32 v41, v41, v31
	v_cmp_eq_u32_e32 vcc_lo, 31, v11
	s_wait_dscnt 0x8
	v_add_f64_e32 v[12:13], v[22:23], v[14:15]
	v_add_f64_e32 v[22:23], v[16:17], v[32:33]
	s_wait_dscnt 0x6
	v_add_f64_e32 v[14:15], v[20:21], v[34:35]
	s_wait_dscnt 0x4
	v_dual_add_f64 v[20:21], v[28:29], v[36:37] :: v_dual_lshlrev_b32 v29, 2, v26
	s_wait_dscnt 0x2
	v_add_f64_e32 v[16:17], v[18:19], v[38:39]
	ds_bpermute_b32 v38, v29, v24
	s_wait_dscnt 0x1
	v_add_f64_e32 v[18:19], v[30:31], v[40:41]
	ds_bpermute_b32 v40, v29, v0
	ds_bpermute_b32 v41, v29, v1
	;; [unrolled: 1-line block ×15, first 2 shown]
	s_and_b32 exec_lo, exec_lo, vcc_lo
	s_cbranch_execz .LBB129_21
; %bb.17:
	v_cmp_eq_f64_e32 vcc_lo, 0, v[6:7]
	v_cmp_eq_f64_e64 s2, 0, v[8:9]
	s_wait_dscnt 0xd
	v_add_f64_e32 v[0:1], v[0:1], v[40:41]
	s_wait_dscnt 0xc
	v_add_f64_e32 v[24:25], v[24:25], v[38:39]
	;; [unrolled: 2-line block ×8, first 2 shown]
	s_load_b64 s[0:1], s[0:1], 0x48
	s_and_b32 s2, vcc_lo, s2
	s_delay_alu instid0(SALU_CYCLE_1) | instskip(NEXT) | instid1(SALU_CYCLE_1)
	s_and_saveexec_b32 s3, s2
	s_xor_b32 s2, exec_lo, s3
	s_cbranch_execz .LBB129_19
; %bb.18:
	v_mul_f64_e64 v[6:7], v[24:25], -v[4:5]
	v_mul_f64_e32 v[8:9], v[2:3], v[24:25]
	v_mul_f64_e64 v[24:25], v[22:23], -v[4:5]
	v_mul_f64_e32 v[26:27], v[2:3], v[22:23]
	;; [unrolled: 2-line block ×4, first 2 shown]
                                        ; implicit-def: $vgpr18_vgpr19
	v_fmac_f64_e32 v[6:7], v[2:3], v[0:1]
	v_fmac_f64_e32 v[8:9], v[4:5], v[0:1]
	v_fmac_f64_e32 v[24:25], v[2:3], v[12:13]
	v_fmac_f64_e32 v[26:27], v[4:5], v[12:13]
	v_fmac_f64_e32 v[28:29], v[2:3], v[14:15]
	v_fmac_f64_e32 v[30:31], v[4:5], v[14:15]
	v_fmac_f64_e32 v[20:21], v[2:3], v[16:17]
	v_fmac_f64_e32 v[22:23], v[4:5], v[16:17]
	v_lshlrev_b32_e32 v0, 2, v10
                                        ; implicit-def: $vgpr10
                                        ; implicit-def: $vgpr12_vgpr13
                                        ; implicit-def: $vgpr14_vgpr15
                                        ; implicit-def: $vgpr16_vgpr17
                                        ; implicit-def: $vgpr4_vgpr5
	s_wait_kmcnt 0x0
	s_clause 0x3
	global_store_b128 v0, v[6:9], s[0:1] scale_offset
	global_store_b128 v0, v[24:27], s[0:1] offset:16 scale_offset
	global_store_b128 v0, v[28:31], s[0:1] offset:32 scale_offset
	;; [unrolled: 1-line block ×3, first 2 shown]
                                        ; implicit-def: $vgpr0_vgpr1
                                        ; implicit-def: $vgpr24_vgpr25
                                        ; implicit-def: $vgpr22_vgpr23
                                        ; implicit-def: $vgpr20_vgpr21
                                        ; implicit-def: $vgpr8_vgpr9
.LBB129_19:
	s_wait_xcnt 0x0
	s_and_not1_saveexec_b32 s2, s2
	s_cbranch_execz .LBB129_21
; %bb.20:
	v_dual_mul_f64 v[42:43], v[24:25], -v[4:5] :: v_dual_lshlrev_b32 v52, 2, v10
	v_mul_f64_e32 v[24:25], v[2:3], v[24:25]
	v_mul_f64_e64 v[46:47], v[22:23], -v[4:5]
	v_mul_f64_e32 v[44:45], v[2:3], v[22:23]
	s_wait_kmcnt 0x0
	s_clause 0x3
	global_load_b128 v[26:29], v52, s[0:1] scale_offset
	global_load_b128 v[30:33], v52, s[0:1] offset:16 scale_offset
	global_load_b128 v[34:37], v52, s[0:1] offset:32 scale_offset
	;; [unrolled: 1-line block ×3, first 2 shown]
	v_mul_f64_e64 v[48:49], v[20:21], -v[4:5]
	v_mul_f64_e32 v[20:21], v[2:3], v[20:21]
	v_mul_f64_e64 v[50:51], v[18:19], -v[4:5]
	v_mul_f64_e32 v[10:11], v[2:3], v[18:19]
	v_fmac_f64_e32 v[42:43], v[2:3], v[0:1]
	v_fmac_f64_e32 v[24:25], v[4:5], v[0:1]
	;; [unrolled: 1-line block ×8, first 2 shown]
	s_wait_loadcnt 0x3
	v_fmac_f64_e32 v[42:43], v[6:7], v[26:27]
	v_fmac_f64_e32 v[24:25], v[8:9], v[26:27]
	s_wait_loadcnt 0x2
	v_fmac_f64_e32 v[46:47], v[6:7], v[30:31]
	v_fmac_f64_e32 v[44:45], v[8:9], v[30:31]
	;; [unrolled: 3-line block ×4, first 2 shown]
	v_fma_f64 v[22:23], -v[8:9], v[28:29], v[42:43]
	v_fmac_f64_e32 v[24:25], v[6:7], v[28:29]
	v_fma_f64 v[42:43], -v[8:9], v[32:33], v[46:47]
	v_fmac_f64_e32 v[44:45], v[6:7], v[32:33]
	;; [unrolled: 2-line block ×4, first 2 shown]
	s_clause 0x3
	global_store_b128 v52, v[22:25], s[0:1] scale_offset
	global_store_b128 v52, v[42:45], s[0:1] offset:16 scale_offset
	global_store_b128 v52, v[18:21], s[0:1] offset:32 scale_offset
	;; [unrolled: 1-line block ×3, first 2 shown]
.LBB129_21:
	s_sendmsg sendmsg(MSG_DEALLOC_VGPRS)
	s_endpgm
	.section	.rodata,"a",@progbits
	.p2align	6, 0x0
	.amdhsa_kernel _ZN9rocsparseL19gebsrmvn_4xn_kernelILj128ELj5ELj32E21rocsparse_complex_numIdEEEvi20rocsparse_direction_NS_24const_host_device_scalarIT2_EEPKiS8_PKS5_SA_S6_PS5_21rocsparse_index_base_b
		.amdhsa_group_segment_fixed_size 0
		.amdhsa_private_segment_fixed_size 0
		.amdhsa_kernarg_size 88
		.amdhsa_user_sgpr_count 2
		.amdhsa_user_sgpr_dispatch_ptr 0
		.amdhsa_user_sgpr_queue_ptr 0
		.amdhsa_user_sgpr_kernarg_segment_ptr 1
		.amdhsa_user_sgpr_dispatch_id 0
		.amdhsa_user_sgpr_kernarg_preload_length 0
		.amdhsa_user_sgpr_kernarg_preload_offset 0
		.amdhsa_user_sgpr_private_segment_size 0
		.amdhsa_wavefront_size32 1
		.amdhsa_uses_dynamic_stack 0
		.amdhsa_enable_private_segment 0
		.amdhsa_system_sgpr_workgroup_id_x 1
		.amdhsa_system_sgpr_workgroup_id_y 0
		.amdhsa_system_sgpr_workgroup_id_z 0
		.amdhsa_system_sgpr_workgroup_info 0
		.amdhsa_system_vgpr_workitem_id 0
		.amdhsa_next_free_vgpr 121
		.amdhsa_next_free_sgpr 14
		.amdhsa_named_barrier_count 0
		.amdhsa_reserve_vcc 1
		.amdhsa_float_round_mode_32 0
		.amdhsa_float_round_mode_16_64 0
		.amdhsa_float_denorm_mode_32 3
		.amdhsa_float_denorm_mode_16_64 3
		.amdhsa_fp16_overflow 0
		.amdhsa_memory_ordered 1
		.amdhsa_forward_progress 1
		.amdhsa_inst_pref_size 31
		.amdhsa_round_robin_scheduling 0
		.amdhsa_exception_fp_ieee_invalid_op 0
		.amdhsa_exception_fp_denorm_src 0
		.amdhsa_exception_fp_ieee_div_zero 0
		.amdhsa_exception_fp_ieee_overflow 0
		.amdhsa_exception_fp_ieee_underflow 0
		.amdhsa_exception_fp_ieee_inexact 0
		.amdhsa_exception_int_div_zero 0
	.end_amdhsa_kernel
	.section	.text._ZN9rocsparseL19gebsrmvn_4xn_kernelILj128ELj5ELj32E21rocsparse_complex_numIdEEEvi20rocsparse_direction_NS_24const_host_device_scalarIT2_EEPKiS8_PKS5_SA_S6_PS5_21rocsparse_index_base_b,"axG",@progbits,_ZN9rocsparseL19gebsrmvn_4xn_kernelILj128ELj5ELj32E21rocsparse_complex_numIdEEEvi20rocsparse_direction_NS_24const_host_device_scalarIT2_EEPKiS8_PKS5_SA_S6_PS5_21rocsparse_index_base_b,comdat
.Lfunc_end129:
	.size	_ZN9rocsparseL19gebsrmvn_4xn_kernelILj128ELj5ELj32E21rocsparse_complex_numIdEEEvi20rocsparse_direction_NS_24const_host_device_scalarIT2_EEPKiS8_PKS5_SA_S6_PS5_21rocsparse_index_base_b, .Lfunc_end129-_ZN9rocsparseL19gebsrmvn_4xn_kernelILj128ELj5ELj32E21rocsparse_complex_numIdEEEvi20rocsparse_direction_NS_24const_host_device_scalarIT2_EEPKiS8_PKS5_SA_S6_PS5_21rocsparse_index_base_b
                                        ; -- End function
	.set _ZN9rocsparseL19gebsrmvn_4xn_kernelILj128ELj5ELj32E21rocsparse_complex_numIdEEEvi20rocsparse_direction_NS_24const_host_device_scalarIT2_EEPKiS8_PKS5_SA_S6_PS5_21rocsparse_index_base_b.num_vgpr, 121
	.set _ZN9rocsparseL19gebsrmvn_4xn_kernelILj128ELj5ELj32E21rocsparse_complex_numIdEEEvi20rocsparse_direction_NS_24const_host_device_scalarIT2_EEPKiS8_PKS5_SA_S6_PS5_21rocsparse_index_base_b.num_agpr, 0
	.set _ZN9rocsparseL19gebsrmvn_4xn_kernelILj128ELj5ELj32E21rocsparse_complex_numIdEEEvi20rocsparse_direction_NS_24const_host_device_scalarIT2_EEPKiS8_PKS5_SA_S6_PS5_21rocsparse_index_base_b.numbered_sgpr, 14
	.set _ZN9rocsparseL19gebsrmvn_4xn_kernelILj128ELj5ELj32E21rocsparse_complex_numIdEEEvi20rocsparse_direction_NS_24const_host_device_scalarIT2_EEPKiS8_PKS5_SA_S6_PS5_21rocsparse_index_base_b.num_named_barrier, 0
	.set _ZN9rocsparseL19gebsrmvn_4xn_kernelILj128ELj5ELj32E21rocsparse_complex_numIdEEEvi20rocsparse_direction_NS_24const_host_device_scalarIT2_EEPKiS8_PKS5_SA_S6_PS5_21rocsparse_index_base_b.private_seg_size, 0
	.set _ZN9rocsparseL19gebsrmvn_4xn_kernelILj128ELj5ELj32E21rocsparse_complex_numIdEEEvi20rocsparse_direction_NS_24const_host_device_scalarIT2_EEPKiS8_PKS5_SA_S6_PS5_21rocsparse_index_base_b.uses_vcc, 1
	.set _ZN9rocsparseL19gebsrmvn_4xn_kernelILj128ELj5ELj32E21rocsparse_complex_numIdEEEvi20rocsparse_direction_NS_24const_host_device_scalarIT2_EEPKiS8_PKS5_SA_S6_PS5_21rocsparse_index_base_b.uses_flat_scratch, 0
	.set _ZN9rocsparseL19gebsrmvn_4xn_kernelILj128ELj5ELj32E21rocsparse_complex_numIdEEEvi20rocsparse_direction_NS_24const_host_device_scalarIT2_EEPKiS8_PKS5_SA_S6_PS5_21rocsparse_index_base_b.has_dyn_sized_stack, 0
	.set _ZN9rocsparseL19gebsrmvn_4xn_kernelILj128ELj5ELj32E21rocsparse_complex_numIdEEEvi20rocsparse_direction_NS_24const_host_device_scalarIT2_EEPKiS8_PKS5_SA_S6_PS5_21rocsparse_index_base_b.has_recursion, 0
	.set _ZN9rocsparseL19gebsrmvn_4xn_kernelILj128ELj5ELj32E21rocsparse_complex_numIdEEEvi20rocsparse_direction_NS_24const_host_device_scalarIT2_EEPKiS8_PKS5_SA_S6_PS5_21rocsparse_index_base_b.has_indirect_call, 0
	.section	.AMDGPU.csdata,"",@progbits
; Kernel info:
; codeLenInByte = 3884
; TotalNumSgprs: 16
; NumVgprs: 121
; ScratchSize: 0
; MemoryBound: 0
; FloatMode: 240
; IeeeMode: 1
; LDSByteSize: 0 bytes/workgroup (compile time only)
; SGPRBlocks: 0
; VGPRBlocks: 7
; NumSGPRsForWavesPerEU: 16
; NumVGPRsForWavesPerEU: 121
; NamedBarCnt: 0
; Occupancy: 8
; WaveLimiterHint : 1
; COMPUTE_PGM_RSRC2:SCRATCH_EN: 0
; COMPUTE_PGM_RSRC2:USER_SGPR: 2
; COMPUTE_PGM_RSRC2:TRAP_HANDLER: 0
; COMPUTE_PGM_RSRC2:TGID_X_EN: 1
; COMPUTE_PGM_RSRC2:TGID_Y_EN: 0
; COMPUTE_PGM_RSRC2:TGID_Z_EN: 0
; COMPUTE_PGM_RSRC2:TIDIG_COMP_CNT: 0
	.section	.text._ZN9rocsparseL19gebsrmvn_4xn_kernelILj128ELj5ELj64E21rocsparse_complex_numIdEEEvi20rocsparse_direction_NS_24const_host_device_scalarIT2_EEPKiS8_PKS5_SA_S6_PS5_21rocsparse_index_base_b,"axG",@progbits,_ZN9rocsparseL19gebsrmvn_4xn_kernelILj128ELj5ELj64E21rocsparse_complex_numIdEEEvi20rocsparse_direction_NS_24const_host_device_scalarIT2_EEPKiS8_PKS5_SA_S6_PS5_21rocsparse_index_base_b,comdat
	.globl	_ZN9rocsparseL19gebsrmvn_4xn_kernelILj128ELj5ELj64E21rocsparse_complex_numIdEEEvi20rocsparse_direction_NS_24const_host_device_scalarIT2_EEPKiS8_PKS5_SA_S6_PS5_21rocsparse_index_base_b ; -- Begin function _ZN9rocsparseL19gebsrmvn_4xn_kernelILj128ELj5ELj64E21rocsparse_complex_numIdEEEvi20rocsparse_direction_NS_24const_host_device_scalarIT2_EEPKiS8_PKS5_SA_S6_PS5_21rocsparse_index_base_b
	.p2align	8
	.type	_ZN9rocsparseL19gebsrmvn_4xn_kernelILj128ELj5ELj64E21rocsparse_complex_numIdEEEvi20rocsparse_direction_NS_24const_host_device_scalarIT2_EEPKiS8_PKS5_SA_S6_PS5_21rocsparse_index_base_b,@function
_ZN9rocsparseL19gebsrmvn_4xn_kernelILj128ELj5ELj64E21rocsparse_complex_numIdEEEvi20rocsparse_direction_NS_24const_host_device_scalarIT2_EEPKiS8_PKS5_SA_S6_PS5_21rocsparse_index_base_b: ; @_ZN9rocsparseL19gebsrmvn_4xn_kernelILj128ELj5ELj64E21rocsparse_complex_numIdEEEvi20rocsparse_direction_NS_24const_host_device_scalarIT2_EEPKiS8_PKS5_SA_S6_PS5_21rocsparse_index_base_b
; %bb.0:
	s_clause 0x1
	s_load_b64 s[12:13], s[0:1], 0x50
	s_load_b64 s[2:3], s[0:1], 0x8
	v_mov_b32_e32 v1, 0
	s_add_nc_u64 s[4:5], s[0:1], 8
	s_load_b64 s[6:7], s[0:1], 0x38
	s_wait_kmcnt 0x0
	s_bitcmp1_b32 s13, 0
	s_cselect_b32 s3, s5, s3
	s_cselect_b32 s2, s4, s2
	flat_load_b128 v[2:5], v1, s[2:3]
	s_wait_xcnt 0x0
	s_add_nc_u64 s[2:3], s[0:1], 56
	s_delay_alu instid0(SALU_CYCLE_1)
	s_cselect_b32 s3, s3, s7
	s_cselect_b32 s2, s2, s6
	flat_load_b128 v[6:9], v1, s[2:3]
	s_wait_loadcnt_dscnt 0x101
	v_cmp_eq_f64_e32 vcc_lo, 0, v[2:3]
	s_wait_xcnt 0x0
	v_cmp_eq_f64_e64 s2, 0, v[4:5]
	s_and_b32 s4, vcc_lo, s2
	s_mov_b32 s2, -1
	s_and_saveexec_b32 s3, s4
	s_cbranch_execz .LBB130_2
; %bb.1:
	s_wait_loadcnt_dscnt 0x0
	v_cmp_neq_f64_e32 vcc_lo, 1.0, v[6:7]
	v_cmp_neq_f64_e64 s2, 0, v[8:9]
	s_or_b32 s2, vcc_lo, s2
	s_delay_alu instid0(SALU_CYCLE_1)
	s_or_not1_b32 s2, s2, exec_lo
.LBB130_2:
	s_or_b32 exec_lo, exec_lo, s3
	s_and_saveexec_b32 s3, s2
	s_cbranch_execz .LBB130_21
; %bb.3:
	s_load_b64 s[2:3], s[0:1], 0x0
	s_bfe_u32 s4, ttmp6, 0x4000c
	s_and_b32 s5, ttmp6, 15
	s_add_co_i32 s4, s4, 1
	s_getreg_b32 s6, hwreg(HW_REG_IB_STS2, 6, 4)
	s_mul_i32 s4, ttmp9, s4
	v_lshrrev_b32_e32 v1, 6, v0
	s_add_co_i32 s5, s5, s4
	s_cmp_eq_u32 s6, 0
	s_cselect_b32 s4, ttmp9, s5
	s_delay_alu instid0(VALU_DEP_1) | instid1(SALU_CYCLE_1)
	v_lshl_or_b32 v10, s4, 1, v1
	s_wait_kmcnt 0x0
	s_delay_alu instid0(VALU_DEP_1)
	v_cmp_gt_i32_e32 vcc_lo, s2, v10
	s_and_b32 exec_lo, exec_lo, vcc_lo
	s_cbranch_execz .LBB130_21
; %bb.4:
	s_load_b256 s[4:11], s[0:1], 0x18
	v_ashrrev_i32_e32 v11, 31, v10
	s_cmp_lg_u32 s3, 0
	s_wait_kmcnt 0x0
	s_delay_alu instid0(VALU_DEP_1)
	v_lshl_add_u64 v[12:13], v[10:11], 2, s[4:5]
	v_and_b32_e32 v11, 63, v0
	global_load_b64 v[12:13], v[12:13], off
	s_wait_loadcnt 0x0
	v_subrev_nc_u32_e32 v0, s12, v12
	v_subrev_nc_u32_e32 v26, s12, v13
	s_delay_alu instid0(VALU_DEP_2) | instskip(NEXT) | instid1(VALU_DEP_1)
	v_add_nc_u32_e32 v27, v0, v11
	v_cmp_lt_i32_e64 s2, v27, v26
	s_cbranch_scc0 .LBB130_10
; %bb.5:
	v_mov_b64_e32 v[0:1], 0
	v_mov_b64_e32 v[24:25], 0
	;; [unrolled: 1-line block ×8, first 2 shown]
	s_and_saveexec_b32 s3, s2
	s_cbranch_execz .LBB130_9
; %bb.6:
	v_mad_u32 v28, v27, 20, 16
	v_mov_b64_e32 v[0:1], 0
	v_mov_b64_e32 v[24:25], 0
	;; [unrolled: 1-line block ×8, first 2 shown]
	v_mov_b32_e32 v29, v27
	s_mov_b32 s4, 0
.LBB130_7:                              ; =>This Inner Loop Header: Depth=1
	global_load_b32 v46, v29, s[6:7] scale_offset
	v_dual_add_nc_u32 v47, -16, v28 :: v_dual_add_nc_u32 v66, -12, v28
	v_dual_add_nc_u32 v86, -8, v28 :: v_dual_add_nc_u32 v118, -4, v28
	s_clause 0x3
	global_load_b128 v[30:33], v47, s[8:9] offset:48 scale_offset
	global_load_b128 v[34:37], v47, s[8:9] offset:32 scale_offset
	global_load_b128 v[38:41], v47, s[8:9] offset:16 scale_offset
	global_load_b128 v[42:45], v47, s[8:9] scale_offset
	s_wait_xcnt 0x4
	v_add_nc_u32_e32 v29, 64, v29
	s_delay_alu instid0(VALU_DEP_1) | instskip(SKIP_3) | instid1(VALU_DEP_1)
	v_cmp_ge_i32_e32 vcc_lo, v29, v26
	s_or_b32 s4, vcc_lo, s4
	s_wait_loadcnt 0x4
	v_subrev_nc_u32_e32 v46, s12, v46
	v_lshl_add_u32 v120, v46, 2, v46
	global_load_b128 v[46:49], v120, s[10:11] scale_offset
	s_clause 0x3
	global_load_b128 v[50:53], v66, s[8:9] offset:48 scale_offset
	global_load_b128 v[54:57], v66, s[8:9] offset:32 scale_offset
	;; [unrolled: 1-line block ×3, first 2 shown]
	global_load_b128 v[62:65], v66, s[8:9] scale_offset
	s_wait_xcnt 0x0
	v_add_nc_u32_e32 v66, 1, v120
	global_load_b128 v[66:69], v66, s[10:11] scale_offset
	s_clause 0x3
	global_load_b128 v[70:73], v86, s[8:9] offset:48 scale_offset
	global_load_b128 v[74:77], v86, s[8:9] offset:32 scale_offset
	;; [unrolled: 1-line block ×3, first 2 shown]
	global_load_b128 v[82:85], v86, s[8:9] scale_offset
	s_wait_xcnt 0x0
	v_add_nc_u32_e32 v86, 2, v120
	global_load_b128 v[86:89], v86, s[10:11] scale_offset
	s_clause 0x6
	global_load_b128 v[90:93], v28, s[8:9] offset:48 scale_offset
	global_load_b128 v[94:97], v28, s[8:9] offset:32 scale_offset
	;; [unrolled: 1-line block ×6, first 2 shown]
	global_load_b128 v[114:117], v118, s[8:9] scale_offset
	s_wait_loadcnt 0x11
	v_fmac_f64_e32 v[24:25], v[42:43], v[46:47]
	v_fmac_f64_e32 v[0:1], v[44:45], v[46:47]
	;; [unrolled: 1-line block ×8, first 2 shown]
	s_wait_xcnt 0x0
	v_fma_f64 v[118:119], -v[44:45], v[48:49], v[24:25]
	v_add_nc_u32_e32 v24, 3, v120
	v_fmac_f64_e32 v[0:1], v[42:43], v[48:49]
	v_fmac_f64_e32 v[16:17], v[38:39], v[48:49]
	v_add_nc_u32_e32 v38, 4, v120
	v_fma_f64 v[40:41], -v[40:41], v[48:49], v[22:23]
	global_load_b128 v[42:45], v24, s[10:11] scale_offset
	v_fma_f64 v[20:21], -v[36:37], v[48:49], v[20:21]
	v_fmac_f64_e32 v[14:15], v[34:35], v[48:49]
	global_load_b128 v[34:37], v38, s[10:11] scale_offset
	global_load_b128 v[22:25], v28, s[8:9] scale_offset
	v_fma_f64 v[18:19], -v[32:33], v[48:49], v[18:19]
	v_fmac_f64_e32 v[12:13], v[30:31], v[48:49]
	s_wait_xcnt 0x0
	v_add_nc_u32_e32 v28, 0x500, v28
	s_wait_loadcnt 0xf
	v_fmac_f64_e32 v[118:119], v[62:63], v[66:67]
	v_fmac_f64_e32 v[0:1], v[64:65], v[66:67]
	;; [unrolled: 1-line block ×8, first 2 shown]
	v_fma_f64 v[30:31], -v[64:65], v[68:69], v[118:119]
	v_fmac_f64_e32 v[0:1], v[62:63], v[68:69]
	v_fmac_f64_e32 v[16:17], v[58:59], v[68:69]
	v_fma_f64 v[32:33], -v[60:61], v[68:69], v[40:41]
	v_fma_f64 v[20:21], -v[56:57], v[68:69], v[20:21]
	v_fmac_f64_e32 v[14:15], v[54:55], v[68:69]
	v_fma_f64 v[18:19], -v[52:53], v[68:69], v[18:19]
	v_fmac_f64_e32 v[12:13], v[50:51], v[68:69]
	s_wait_loadcnt 0xa
	v_fmac_f64_e32 v[30:31], v[82:83], v[86:87]
	v_fmac_f64_e32 v[0:1], v[84:85], v[86:87]
	v_fmac_f64_e32 v[16:17], v[80:81], v[86:87]
	v_fmac_f64_e32 v[32:33], v[78:79], v[86:87]
	v_fmac_f64_e32 v[20:21], v[74:75], v[86:87]
	v_fmac_f64_e32 v[14:15], v[76:77], v[86:87]
	v_fmac_f64_e32 v[18:19], v[70:71], v[86:87]
	v_fmac_f64_e32 v[12:13], v[72:73], v[86:87]
	v_fma_f64 v[30:31], -v[84:85], v[88:89], v[30:31]
	v_fmac_f64_e32 v[0:1], v[82:83], v[88:89]
	v_fmac_f64_e32 v[16:17], v[78:79], v[88:89]
	v_fma_f64 v[32:33], -v[80:81], v[88:89], v[32:33]
	v_fma_f64 v[20:21], -v[76:77], v[88:89], v[20:21]
	v_fmac_f64_e32 v[14:15], v[74:75], v[88:89]
	v_fma_f64 v[18:19], -v[72:73], v[88:89], v[18:19]
	v_fmac_f64_e32 v[12:13], v[70:71], v[88:89]
	s_wait_loadcnt 0x2
	v_fmac_f64_e32 v[30:31], v[114:115], v[42:43]
	v_fmac_f64_e32 v[0:1], v[116:117], v[42:43]
	;; [unrolled: 1-line block ×8, first 2 shown]
	v_fma_f64 v[30:31], -v[116:117], v[44:45], v[30:31]
	v_fmac_f64_e32 v[0:1], v[114:115], v[44:45]
	v_fma_f64 v[32:33], -v[112:113], v[44:45], v[32:33]
	v_fmac_f64_e32 v[16:17], v[110:111], v[44:45]
	;; [unrolled: 2-line block ×4, first 2 shown]
	s_wait_loadcnt 0x0
	v_fmac_f64_e32 v[30:31], v[22:23], v[34:35]
	v_fmac_f64_e32 v[0:1], v[24:25], v[34:35]
	;; [unrolled: 1-line block ×8, first 2 shown]
	v_fma_f64 v[24:25], -v[24:25], v[36:37], v[30:31]
	v_fmac_f64_e32 v[0:1], v[22:23], v[36:37]
	v_fma_f64 v[22:23], -v[100:101], v[36:37], v[32:33]
	v_fmac_f64_e32 v[16:17], v[98:99], v[36:37]
	;; [unrolled: 2-line block ×4, first 2 shown]
	s_and_not1_b32 exec_lo, exec_lo, s4
	s_cbranch_execnz .LBB130_7
; %bb.8:
	s_or_b32 exec_lo, exec_lo, s4
.LBB130_9:
	s_delay_alu instid0(SALU_CYCLE_1)
	s_or_b32 exec_lo, exec_lo, s3
	s_cbranch_execz .LBB130_11
	s_branch .LBB130_16
.LBB130_10:
                                        ; implicit-def: $vgpr0_vgpr1
                                        ; implicit-def: $vgpr24_vgpr25
                                        ; implicit-def: $vgpr18_vgpr19
                                        ; implicit-def: $vgpr12_vgpr13
                                        ; implicit-def: $vgpr20_vgpr21
                                        ; implicit-def: $vgpr14_vgpr15
                                        ; implicit-def: $vgpr22_vgpr23
                                        ; implicit-def: $vgpr16_vgpr17
.LBB130_11:
	v_mov_b64_e32 v[0:1], 0
	v_mov_b64_e32 v[24:25], 0
	;; [unrolled: 1-line block ×8, first 2 shown]
	s_and_saveexec_b32 s3, s2
	s_cbranch_execz .LBB130_15
; %bb.12:
	v_mad_u32 v28, v27, 20, 19
	v_mov_b64_e32 v[0:1], 0
	v_mov_b64_e32 v[24:25], 0
	;; [unrolled: 1-line block ×8, first 2 shown]
	s_mov_b32 s2, 0
.LBB130_13:                             ; =>This Inner Loop Header: Depth=1
	global_load_b32 v29, v27, s[6:7] scale_offset
	v_dual_add_nc_u32 v91, -14, v28 :: v_dual_add_nc_u32 v92, -9, v28
	v_dual_add_nc_u32 v93, -4, v28 :: v_dual_add_nc_u32 v94, -13, v28
	v_subrev_nc_u32_e32 v90, 19, v28
	v_dual_add_nc_u32 v95, -8, v28 :: v_dual_add_nc_u32 v96, -3, v28
	v_dual_add_nc_u32 v97, -12, v28 :: v_dual_add_nc_u32 v98, -7, v28
	;; [unrolled: 1-line block ×4, first 2 shown]
	s_clause 0xf
	global_load_b128 v[30:33], v28, s[8:9] scale_offset
	global_load_b128 v[34:37], v91, s[8:9] scale_offset
	;; [unrolled: 1-line block ×5, first 2 shown]
	global_load_b128 v[50:53], v90, s[8:9] offset:16 scale_offset
	global_load_b128 v[54:57], v94, s[8:9] scale_offset
	global_load_b128 v[58:61], v95, s[8:9] scale_offset
	;; [unrolled: 1-line block ×3, first 2 shown]
	global_load_b128 v[66:69], v90, s[8:9] offset:48 scale_offset
	global_load_b128 v[70:73], v90, s[8:9] offset:32 scale_offset
	global_load_b128 v[74:77], v97, s[8:9] scale_offset
	global_load_b128 v[78:81], v98, s[8:9] scale_offset
	;; [unrolled: 1-line block ×4, first 2 shown]
	; meta instruction
	; meta instruction
	;; [unrolled: 1-line block ×11, first 2 shown]
	global_load_b128 v[90:93], v101, s[8:9] scale_offset
	v_dual_add_nc_u32 v105, -15, v28 :: v_dual_add_nc_u32 v106, -10, v28
	v_add_nc_u32_e32 v27, 64, v27
	s_delay_alu instid0(VALU_DEP_1) | instskip(SKIP_3) | instid1(VALU_DEP_1)
	v_cmp_ge_i32_e32 vcc_lo, v27, v26
	s_or_b32 s2, vcc_lo, s2
	s_wait_loadcnt 0x10
	v_subrev_nc_u32_e32 v29, s12, v29
	v_lshl_add_u32 v29, v29, 2, v29
	v_add_nc_u32_e32 v107, -5, v28
	v_add_nc_u32_e32 v28, 0x500, v28
	global_load_b128 v[94:97], v29, s[10:11] scale_offset
	s_wait_loadcnt 0x0
	v_fmac_f64_e32 v[24:25], v[46:47], v[94:95]
	v_fmac_f64_e32 v[0:1], v[48:49], v[94:95]
	v_fmac_f64_e32 v[22:23], v[34:35], v[94:95]
	v_fmac_f64_e32 v[14:15], v[40:41], v[94:95]
	v_fmac_f64_e32 v[20:21], v[38:39], v[94:95]
	v_fmac_f64_e32 v[16:17], v[36:37], v[94:95]
	v_fmac_f64_e32 v[18:19], v[42:43], v[94:95]
	v_fmac_f64_e32 v[12:13], v[44:45], v[94:95]
	v_fma_f64 v[98:99], -v[48:49], v[96:97], v[24:25]
	v_add_nc_u32_e32 v24, 1, v29
	v_fmac_f64_e32 v[0:1], v[46:47], v[96:97]
	v_fma_f64 v[100:101], -v[36:37], v[96:97], v[22:23]
	v_add_nc_u32_e32 v22, 2, v29
	v_fmac_f64_e32 v[14:15], v[38:39], v[96:97]
	global_load_b128 v[46:49], v24, s[10:11] scale_offset
	v_add_nc_u32_e32 v38, 3, v29
	v_fmac_f64_e32 v[16:17], v[34:35], v[96:97]
	global_load_b128 v[22:25], v22, s[10:11] scale_offset
	v_fma_f64 v[102:103], -v[40:41], v[96:97], v[20:21]
	global_load_b128 v[34:37], v104, s[8:9] scale_offset
	global_load_b128 v[38:41], v38, s[10:11] scale_offset
	v_add_nc_u32_e32 v29, 4, v29
	v_fma_f64 v[94:95], -v[44:45], v[96:97], v[18:19]
	v_fmac_f64_e32 v[12:13], v[42:43], v[96:97]
	global_load_b128 v[18:21], v105, s[8:9] scale_offset
	s_wait_loadcnt 0x4
	v_fmac_f64_e32 v[98:99], v[50:51], v[46:47]
	v_fmac_f64_e32 v[0:1], v[52:53], v[46:47]
	;; [unrolled: 1-line block ×8, first 2 shown]
	v_fma_f64 v[96:97], -v[52:53], v[48:49], v[98:99]
	v_fmac_f64_e32 v[0:1], v[50:51], v[48:49]
	s_clause 0x1
	global_load_b128 v[42:45], v106, s[8:9] scale_offset
	global_load_b128 v[50:53], v107, s[8:9] scale_offset
	v_fma_f64 v[98:99], -v[56:57], v[48:49], v[100:101]
	v_fmac_f64_e32 v[16:17], v[54:55], v[48:49]
	global_load_b128 v[54:57], v29, s[10:11] scale_offset
	v_fma_f64 v[46:47], -v[60:61], v[48:49], v[102:103]
	v_fmac_f64_e32 v[14:15], v[58:59], v[48:49]
	v_fma_f64 v[58:59], -v[64:65], v[48:49], v[94:95]
	v_fmac_f64_e32 v[12:13], v[62:63], v[48:49]
	s_wait_loadcnt 0x6
	v_fmac_f64_e32 v[96:97], v[70:71], v[22:23]
	v_fmac_f64_e32 v[0:1], v[72:73], v[22:23]
	v_fmac_f64_e32 v[98:99], v[74:75], v[22:23]
	v_fmac_f64_e32 v[16:17], v[76:77], v[22:23]
	v_fmac_f64_e32 v[46:47], v[78:79], v[22:23]
	v_fmac_f64_e32 v[14:15], v[80:81], v[22:23]
	v_fmac_f64_e32 v[58:59], v[82:83], v[22:23]
	v_fmac_f64_e32 v[12:13], v[84:85], v[22:23]
	v_fma_f64 v[22:23], -v[72:73], v[24:25], v[96:97]
	v_fmac_f64_e32 v[0:1], v[70:71], v[24:25]
	v_fma_f64 v[48:49], -v[76:77], v[24:25], v[98:99]
	v_fmac_f64_e32 v[16:17], v[74:75], v[24:25]
	v_fma_f64 v[46:47], -v[80:81], v[24:25], v[46:47]
	v_fmac_f64_e32 v[14:15], v[78:79], v[24:25]
	v_fma_f64 v[58:59], -v[84:85], v[24:25], v[58:59]
	v_fmac_f64_e32 v[12:13], v[82:83], v[24:25]
	s_wait_loadcnt 0x4
	v_fmac_f64_e32 v[22:23], v[66:67], v[38:39]
	v_fmac_f64_e32 v[0:1], v[68:69], v[38:39]
	v_fmac_f64_e32 v[48:49], v[86:87], v[38:39]
	v_fmac_f64_e32 v[16:17], v[88:89], v[38:39]
	v_fmac_f64_e32 v[46:47], v[90:91], v[38:39]
	v_fmac_f64_e32 v[14:15], v[92:93], v[38:39]
	v_fmac_f64_e32 v[58:59], v[34:35], v[38:39]
	v_fmac_f64_e32 v[12:13], v[36:37], v[38:39]
	v_fma_f64 v[22:23], -v[68:69], v[40:41], v[22:23]
	v_fmac_f64_e32 v[0:1], v[66:67], v[40:41]
	v_fma_f64 v[38:39], -v[88:89], v[40:41], v[48:49]
	v_fmac_f64_e32 v[16:17], v[86:87], v[40:41]
	;; [unrolled: 17-line block ×3, first 2 shown]
	v_fma_f64 v[20:21], -v[52:53], v[56:57], v[46:47]
	v_fmac_f64_e32 v[14:15], v[50:51], v[56:57]
	v_fma_f64 v[18:19], -v[32:33], v[56:57], v[36:37]
	v_fmac_f64_e32 v[12:13], v[30:31], v[56:57]
	s_and_not1_b32 exec_lo, exec_lo, s2
	s_cbranch_execnz .LBB130_13
; %bb.14:
	s_or_b32 exec_lo, exec_lo, s2
.LBB130_15:
	s_delay_alu instid0(SALU_CYCLE_1)
	s_or_b32 exec_lo, exec_lo, s3
.LBB130_16:
	v_mbcnt_lo_u32_b32 v42, -1, 0
	s_delay_alu instid0(VALU_DEP_1) | instskip(NEXT) | instid1(VALU_DEP_1)
	v_or_b32_e32 v26, 32, v42
	v_cmp_gt_i32_e32 vcc_lo, 32, v26
	v_cndmask_b32_e32 v26, v42, v26, vcc_lo
	s_delay_alu instid0(VALU_DEP_1)
	v_lshlrev_b32_e32 v41, 2, v26
	ds_bpermute_b32 v36, v41, v14
	ds_bpermute_b32 v37, v41, v15
	s_wait_dscnt 0x0
	v_add_f64_e32 v[14:15], v[14:15], v[36:37]
	ds_bpermute_b32 v32, v41, v16
	ds_bpermute_b32 v33, v41, v17
	;; [unrolled: 1-line block ×14, first 2 shown]
	s_wait_dscnt 0xc
	v_add_f64_e32 v[16:17], v[16:17], v[32:33]
	s_wait_dscnt 0xa
	v_add_f64_e32 v[24:25], v[24:25], v[26:27]
	s_wait_dscnt 0x8
	v_dual_add_f64 v[0:1], v[0:1], v[28:29] :: v_dual_bitop2_b32 v26, 16, v42 bitop3:0x14
	s_wait_dscnt 0x6
	v_add_f64_e32 v[22:23], v[22:23], v[30:31]
	s_delay_alu instid0(VALU_DEP_2)
	v_cmp_gt_i32_e32 vcc_lo, 32, v26
	s_wait_dscnt 0x4
	v_add_f64_e32 v[20:21], v[20:21], v[34:35]
	s_wait_dscnt 0x2
	v_add_f64_e32 v[18:19], v[18:19], v[38:39]
	s_wait_dscnt 0x0
	v_dual_add_f64 v[12:13], v[12:13], v[40:41] :: v_dual_cndmask_b32 v26, v42, v26, vcc_lo
	s_delay_alu instid0(VALU_DEP_1)
	v_lshlrev_b32_e32 v41, 2, v26
	ds_bpermute_b32 v32, v41, v16
	ds_bpermute_b32 v33, v41, v17
	s_wait_dscnt 0x0
	v_add_f64_e32 v[16:17], v[16:17], v[32:33]
	ds_bpermute_b32 v28, v41, v0
	ds_bpermute_b32 v29, v41, v1
	;; [unrolled: 1-line block ×14, first 2 shown]
	s_wait_dscnt 0xc
	v_add_f64_e32 v[0:1], v[0:1], v[28:29]
	s_wait_dscnt 0xa
	v_add_f64_e32 v[24:25], v[24:25], v[26:27]
	s_wait_dscnt 0x8
	v_dual_add_f64 v[14:15], v[14:15], v[36:37] :: v_dual_bitop2_b32 v26, 8, v42 bitop3:0x14
	s_wait_dscnt 0x6
	v_add_f64_e32 v[22:23], v[22:23], v[30:31]
	s_delay_alu instid0(VALU_DEP_2)
	v_cmp_gt_i32_e32 vcc_lo, 32, v26
	s_wait_dscnt 0x4
	v_add_f64_e32 v[20:21], v[20:21], v[34:35]
	s_wait_dscnt 0x2
	v_add_f64_e32 v[18:19], v[18:19], v[38:39]
	s_wait_dscnt 0x0
	v_dual_add_f64 v[12:13], v[12:13], v[40:41] :: v_dual_cndmask_b32 v26, v42, v26, vcc_lo
	s_delay_alu instid0(VALU_DEP_1)
	v_lshlrev_b32_e32 v41, 2, v26
	ds_bpermute_b32 v28, v41, v0
	ds_bpermute_b32 v29, v41, v1
	s_wait_dscnt 0x0
	v_add_f64_e32 v[0:1], v[0:1], v[28:29]
	ds_bpermute_b32 v26, v41, v24
	ds_bpermute_b32 v27, v41, v25
	;; [unrolled: 1-line block ×14, first 2 shown]
	s_wait_dscnt 0xc
	v_add_f64_e32 v[24:25], v[24:25], v[26:27]
	s_wait_dscnt 0xa
	v_dual_add_f64 v[16:17], v[16:17], v[32:33] :: v_dual_bitop2_b32 v26, 4, v42 bitop3:0x14
	s_wait_dscnt 0x8
	v_add_f64_e32 v[22:23], v[22:23], v[30:31]
	s_delay_alu instid0(VALU_DEP_2)
	v_cmp_gt_i32_e32 vcc_lo, 32, v26
	s_wait_dscnt 0x6
	v_add_f64_e32 v[20:21], v[20:21], v[34:35]
	s_wait_dscnt 0x2
	v_add_f64_e32 v[18:19], v[18:19], v[38:39]
	s_wait_dscnt 0x0
	v_dual_add_f64 v[12:13], v[12:13], v[40:41] :: v_dual_cndmask_b32 v26, v42, v26, vcc_lo
	s_delay_alu instid0(VALU_DEP_1)
	v_dual_add_f64 v[14:15], v[14:15], v[36:37] :: v_dual_lshlrev_b32 v41, 2, v26
	ds_bpermute_b32 v28, v41, v0
	ds_bpermute_b32 v29, v41, v1
	;; [unrolled: 1-line block ×16, first 2 shown]
	s_wait_dscnt 0xc
	v_add_f64_e32 v[24:25], v[24:25], v[26:27]
	v_dual_add_f64 v[26:27], v[0:1], v[28:29] :: v_dual_bitop2_b32 v0, 2, v42 bitop3:0x14
	s_wait_dscnt 0xa
	v_add_f64_e32 v[16:17], v[16:17], v[32:33]
	s_wait_dscnt 0x8
	v_add_f64_e32 v[22:23], v[22:23], v[30:31]
	v_cmp_gt_i32_e32 vcc_lo, 32, v0
	s_wait_dscnt 0x6
	v_add_f64_e32 v[20:21], v[20:21], v[34:35]
	s_wait_dscnt 0x4
	v_add_f64_e32 v[18:19], v[18:19], v[38:39]
	v_cndmask_b32_e32 v0, v42, v0, vcc_lo
	s_wait_dscnt 0x1
	v_add_f64_e32 v[28:29], v[14:15], v[36:37]
	s_wait_dscnt 0x0
	v_add_f64_e32 v[30:31], v[12:13], v[40:41]
	v_lshlrev_b32_e32 v41, 2, v0
	ds_bpermute_b32 v0, v41, v24
	ds_bpermute_b32 v1, v41, v25
	;; [unrolled: 1-line block ×12, first 2 shown]
	s_wait_dscnt 0xa
	v_add_f64_e32 v[0:1], v[24:25], v[0:1]
	s_wait_dscnt 0x8
	v_dual_add_f64 v[24:25], v[26:27], v[12:13] :: v_dual_bitop2_b32 v26, 1, v42 bitop3:0x14
	ds_bpermute_b32 v32, v41, v16
	ds_bpermute_b32 v33, v41, v17
	s_wait_dscnt 0x8
	v_add_f64_e32 v[12:13], v[22:23], v[14:15]
	v_cmp_gt_i32_e32 vcc_lo, 32, v26
	s_wait_dscnt 0x6
	v_add_f64_e32 v[14:15], v[20:21], v[34:35]
	v_cndmask_b32_e32 v26, v42, v26, vcc_lo
	ds_bpermute_b32 v40, v41, v30
	ds_bpermute_b32 v41, v41, v31
	s_wait_dscnt 0x4
	v_add_f64_e32 v[20:21], v[28:29], v[36:37]
	v_cmp_eq_u32_e32 vcc_lo, 63, v11
	s_wait_dscnt 0x2
	v_dual_add_f64 v[22:23], v[16:17], v[32:33] :: v_dual_lshlrev_b32 v29, 2, v26
	v_add_f64_e32 v[16:17], v[18:19], v[38:39]
	ds_bpermute_b32 v38, v29, v24
	s_wait_dscnt 0x1
	v_add_f64_e32 v[18:19], v[30:31], v[40:41]
	ds_bpermute_b32 v40, v29, v0
	ds_bpermute_b32 v41, v29, v1
	;; [unrolled: 1-line block ×15, first 2 shown]
	s_and_b32 exec_lo, exec_lo, vcc_lo
	s_cbranch_execz .LBB130_21
; %bb.17:
	v_cmp_eq_f64_e32 vcc_lo, 0, v[6:7]
	v_cmp_eq_f64_e64 s2, 0, v[8:9]
	s_wait_dscnt 0xd
	v_add_f64_e32 v[0:1], v[0:1], v[40:41]
	s_wait_dscnt 0xc
	v_add_f64_e32 v[24:25], v[24:25], v[38:39]
	;; [unrolled: 2-line block ×4, first 2 shown]
	v_add_f64_e32 v[14:15], v[14:15], v[32:33]
	v_add_f64_e32 v[20:21], v[20:21], v[30:31]
	s_wait_dscnt 0x2
	v_add_f64_e32 v[16:17], v[16:17], v[26:27]
	s_wait_dscnt 0x0
	v_add_f64_e32 v[18:19], v[18:19], v[28:29]
	s_load_b64 s[0:1], s[0:1], 0x48
	s_and_b32 s2, vcc_lo, s2
	s_delay_alu instid0(SALU_CYCLE_1) | instskip(NEXT) | instid1(SALU_CYCLE_1)
	s_and_saveexec_b32 s3, s2
	s_xor_b32 s2, exec_lo, s3
	s_cbranch_execz .LBB130_19
; %bb.18:
	v_mul_f64_e64 v[6:7], v[24:25], -v[4:5]
	v_mul_f64_e32 v[8:9], v[2:3], v[24:25]
	v_mul_f64_e64 v[24:25], v[22:23], -v[4:5]
	v_mul_f64_e32 v[26:27], v[2:3], v[22:23]
	;; [unrolled: 2-line block ×4, first 2 shown]
                                        ; implicit-def: $vgpr18_vgpr19
	v_fmac_f64_e32 v[6:7], v[2:3], v[0:1]
	v_fmac_f64_e32 v[8:9], v[4:5], v[0:1]
	;; [unrolled: 1-line block ×8, first 2 shown]
	v_lshlrev_b32_e32 v0, 2, v10
                                        ; implicit-def: $vgpr10
                                        ; implicit-def: $vgpr12_vgpr13
                                        ; implicit-def: $vgpr14_vgpr15
                                        ; implicit-def: $vgpr16_vgpr17
                                        ; implicit-def: $vgpr4_vgpr5
	s_wait_kmcnt 0x0
	s_clause 0x3
	global_store_b128 v0, v[6:9], s[0:1] scale_offset
	global_store_b128 v0, v[24:27], s[0:1] offset:16 scale_offset
	global_store_b128 v0, v[28:31], s[0:1] offset:32 scale_offset
	;; [unrolled: 1-line block ×3, first 2 shown]
                                        ; implicit-def: $vgpr0_vgpr1
                                        ; implicit-def: $vgpr24_vgpr25
                                        ; implicit-def: $vgpr22_vgpr23
                                        ; implicit-def: $vgpr20_vgpr21
                                        ; implicit-def: $vgpr8_vgpr9
.LBB130_19:
	s_wait_xcnt 0x0
	s_and_not1_saveexec_b32 s2, s2
	s_cbranch_execz .LBB130_21
; %bb.20:
	v_dual_mul_f64 v[42:43], v[24:25], -v[4:5] :: v_dual_lshlrev_b32 v52, 2, v10
	v_mul_f64_e32 v[24:25], v[2:3], v[24:25]
	v_mul_f64_e64 v[46:47], v[22:23], -v[4:5]
	v_mul_f64_e32 v[44:45], v[2:3], v[22:23]
	s_wait_kmcnt 0x0
	s_clause 0x3
	global_load_b128 v[26:29], v52, s[0:1] scale_offset
	global_load_b128 v[30:33], v52, s[0:1] offset:16 scale_offset
	global_load_b128 v[34:37], v52, s[0:1] offset:32 scale_offset
	;; [unrolled: 1-line block ×3, first 2 shown]
	v_mul_f64_e64 v[48:49], v[20:21], -v[4:5]
	v_mul_f64_e32 v[20:21], v[2:3], v[20:21]
	v_mul_f64_e64 v[50:51], v[18:19], -v[4:5]
	v_mul_f64_e32 v[10:11], v[2:3], v[18:19]
	v_fmac_f64_e32 v[42:43], v[2:3], v[0:1]
	v_fmac_f64_e32 v[24:25], v[4:5], v[0:1]
	;; [unrolled: 1-line block ×8, first 2 shown]
	s_wait_loadcnt 0x3
	v_fmac_f64_e32 v[42:43], v[6:7], v[26:27]
	v_fmac_f64_e32 v[24:25], v[8:9], v[26:27]
	s_wait_loadcnt 0x2
	v_fmac_f64_e32 v[46:47], v[6:7], v[30:31]
	v_fmac_f64_e32 v[44:45], v[8:9], v[30:31]
	;; [unrolled: 3-line block ×4, first 2 shown]
	v_fma_f64 v[22:23], -v[8:9], v[28:29], v[42:43]
	v_fmac_f64_e32 v[24:25], v[6:7], v[28:29]
	v_fma_f64 v[42:43], -v[8:9], v[32:33], v[46:47]
	v_fmac_f64_e32 v[44:45], v[6:7], v[32:33]
	v_fma_f64 v[18:19], -v[8:9], v[36:37], v[48:49]
	v_fmac_f64_e32 v[20:21], v[6:7], v[36:37]
	v_fma_f64 v[8:9], -v[8:9], v[40:41], v[50:51]
	v_fmac_f64_e32 v[10:11], v[6:7], v[40:41]
	s_clause 0x3
	global_store_b128 v52, v[22:25], s[0:1] scale_offset
	global_store_b128 v52, v[42:45], s[0:1] offset:16 scale_offset
	global_store_b128 v52, v[18:21], s[0:1] offset:32 scale_offset
	;; [unrolled: 1-line block ×3, first 2 shown]
.LBB130_21:
	s_sendmsg sendmsg(MSG_DEALLOC_VGPRS)
	s_endpgm
	.section	.rodata,"a",@progbits
	.p2align	6, 0x0
	.amdhsa_kernel _ZN9rocsparseL19gebsrmvn_4xn_kernelILj128ELj5ELj64E21rocsparse_complex_numIdEEEvi20rocsparse_direction_NS_24const_host_device_scalarIT2_EEPKiS8_PKS5_SA_S6_PS5_21rocsparse_index_base_b
		.amdhsa_group_segment_fixed_size 0
		.amdhsa_private_segment_fixed_size 0
		.amdhsa_kernarg_size 88
		.amdhsa_user_sgpr_count 2
		.amdhsa_user_sgpr_dispatch_ptr 0
		.amdhsa_user_sgpr_queue_ptr 0
		.amdhsa_user_sgpr_kernarg_segment_ptr 1
		.amdhsa_user_sgpr_dispatch_id 0
		.amdhsa_user_sgpr_kernarg_preload_length 0
		.amdhsa_user_sgpr_kernarg_preload_offset 0
		.amdhsa_user_sgpr_private_segment_size 0
		.amdhsa_wavefront_size32 1
		.amdhsa_uses_dynamic_stack 0
		.amdhsa_enable_private_segment 0
		.amdhsa_system_sgpr_workgroup_id_x 1
		.amdhsa_system_sgpr_workgroup_id_y 0
		.amdhsa_system_sgpr_workgroup_id_z 0
		.amdhsa_system_sgpr_workgroup_info 0
		.amdhsa_system_vgpr_workitem_id 0
		.amdhsa_next_free_vgpr 121
		.amdhsa_next_free_sgpr 14
		.amdhsa_named_barrier_count 0
		.amdhsa_reserve_vcc 1
		.amdhsa_float_round_mode_32 0
		.amdhsa_float_round_mode_16_64 0
		.amdhsa_float_denorm_mode_32 3
		.amdhsa_float_denorm_mode_16_64 3
		.amdhsa_fp16_overflow 0
		.amdhsa_memory_ordered 1
		.amdhsa_forward_progress 1
		.amdhsa_inst_pref_size 32
		.amdhsa_round_robin_scheduling 0
		.amdhsa_exception_fp_ieee_invalid_op 0
		.amdhsa_exception_fp_denorm_src 0
		.amdhsa_exception_fp_ieee_div_zero 0
		.amdhsa_exception_fp_ieee_overflow 0
		.amdhsa_exception_fp_ieee_underflow 0
		.amdhsa_exception_fp_ieee_inexact 0
		.amdhsa_exception_int_div_zero 0
	.end_amdhsa_kernel
	.section	.text._ZN9rocsparseL19gebsrmvn_4xn_kernelILj128ELj5ELj64E21rocsparse_complex_numIdEEEvi20rocsparse_direction_NS_24const_host_device_scalarIT2_EEPKiS8_PKS5_SA_S6_PS5_21rocsparse_index_base_b,"axG",@progbits,_ZN9rocsparseL19gebsrmvn_4xn_kernelILj128ELj5ELj64E21rocsparse_complex_numIdEEEvi20rocsparse_direction_NS_24const_host_device_scalarIT2_EEPKiS8_PKS5_SA_S6_PS5_21rocsparse_index_base_b,comdat
.Lfunc_end130:
	.size	_ZN9rocsparseL19gebsrmvn_4xn_kernelILj128ELj5ELj64E21rocsparse_complex_numIdEEEvi20rocsparse_direction_NS_24const_host_device_scalarIT2_EEPKiS8_PKS5_SA_S6_PS5_21rocsparse_index_base_b, .Lfunc_end130-_ZN9rocsparseL19gebsrmvn_4xn_kernelILj128ELj5ELj64E21rocsparse_complex_numIdEEEvi20rocsparse_direction_NS_24const_host_device_scalarIT2_EEPKiS8_PKS5_SA_S6_PS5_21rocsparse_index_base_b
                                        ; -- End function
	.set _ZN9rocsparseL19gebsrmvn_4xn_kernelILj128ELj5ELj64E21rocsparse_complex_numIdEEEvi20rocsparse_direction_NS_24const_host_device_scalarIT2_EEPKiS8_PKS5_SA_S6_PS5_21rocsparse_index_base_b.num_vgpr, 121
	.set _ZN9rocsparseL19gebsrmvn_4xn_kernelILj128ELj5ELj64E21rocsparse_complex_numIdEEEvi20rocsparse_direction_NS_24const_host_device_scalarIT2_EEPKiS8_PKS5_SA_S6_PS5_21rocsparse_index_base_b.num_agpr, 0
	.set _ZN9rocsparseL19gebsrmvn_4xn_kernelILj128ELj5ELj64E21rocsparse_complex_numIdEEEvi20rocsparse_direction_NS_24const_host_device_scalarIT2_EEPKiS8_PKS5_SA_S6_PS5_21rocsparse_index_base_b.numbered_sgpr, 14
	.set _ZN9rocsparseL19gebsrmvn_4xn_kernelILj128ELj5ELj64E21rocsparse_complex_numIdEEEvi20rocsparse_direction_NS_24const_host_device_scalarIT2_EEPKiS8_PKS5_SA_S6_PS5_21rocsparse_index_base_b.num_named_barrier, 0
	.set _ZN9rocsparseL19gebsrmvn_4xn_kernelILj128ELj5ELj64E21rocsparse_complex_numIdEEEvi20rocsparse_direction_NS_24const_host_device_scalarIT2_EEPKiS8_PKS5_SA_S6_PS5_21rocsparse_index_base_b.private_seg_size, 0
	.set _ZN9rocsparseL19gebsrmvn_4xn_kernelILj128ELj5ELj64E21rocsparse_complex_numIdEEEvi20rocsparse_direction_NS_24const_host_device_scalarIT2_EEPKiS8_PKS5_SA_S6_PS5_21rocsparse_index_base_b.uses_vcc, 1
	.set _ZN9rocsparseL19gebsrmvn_4xn_kernelILj128ELj5ELj64E21rocsparse_complex_numIdEEEvi20rocsparse_direction_NS_24const_host_device_scalarIT2_EEPKiS8_PKS5_SA_S6_PS5_21rocsparse_index_base_b.uses_flat_scratch, 0
	.set _ZN9rocsparseL19gebsrmvn_4xn_kernelILj128ELj5ELj64E21rocsparse_complex_numIdEEEvi20rocsparse_direction_NS_24const_host_device_scalarIT2_EEPKiS8_PKS5_SA_S6_PS5_21rocsparse_index_base_b.has_dyn_sized_stack, 0
	.set _ZN9rocsparseL19gebsrmvn_4xn_kernelILj128ELj5ELj64E21rocsparse_complex_numIdEEEvi20rocsparse_direction_NS_24const_host_device_scalarIT2_EEPKiS8_PKS5_SA_S6_PS5_21rocsparse_index_base_b.has_recursion, 0
	.set _ZN9rocsparseL19gebsrmvn_4xn_kernelILj128ELj5ELj64E21rocsparse_complex_numIdEEEvi20rocsparse_direction_NS_24const_host_device_scalarIT2_EEPKiS8_PKS5_SA_S6_PS5_21rocsparse_index_base_b.has_indirect_call, 0
	.section	.AMDGPU.csdata,"",@progbits
; Kernel info:
; codeLenInByte = 4096
; TotalNumSgprs: 16
; NumVgprs: 121
; ScratchSize: 0
; MemoryBound: 0
; FloatMode: 240
; IeeeMode: 1
; LDSByteSize: 0 bytes/workgroup (compile time only)
; SGPRBlocks: 0
; VGPRBlocks: 7
; NumSGPRsForWavesPerEU: 16
; NumVGPRsForWavesPerEU: 121
; NamedBarCnt: 0
; Occupancy: 8
; WaveLimiterHint : 1
; COMPUTE_PGM_RSRC2:SCRATCH_EN: 0
; COMPUTE_PGM_RSRC2:USER_SGPR: 2
; COMPUTE_PGM_RSRC2:TRAP_HANDLER: 0
; COMPUTE_PGM_RSRC2:TGID_X_EN: 1
; COMPUTE_PGM_RSRC2:TGID_Y_EN: 0
; COMPUTE_PGM_RSRC2:TGID_Z_EN: 0
; COMPUTE_PGM_RSRC2:TIDIG_COMP_CNT: 0
	.section	.text._ZN9rocsparseL19gebsrmvn_4xn_kernelILj128ELj6ELj4E21rocsparse_complex_numIdEEEvi20rocsparse_direction_NS_24const_host_device_scalarIT2_EEPKiS8_PKS5_SA_S6_PS5_21rocsparse_index_base_b,"axG",@progbits,_ZN9rocsparseL19gebsrmvn_4xn_kernelILj128ELj6ELj4E21rocsparse_complex_numIdEEEvi20rocsparse_direction_NS_24const_host_device_scalarIT2_EEPKiS8_PKS5_SA_S6_PS5_21rocsparse_index_base_b,comdat
	.globl	_ZN9rocsparseL19gebsrmvn_4xn_kernelILj128ELj6ELj4E21rocsparse_complex_numIdEEEvi20rocsparse_direction_NS_24const_host_device_scalarIT2_EEPKiS8_PKS5_SA_S6_PS5_21rocsparse_index_base_b ; -- Begin function _ZN9rocsparseL19gebsrmvn_4xn_kernelILj128ELj6ELj4E21rocsparse_complex_numIdEEEvi20rocsparse_direction_NS_24const_host_device_scalarIT2_EEPKiS8_PKS5_SA_S6_PS5_21rocsparse_index_base_b
	.p2align	8
	.type	_ZN9rocsparseL19gebsrmvn_4xn_kernelILj128ELj6ELj4E21rocsparse_complex_numIdEEEvi20rocsparse_direction_NS_24const_host_device_scalarIT2_EEPKiS8_PKS5_SA_S6_PS5_21rocsparse_index_base_b,@function
_ZN9rocsparseL19gebsrmvn_4xn_kernelILj128ELj6ELj4E21rocsparse_complex_numIdEEEvi20rocsparse_direction_NS_24const_host_device_scalarIT2_EEPKiS8_PKS5_SA_S6_PS5_21rocsparse_index_base_b: ; @_ZN9rocsparseL19gebsrmvn_4xn_kernelILj128ELj6ELj4E21rocsparse_complex_numIdEEEvi20rocsparse_direction_NS_24const_host_device_scalarIT2_EEPKiS8_PKS5_SA_S6_PS5_21rocsparse_index_base_b
; %bb.0:
	s_clause 0x1
	s_load_b64 s[12:13], s[0:1], 0x50
	s_load_b64 s[2:3], s[0:1], 0x8
	v_mov_b32_e32 v1, 0
	s_add_nc_u64 s[4:5], s[0:1], 8
	s_load_b64 s[6:7], s[0:1], 0x38
	s_wait_kmcnt 0x0
	s_bitcmp1_b32 s13, 0
	s_cselect_b32 s3, s5, s3
	s_cselect_b32 s2, s4, s2
	flat_load_b128 v[2:5], v1, s[2:3]
	s_wait_xcnt 0x0
	s_add_nc_u64 s[2:3], s[0:1], 56
	s_delay_alu instid0(SALU_CYCLE_1)
	s_cselect_b32 s3, s3, s7
	s_cselect_b32 s2, s2, s6
	flat_load_b128 v[6:9], v1, s[2:3]
	s_wait_loadcnt_dscnt 0x101
	v_cmp_eq_f64_e32 vcc_lo, 0, v[2:3]
	s_wait_xcnt 0x0
	v_cmp_eq_f64_e64 s2, 0, v[4:5]
	s_and_b32 s4, vcc_lo, s2
	s_mov_b32 s2, -1
	s_and_saveexec_b32 s3, s4
	s_cbranch_execz .LBB131_2
; %bb.1:
	s_wait_loadcnt_dscnt 0x0
	v_cmp_neq_f64_e32 vcc_lo, 1.0, v[6:7]
	v_cmp_neq_f64_e64 s2, 0, v[8:9]
	s_or_b32 s2, vcc_lo, s2
	s_delay_alu instid0(SALU_CYCLE_1)
	s_or_not1_b32 s2, s2, exec_lo
.LBB131_2:
	s_or_b32 exec_lo, exec_lo, s3
	s_and_saveexec_b32 s3, s2
	s_cbranch_execz .LBB131_25
; %bb.3:
	s_load_b64 s[2:3], s[0:1], 0x0
	s_bfe_u32 s4, ttmp6, 0x4000c
	s_and_b32 s5, ttmp6, 15
	s_add_co_i32 s4, s4, 1
	s_getreg_b32 s6, hwreg(HW_REG_IB_STS2, 6, 4)
	s_mul_i32 s4, ttmp9, s4
	v_lshrrev_b32_e32 v1, 2, v0
	s_add_co_i32 s5, s5, s4
	s_cmp_eq_u32 s6, 0
	s_cselect_b32 s4, ttmp9, s5
	s_delay_alu instid0(VALU_DEP_1) | instid1(SALU_CYCLE_1)
	v_lshl_or_b32 v10, s4, 5, v1
	s_wait_kmcnt 0x0
	s_delay_alu instid0(VALU_DEP_1)
	v_cmp_gt_i32_e32 vcc_lo, s2, v10
	s_and_b32 exec_lo, exec_lo, vcc_lo
	s_cbranch_execz .LBB131_25
; %bb.4:
	s_load_b256 s[4:11], s[0:1], 0x18
	v_ashrrev_i32_e32 v11, 31, v10
	s_cmp_lg_u32 s3, 0
	s_wait_kmcnt 0x0
	s_delay_alu instid0(VALU_DEP_1)
	v_lshl_add_u64 v[12:13], v[10:11], 2, s[4:5]
	v_and_b32_e32 v11, 3, v0
	global_load_b64 v[12:13], v[12:13], off
	s_wait_loadcnt 0x0
	v_subrev_nc_u32_e32 v0, s12, v12
	v_subrev_nc_u32_e32 v30, s12, v13
	s_delay_alu instid0(VALU_DEP_2) | instskip(NEXT) | instid1(VALU_DEP_1)
	v_add_nc_u32_e32 v31, v0, v11
	v_cmp_lt_i32_e64 s2, v31, v30
	s_cbranch_scc0 .LBB131_12
; %bb.5:
	v_mov_b64_e32 v[0:1], 0
	v_mov_b64_e32 v[20:21], 0
	;; [unrolled: 1-line block ×8, first 2 shown]
	s_and_saveexec_b32 s3, s2
	s_cbranch_execz .LBB131_11
; %bb.6:
	v_mul_lo_u32 v26, v31, 24
	v_mov_b64_e32 v[0:1], 0
	v_mov_b64_e32 v[20:21], 0
	;; [unrolled: 1-line block ×8, first 2 shown]
	v_mov_b32_e32 v27, v31
	s_mov_b32 s4, 0
.LBB131_7:                              ; =>This Loop Header: Depth=1
                                        ;     Child Loop BB131_8 Depth 2
	global_load_b32 v28, v27, s[6:7] scale_offset
	v_mov_b32_e32 v29, v26
	s_mov_b32 s5, 0
	s_wait_loadcnt 0x0
	v_subrev_nc_u32_e32 v28, s12, v28
	s_delay_alu instid0(VALU_DEP_1)
	v_mul_lo_u32 v28, v28, 6
.LBB131_8:                              ;   Parent Loop BB131_7 Depth=1
                                        ; =>  This Inner Loop Header: Depth=2
	s_delay_alu instid0(VALU_DEP_1)
	v_dual_add_nc_u32 v56, s5, v28 :: v_dual_add_nc_u32 v72, 4, v29
	s_clause 0x3
	global_load_b128 v[32:35], v29, s[8:9] offset:48 scale_offset
	global_load_b128 v[36:39], v29, s[8:9] offset:32 scale_offset
	;; [unrolled: 1-line block ×3, first 2 shown]
	global_load_b128 v[44:47], v29, s[8:9] scale_offset
	s_clause 0x1
	global_load_b128 v[48:51], v56, s[10:11] scale_offset
	global_load_b128 v[52:55], v56, s[10:11] offset:16 scale_offset
	s_add_co_i32 s5, s5, 2
	s_clause 0x3
	global_load_b128 v[56:59], v72, s[8:9] scale_offset
	global_load_b128 v[60:63], v72, s[8:9] offset:16 scale_offset
	global_load_b128 v[64:67], v72, s[8:9] offset:32 scale_offset
	;; [unrolled: 1-line block ×3, first 2 shown]
	s_cmp_eq_u32 s5, 6
	v_add_nc_u32_e32 v29, 8, v29
	s_wait_loadcnt 0x5
	v_fmac_f64_e32 v[20:21], v[44:45], v[48:49]
	v_fmac_f64_e32 v[0:1], v[46:47], v[48:49]
	;; [unrolled: 1-line block ×8, first 2 shown]
	v_fma_f64 v[20:21], -v[46:47], v[50:51], v[20:21]
	v_fmac_f64_e32 v[0:1], v[44:45], v[50:51]
	v_fma_f64 v[24:25], -v[42:43], v[50:51], v[24:25]
	v_fmac_f64_e32 v[16:17], v[40:41], v[50:51]
	;; [unrolled: 2-line block ×4, first 2 shown]
	s_wait_loadcnt 0x3
	v_fmac_f64_e32 v[20:21], v[56:57], v[52:53]
	v_fmac_f64_e32 v[0:1], v[58:59], v[52:53]
	s_wait_loadcnt 0x2
	v_fmac_f64_e32 v[24:25], v[60:61], v[52:53]
	v_fmac_f64_e32 v[16:17], v[62:63], v[52:53]
	;; [unrolled: 3-line block ×4, first 2 shown]
	v_fma_f64 v[20:21], -v[58:59], v[54:55], v[20:21]
	v_fmac_f64_e32 v[0:1], v[56:57], v[54:55]
	v_fma_f64 v[24:25], -v[62:63], v[54:55], v[24:25]
	v_fmac_f64_e32 v[16:17], v[60:61], v[54:55]
	;; [unrolled: 2-line block ×4, first 2 shown]
	s_cbranch_scc0 .LBB131_8
; %bb.9:                                ;   in Loop: Header=BB131_7 Depth=1
	v_add_nc_u32_e32 v27, 4, v27
	v_add_nc_u32_e32 v26, 0x60, v26
	s_delay_alu instid0(VALU_DEP_2) | instskip(SKIP_1) | instid1(SALU_CYCLE_1)
	v_cmp_ge_i32_e32 vcc_lo, v27, v30
	s_or_b32 s4, vcc_lo, s4
	s_and_not1_b32 exec_lo, exec_lo, s4
	s_cbranch_execnz .LBB131_7
; %bb.10:
	s_or_b32 exec_lo, exec_lo, s4
.LBB131_11:
	s_delay_alu instid0(SALU_CYCLE_1)
	s_or_b32 exec_lo, exec_lo, s3
	s_cbranch_execz .LBB131_13
	s_branch .LBB131_20
.LBB131_12:
                                        ; implicit-def: $vgpr0_vgpr1
                                        ; implicit-def: $vgpr20_vgpr21
                                        ; implicit-def: $vgpr18_vgpr19
                                        ; implicit-def: $vgpr12_vgpr13
                                        ; implicit-def: $vgpr22_vgpr23
                                        ; implicit-def: $vgpr14_vgpr15
                                        ; implicit-def: $vgpr24_vgpr25
                                        ; implicit-def: $vgpr16_vgpr17
.LBB131_13:
	v_mov_b64_e32 v[0:1], 0
	v_mov_b64_e32 v[20:21], 0
	;; [unrolled: 1-line block ×8, first 2 shown]
	s_and_saveexec_b32 s4, s2
	s_cbranch_execz .LBB131_19
; %bb.14:
	v_mul_lo_u32 v26, v31, 24
	v_mov_b64_e32 v[0:1], 0
	v_mov_b64_e32 v[20:21], 0
	;; [unrolled: 1-line block ×8, first 2 shown]
	v_mov_b32_e32 v27, 0
	s_add_nc_u64 s[2:3], s[8:9], 16
	s_mov_b32 s5, 0
.LBB131_15:                             ; =>This Loop Header: Depth=1
                                        ;     Child Loop BB131_16 Depth 2
	global_load_b32 v28, v31, s[6:7] scale_offset
	s_mov_b32 s13, 0
	s_wait_loadcnt 0x0
	v_subrev_nc_u32_e32 v28, s12, v28
	s_delay_alu instid0(VALU_DEP_1)
	v_mul_lo_u32 v32, v28, 6
	v_lshl_add_u64 v[28:29], v[26:27], 4, s[2:3]
.LBB131_16:                             ;   Parent Loop BB131_15 Depth=1
                                        ; =>  This Inner Loop Header: Depth=2
	s_delay_alu instid0(VALU_DEP_2)
	v_dual_add_nc_u32 v33, s13, v26 :: v_dual_add_nc_u32 v74, s13, v32
	s_clause 0x1
	global_load_b128 v[34:37], v[28:29], off
	global_load_b128 v[38:41], v[28:29], off offset:-16
	s_wait_xcnt 0x0
	v_add_nc_u64_e32 v[28:29], 32, v[28:29]
	s_add_co_i32 s13, s13, 2
	v_dual_add_nc_u32 v75, 6, v33 :: v_dual_add_nc_u32 v76, 12, v33
	global_load_b128 v[42:45], v74, s[10:11] scale_offset
	v_add_nc_u32_e32 v33, 18, v33
	s_cmp_eq_u32 s13, 6
	s_clause 0x2
	global_load_b128 v[46:49], v75, s[8:9] scale_offset
	global_load_b128 v[50:53], v76, s[8:9] scale_offset
	;; [unrolled: 1-line block ×3, first 2 shown]
	global_load_b128 v[58:61], v74, s[10:11] offset:16 scale_offset
	s_clause 0x2
	global_load_b128 v[62:65], v75, s[8:9] offset:16 scale_offset
	global_load_b128 v[66:69], v76, s[8:9] offset:16 scale_offset
	;; [unrolled: 1-line block ×3, first 2 shown]
	s_wait_loadcnt 0x7
	v_fmac_f64_e32 v[20:21], v[38:39], v[42:43]
	v_fmac_f64_e32 v[0:1], v[40:41], v[42:43]
	s_wait_loadcnt 0x6
	v_fmac_f64_e32 v[24:25], v[46:47], v[42:43]
	v_fmac_f64_e32 v[16:17], v[48:49], v[42:43]
	;; [unrolled: 3-line block ×4, first 2 shown]
	v_fma_f64 v[20:21], -v[40:41], v[44:45], v[20:21]
	v_fmac_f64_e32 v[0:1], v[38:39], v[44:45]
	v_fma_f64 v[24:25], -v[48:49], v[44:45], v[24:25]
	v_fmac_f64_e32 v[16:17], v[46:47], v[44:45]
	;; [unrolled: 2-line block ×4, first 2 shown]
	s_wait_loadcnt 0x3
	v_fmac_f64_e32 v[20:21], v[34:35], v[58:59]
	v_fmac_f64_e32 v[0:1], v[36:37], v[58:59]
	s_wait_loadcnt 0x2
	v_fmac_f64_e32 v[24:25], v[62:63], v[58:59]
	v_fmac_f64_e32 v[16:17], v[64:65], v[58:59]
	;; [unrolled: 3-line block ×4, first 2 shown]
	v_fma_f64 v[20:21], -v[36:37], v[60:61], v[20:21]
	v_fmac_f64_e32 v[0:1], v[34:35], v[60:61]
	v_fma_f64 v[24:25], -v[64:65], v[60:61], v[24:25]
	v_fmac_f64_e32 v[16:17], v[62:63], v[60:61]
	;; [unrolled: 2-line block ×4, first 2 shown]
	s_cbranch_scc0 .LBB131_16
; %bb.17:                               ;   in Loop: Header=BB131_15 Depth=1
	v_add_nc_u32_e32 v31, 4, v31
	v_add_nc_u32_e32 v26, 0x60, v26
	s_delay_alu instid0(VALU_DEP_2) | instskip(SKIP_1) | instid1(SALU_CYCLE_1)
	v_cmp_ge_i32_e32 vcc_lo, v31, v30
	s_or_b32 s5, vcc_lo, s5
	s_and_not1_b32 exec_lo, exec_lo, s5
	s_cbranch_execnz .LBB131_15
; %bb.18:
	s_or_b32 exec_lo, exec_lo, s5
.LBB131_19:
	s_delay_alu instid0(SALU_CYCLE_1)
	s_or_b32 exec_lo, exec_lo, s4
.LBB131_20:
	v_mbcnt_lo_u32_b32 v46, -1, 0
	s_delay_alu instid0(VALU_DEP_1) | instskip(NEXT) | instid1(VALU_DEP_1)
	v_xor_b32_e32 v26, 2, v46
	v_cmp_gt_i32_e32 vcc_lo, 32, v26
	v_cndmask_b32_e32 v26, v46, v26, vcc_lo
	s_delay_alu instid0(VALU_DEP_1)
	v_lshlrev_b32_e32 v32, 2, v26
	ds_bpermute_b32 v26, v32, v20
	ds_bpermute_b32 v27, v32, v21
	;; [unrolled: 1-line block ×4, first 2 shown]
	s_wait_dscnt 0x2
	v_add_f64_e32 v[34:35], v[20:21], v[26:27]
	s_wait_dscnt 0x0
	v_add_f64_e32 v[20:21], v[14:15], v[40:41]
	ds_bpermute_b32 v28, v32, v0
	ds_bpermute_b32 v29, v32, v1
	;; [unrolled: 1-line block ×12, first 2 shown]
	s_wait_dscnt 0xa
	v_dual_add_f64 v[32:33], v[0:1], v[28:29] :: v_dual_bitop2_b32 v0, 1, v46 bitop3:0x14
	s_wait_dscnt 0x8
	v_add_f64_e32 v[28:29], v[16:17], v[36:37]
	s_wait_dscnt 0x6
	v_add_f64_e32 v[16:17], v[18:19], v[42:43]
	;; [unrolled: 2-line block ×3, first 2 shown]
	v_cmp_gt_i32_e32 vcc_lo, 32, v0
	s_wait_dscnt 0x0
	v_add_f64_e32 v[26:27], v[22:23], v[38:39]
	v_dual_add_f64 v[30:31], v[24:25], v[30:31] :: v_dual_cndmask_b32 v0, v46, v0, vcc_lo
	v_cmp_eq_u32_e32 vcc_lo, 3, v11
	s_delay_alu instid0(VALU_DEP_2)
	v_lshlrev_b32_e32 v39, 2, v0
	ds_bpermute_b32 v0, v39, v34
	ds_bpermute_b32 v1, v39, v35
	ds_bpermute_b32 v40, v39, v20
	ds_bpermute_b32 v41, v39, v21
	ds_bpermute_b32 v24, v39, v32
	ds_bpermute_b32 v25, v39, v33
	ds_bpermute_b32 v22, v39, v28
	ds_bpermute_b32 v23, v39, v29
	ds_bpermute_b32 v36, v39, v16
	ds_bpermute_b32 v37, v39, v17
	ds_bpermute_b32 v38, v39, v18
	ds_bpermute_b32 v14, v39, v26
	ds_bpermute_b32 v15, v39, v27
	ds_bpermute_b32 v12, v39, v30
	ds_bpermute_b32 v13, v39, v31
	ds_bpermute_b32 v39, v39, v19
	s_and_b32 exec_lo, exec_lo, vcc_lo
	s_cbranch_execz .LBB131_25
; %bb.21:
	v_cmp_eq_f64_e32 vcc_lo, 0, v[6:7]
	v_cmp_eq_f64_e64 s2, 0, v[8:9]
	s_wait_dscnt 0xe
	v_add_f64_e32 v[0:1], v[34:35], v[0:1]
	s_wait_dscnt 0xa
	v_add_f64_e32 v[24:25], v[32:33], v[24:25]
	s_wait_dscnt 0x1
	v_add_f64_e32 v[12:13], v[30:31], v[12:13]
	v_add_f64_e32 v[22:23], v[28:29], v[22:23]
	v_add_f64_e32 v[14:15], v[26:27], v[14:15]
	;; [unrolled: 1-line block ×4, first 2 shown]
	s_wait_dscnt 0x0
	v_add_f64_e32 v[18:19], v[18:19], v[38:39]
	s_load_b64 s[0:1], s[0:1], 0x48
	s_and_b32 s2, vcc_lo, s2
	s_delay_alu instid0(SALU_CYCLE_1) | instskip(NEXT) | instid1(SALU_CYCLE_1)
	s_and_saveexec_b32 s3, s2
	s_xor_b32 s2, exec_lo, s3
	s_cbranch_execz .LBB131_23
; %bb.22:
	v_mul_f64_e64 v[6:7], v[24:25], -v[4:5]
	v_mul_f64_e32 v[8:9], v[2:3], v[24:25]
	v_mul_f64_e64 v[24:25], v[22:23], -v[4:5]
	v_mul_f64_e32 v[26:27], v[2:3], v[22:23]
	;; [unrolled: 2-line block ×4, first 2 shown]
                                        ; implicit-def: $vgpr18_vgpr19
	v_fmac_f64_e32 v[6:7], v[2:3], v[0:1]
	v_fmac_f64_e32 v[8:9], v[4:5], v[0:1]
	;; [unrolled: 1-line block ×8, first 2 shown]
	v_lshlrev_b32_e32 v0, 2, v10
                                        ; implicit-def: $vgpr10
                                        ; implicit-def: $vgpr12_vgpr13
                                        ; implicit-def: $vgpr14_vgpr15
                                        ; implicit-def: $vgpr16_vgpr17
                                        ; implicit-def: $vgpr4_vgpr5
	s_wait_kmcnt 0x0
	s_clause 0x3
	global_store_b128 v0, v[6:9], s[0:1] scale_offset
	global_store_b128 v0, v[24:27], s[0:1] offset:16 scale_offset
	global_store_b128 v0, v[28:31], s[0:1] offset:32 scale_offset
	;; [unrolled: 1-line block ×3, first 2 shown]
                                        ; implicit-def: $vgpr0_vgpr1
                                        ; implicit-def: $vgpr24_vgpr25
                                        ; implicit-def: $vgpr22_vgpr23
                                        ; implicit-def: $vgpr20_vgpr21
                                        ; implicit-def: $vgpr8_vgpr9
.LBB131_23:
	s_wait_xcnt 0x0
	s_and_not1_saveexec_b32 s2, s2
	s_cbranch_execz .LBB131_25
; %bb.24:
	v_dual_mul_f64 v[42:43], v[24:25], -v[4:5] :: v_dual_lshlrev_b32 v52, 2, v10
	v_mul_f64_e32 v[24:25], v[2:3], v[24:25]
	v_mul_f64_e64 v[46:47], v[22:23], -v[4:5]
	v_mul_f64_e32 v[44:45], v[2:3], v[22:23]
	s_wait_kmcnt 0x0
	s_clause 0x3
	global_load_b128 v[26:29], v52, s[0:1] scale_offset
	global_load_b128 v[30:33], v52, s[0:1] offset:16 scale_offset
	global_load_b128 v[34:37], v52, s[0:1] offset:32 scale_offset
	;; [unrolled: 1-line block ×3, first 2 shown]
	v_mul_f64_e64 v[48:49], v[20:21], -v[4:5]
	v_mul_f64_e32 v[20:21], v[2:3], v[20:21]
	v_mul_f64_e64 v[50:51], v[18:19], -v[4:5]
	v_mul_f64_e32 v[10:11], v[2:3], v[18:19]
	v_fmac_f64_e32 v[42:43], v[2:3], v[0:1]
	v_fmac_f64_e32 v[24:25], v[4:5], v[0:1]
	v_fmac_f64_e32 v[46:47], v[2:3], v[12:13]
	v_fmac_f64_e32 v[44:45], v[4:5], v[12:13]
	v_fmac_f64_e32 v[48:49], v[2:3], v[14:15]
	v_fmac_f64_e32 v[20:21], v[4:5], v[14:15]
	v_fmac_f64_e32 v[50:51], v[2:3], v[16:17]
	v_fmac_f64_e32 v[10:11], v[4:5], v[16:17]
	s_wait_loadcnt 0x3
	v_fmac_f64_e32 v[42:43], v[6:7], v[26:27]
	v_fmac_f64_e32 v[24:25], v[8:9], v[26:27]
	s_wait_loadcnt 0x2
	v_fmac_f64_e32 v[46:47], v[6:7], v[30:31]
	v_fmac_f64_e32 v[44:45], v[8:9], v[30:31]
	;; [unrolled: 3-line block ×4, first 2 shown]
	v_fma_f64 v[22:23], -v[8:9], v[28:29], v[42:43]
	v_fmac_f64_e32 v[24:25], v[6:7], v[28:29]
	v_fma_f64 v[42:43], -v[8:9], v[32:33], v[46:47]
	v_fmac_f64_e32 v[44:45], v[6:7], v[32:33]
	;; [unrolled: 2-line block ×4, first 2 shown]
	s_clause 0x3
	global_store_b128 v52, v[22:25], s[0:1] scale_offset
	global_store_b128 v52, v[42:45], s[0:1] offset:16 scale_offset
	global_store_b128 v52, v[18:21], s[0:1] offset:32 scale_offset
	;; [unrolled: 1-line block ×3, first 2 shown]
.LBB131_25:
	s_sendmsg sendmsg(MSG_DEALLOC_VGPRS)
	s_endpgm
	.section	.rodata,"a",@progbits
	.p2align	6, 0x0
	.amdhsa_kernel _ZN9rocsparseL19gebsrmvn_4xn_kernelILj128ELj6ELj4E21rocsparse_complex_numIdEEEvi20rocsparse_direction_NS_24const_host_device_scalarIT2_EEPKiS8_PKS5_SA_S6_PS5_21rocsparse_index_base_b
		.amdhsa_group_segment_fixed_size 0
		.amdhsa_private_segment_fixed_size 0
		.amdhsa_kernarg_size 88
		.amdhsa_user_sgpr_count 2
		.amdhsa_user_sgpr_dispatch_ptr 0
		.amdhsa_user_sgpr_queue_ptr 0
		.amdhsa_user_sgpr_kernarg_segment_ptr 1
		.amdhsa_user_sgpr_dispatch_id 0
		.amdhsa_user_sgpr_kernarg_preload_length 0
		.amdhsa_user_sgpr_kernarg_preload_offset 0
		.amdhsa_user_sgpr_private_segment_size 0
		.amdhsa_wavefront_size32 1
		.amdhsa_uses_dynamic_stack 0
		.amdhsa_enable_private_segment 0
		.amdhsa_system_sgpr_workgroup_id_x 1
		.amdhsa_system_sgpr_workgroup_id_y 0
		.amdhsa_system_sgpr_workgroup_id_z 0
		.amdhsa_system_sgpr_workgroup_info 0
		.amdhsa_system_vgpr_workitem_id 0
		.amdhsa_next_free_vgpr 77
		.amdhsa_next_free_sgpr 14
		.amdhsa_named_barrier_count 0
		.amdhsa_reserve_vcc 1
		.amdhsa_float_round_mode_32 0
		.amdhsa_float_round_mode_16_64 0
		.amdhsa_float_denorm_mode_32 3
		.amdhsa_float_denorm_mode_16_64 3
		.amdhsa_fp16_overflow 0
		.amdhsa_memory_ordered 1
		.amdhsa_forward_progress 1
		.amdhsa_inst_pref_size 19
		.amdhsa_round_robin_scheduling 0
		.amdhsa_exception_fp_ieee_invalid_op 0
		.amdhsa_exception_fp_denorm_src 0
		.amdhsa_exception_fp_ieee_div_zero 0
		.amdhsa_exception_fp_ieee_overflow 0
		.amdhsa_exception_fp_ieee_underflow 0
		.amdhsa_exception_fp_ieee_inexact 0
		.amdhsa_exception_int_div_zero 0
	.end_amdhsa_kernel
	.section	.text._ZN9rocsparseL19gebsrmvn_4xn_kernelILj128ELj6ELj4E21rocsparse_complex_numIdEEEvi20rocsparse_direction_NS_24const_host_device_scalarIT2_EEPKiS8_PKS5_SA_S6_PS5_21rocsparse_index_base_b,"axG",@progbits,_ZN9rocsparseL19gebsrmvn_4xn_kernelILj128ELj6ELj4E21rocsparse_complex_numIdEEEvi20rocsparse_direction_NS_24const_host_device_scalarIT2_EEPKiS8_PKS5_SA_S6_PS5_21rocsparse_index_base_b,comdat
.Lfunc_end131:
	.size	_ZN9rocsparseL19gebsrmvn_4xn_kernelILj128ELj6ELj4E21rocsparse_complex_numIdEEEvi20rocsparse_direction_NS_24const_host_device_scalarIT2_EEPKiS8_PKS5_SA_S6_PS5_21rocsparse_index_base_b, .Lfunc_end131-_ZN9rocsparseL19gebsrmvn_4xn_kernelILj128ELj6ELj4E21rocsparse_complex_numIdEEEvi20rocsparse_direction_NS_24const_host_device_scalarIT2_EEPKiS8_PKS5_SA_S6_PS5_21rocsparse_index_base_b
                                        ; -- End function
	.set _ZN9rocsparseL19gebsrmvn_4xn_kernelILj128ELj6ELj4E21rocsparse_complex_numIdEEEvi20rocsparse_direction_NS_24const_host_device_scalarIT2_EEPKiS8_PKS5_SA_S6_PS5_21rocsparse_index_base_b.num_vgpr, 77
	.set _ZN9rocsparseL19gebsrmvn_4xn_kernelILj128ELj6ELj4E21rocsparse_complex_numIdEEEvi20rocsparse_direction_NS_24const_host_device_scalarIT2_EEPKiS8_PKS5_SA_S6_PS5_21rocsparse_index_base_b.num_agpr, 0
	.set _ZN9rocsparseL19gebsrmvn_4xn_kernelILj128ELj6ELj4E21rocsparse_complex_numIdEEEvi20rocsparse_direction_NS_24const_host_device_scalarIT2_EEPKiS8_PKS5_SA_S6_PS5_21rocsparse_index_base_b.numbered_sgpr, 14
	.set _ZN9rocsparseL19gebsrmvn_4xn_kernelILj128ELj6ELj4E21rocsparse_complex_numIdEEEvi20rocsparse_direction_NS_24const_host_device_scalarIT2_EEPKiS8_PKS5_SA_S6_PS5_21rocsparse_index_base_b.num_named_barrier, 0
	.set _ZN9rocsparseL19gebsrmvn_4xn_kernelILj128ELj6ELj4E21rocsparse_complex_numIdEEEvi20rocsparse_direction_NS_24const_host_device_scalarIT2_EEPKiS8_PKS5_SA_S6_PS5_21rocsparse_index_base_b.private_seg_size, 0
	.set _ZN9rocsparseL19gebsrmvn_4xn_kernelILj128ELj6ELj4E21rocsparse_complex_numIdEEEvi20rocsparse_direction_NS_24const_host_device_scalarIT2_EEPKiS8_PKS5_SA_S6_PS5_21rocsparse_index_base_b.uses_vcc, 1
	.set _ZN9rocsparseL19gebsrmvn_4xn_kernelILj128ELj6ELj4E21rocsparse_complex_numIdEEEvi20rocsparse_direction_NS_24const_host_device_scalarIT2_EEPKiS8_PKS5_SA_S6_PS5_21rocsparse_index_base_b.uses_flat_scratch, 0
	.set _ZN9rocsparseL19gebsrmvn_4xn_kernelILj128ELj6ELj4E21rocsparse_complex_numIdEEEvi20rocsparse_direction_NS_24const_host_device_scalarIT2_EEPKiS8_PKS5_SA_S6_PS5_21rocsparse_index_base_b.has_dyn_sized_stack, 0
	.set _ZN9rocsparseL19gebsrmvn_4xn_kernelILj128ELj6ELj4E21rocsparse_complex_numIdEEEvi20rocsparse_direction_NS_24const_host_device_scalarIT2_EEPKiS8_PKS5_SA_S6_PS5_21rocsparse_index_base_b.has_recursion, 0
	.set _ZN9rocsparseL19gebsrmvn_4xn_kernelILj128ELj6ELj4E21rocsparse_complex_numIdEEEvi20rocsparse_direction_NS_24const_host_device_scalarIT2_EEPKiS8_PKS5_SA_S6_PS5_21rocsparse_index_base_b.has_indirect_call, 0
	.section	.AMDGPU.csdata,"",@progbits
; Kernel info:
; codeLenInByte = 2336
; TotalNumSgprs: 16
; NumVgprs: 77
; ScratchSize: 0
; MemoryBound: 0
; FloatMode: 240
; IeeeMode: 1
; LDSByteSize: 0 bytes/workgroup (compile time only)
; SGPRBlocks: 0
; VGPRBlocks: 4
; NumSGPRsForWavesPerEU: 16
; NumVGPRsForWavesPerEU: 77
; NamedBarCnt: 0
; Occupancy: 12
; WaveLimiterHint : 1
; COMPUTE_PGM_RSRC2:SCRATCH_EN: 0
; COMPUTE_PGM_RSRC2:USER_SGPR: 2
; COMPUTE_PGM_RSRC2:TRAP_HANDLER: 0
; COMPUTE_PGM_RSRC2:TGID_X_EN: 1
; COMPUTE_PGM_RSRC2:TGID_Y_EN: 0
; COMPUTE_PGM_RSRC2:TGID_Z_EN: 0
; COMPUTE_PGM_RSRC2:TIDIG_COMP_CNT: 0
	.section	.text._ZN9rocsparseL19gebsrmvn_4xn_kernelILj128ELj6ELj8E21rocsparse_complex_numIdEEEvi20rocsparse_direction_NS_24const_host_device_scalarIT2_EEPKiS8_PKS5_SA_S6_PS5_21rocsparse_index_base_b,"axG",@progbits,_ZN9rocsparseL19gebsrmvn_4xn_kernelILj128ELj6ELj8E21rocsparse_complex_numIdEEEvi20rocsparse_direction_NS_24const_host_device_scalarIT2_EEPKiS8_PKS5_SA_S6_PS5_21rocsparse_index_base_b,comdat
	.globl	_ZN9rocsparseL19gebsrmvn_4xn_kernelILj128ELj6ELj8E21rocsparse_complex_numIdEEEvi20rocsparse_direction_NS_24const_host_device_scalarIT2_EEPKiS8_PKS5_SA_S6_PS5_21rocsparse_index_base_b ; -- Begin function _ZN9rocsparseL19gebsrmvn_4xn_kernelILj128ELj6ELj8E21rocsparse_complex_numIdEEEvi20rocsparse_direction_NS_24const_host_device_scalarIT2_EEPKiS8_PKS5_SA_S6_PS5_21rocsparse_index_base_b
	.p2align	8
	.type	_ZN9rocsparseL19gebsrmvn_4xn_kernelILj128ELj6ELj8E21rocsparse_complex_numIdEEEvi20rocsparse_direction_NS_24const_host_device_scalarIT2_EEPKiS8_PKS5_SA_S6_PS5_21rocsparse_index_base_b,@function
_ZN9rocsparseL19gebsrmvn_4xn_kernelILj128ELj6ELj8E21rocsparse_complex_numIdEEEvi20rocsparse_direction_NS_24const_host_device_scalarIT2_EEPKiS8_PKS5_SA_S6_PS5_21rocsparse_index_base_b: ; @_ZN9rocsparseL19gebsrmvn_4xn_kernelILj128ELj6ELj8E21rocsparse_complex_numIdEEEvi20rocsparse_direction_NS_24const_host_device_scalarIT2_EEPKiS8_PKS5_SA_S6_PS5_21rocsparse_index_base_b
; %bb.0:
	s_clause 0x1
	s_load_b64 s[12:13], s[0:1], 0x50
	s_load_b64 s[2:3], s[0:1], 0x8
	v_mov_b32_e32 v1, 0
	s_add_nc_u64 s[4:5], s[0:1], 8
	s_load_b64 s[6:7], s[0:1], 0x38
	s_wait_kmcnt 0x0
	s_bitcmp1_b32 s13, 0
	s_cselect_b32 s3, s5, s3
	s_cselect_b32 s2, s4, s2
	flat_load_b128 v[2:5], v1, s[2:3]
	s_wait_xcnt 0x0
	s_add_nc_u64 s[2:3], s[0:1], 56
	s_delay_alu instid0(SALU_CYCLE_1)
	s_cselect_b32 s3, s3, s7
	s_cselect_b32 s2, s2, s6
	flat_load_b128 v[6:9], v1, s[2:3]
	s_wait_loadcnt_dscnt 0x101
	v_cmp_eq_f64_e32 vcc_lo, 0, v[2:3]
	s_wait_xcnt 0x0
	v_cmp_eq_f64_e64 s2, 0, v[4:5]
	s_and_b32 s4, vcc_lo, s2
	s_mov_b32 s2, -1
	s_and_saveexec_b32 s3, s4
	s_cbranch_execz .LBB132_2
; %bb.1:
	s_wait_loadcnt_dscnt 0x0
	v_cmp_neq_f64_e32 vcc_lo, 1.0, v[6:7]
	v_cmp_neq_f64_e64 s2, 0, v[8:9]
	s_or_b32 s2, vcc_lo, s2
	s_delay_alu instid0(SALU_CYCLE_1)
	s_or_not1_b32 s2, s2, exec_lo
.LBB132_2:
	s_or_b32 exec_lo, exec_lo, s3
	s_and_saveexec_b32 s3, s2
	s_cbranch_execz .LBB132_25
; %bb.3:
	s_load_b64 s[2:3], s[0:1], 0x0
	s_bfe_u32 s4, ttmp6, 0x4000c
	s_and_b32 s5, ttmp6, 15
	s_add_co_i32 s4, s4, 1
	s_getreg_b32 s6, hwreg(HW_REG_IB_STS2, 6, 4)
	s_mul_i32 s4, ttmp9, s4
	v_lshrrev_b32_e32 v1, 3, v0
	s_add_co_i32 s5, s5, s4
	s_cmp_eq_u32 s6, 0
	s_cselect_b32 s4, ttmp9, s5
	s_delay_alu instid0(VALU_DEP_1) | instid1(SALU_CYCLE_1)
	v_lshl_or_b32 v10, s4, 4, v1
	s_wait_kmcnt 0x0
	s_delay_alu instid0(VALU_DEP_1)
	v_cmp_gt_i32_e32 vcc_lo, s2, v10
	s_and_b32 exec_lo, exec_lo, vcc_lo
	s_cbranch_execz .LBB132_25
; %bb.4:
	s_load_b256 s[4:11], s[0:1], 0x18
	v_ashrrev_i32_e32 v11, 31, v10
	s_cmp_lg_u32 s3, 0
	s_wait_kmcnt 0x0
	s_delay_alu instid0(VALU_DEP_1)
	v_lshl_add_u64 v[12:13], v[10:11], 2, s[4:5]
	v_and_b32_e32 v11, 7, v0
	global_load_b64 v[12:13], v[12:13], off
	s_wait_loadcnt 0x0
	v_subrev_nc_u32_e32 v0, s12, v12
	v_subrev_nc_u32_e32 v30, s12, v13
	s_delay_alu instid0(VALU_DEP_2) | instskip(NEXT) | instid1(VALU_DEP_1)
	v_add_nc_u32_e32 v31, v0, v11
	v_cmp_lt_i32_e64 s2, v31, v30
	s_cbranch_scc0 .LBB132_12
; %bb.5:
	v_mov_b64_e32 v[0:1], 0
	v_mov_b64_e32 v[20:21], 0
	;; [unrolled: 1-line block ×8, first 2 shown]
	s_and_saveexec_b32 s3, s2
	s_cbranch_execz .LBB132_11
; %bb.6:
	v_mul_lo_u32 v26, v31, 24
	v_mov_b64_e32 v[0:1], 0
	v_mov_b64_e32 v[20:21], 0
	v_mov_b64_e32 v[18:19], 0
	v_mov_b64_e32 v[12:13], 0
	v_mov_b64_e32 v[22:23], 0
	v_mov_b64_e32 v[14:15], 0
	v_mov_b64_e32 v[24:25], 0
	v_mov_b64_e32 v[16:17], 0
	v_mov_b32_e32 v27, v31
	s_mov_b32 s4, 0
.LBB132_7:                              ; =>This Loop Header: Depth=1
                                        ;     Child Loop BB132_8 Depth 2
	global_load_b32 v28, v27, s[6:7] scale_offset
	v_mov_b32_e32 v29, v26
	s_mov_b32 s5, 0
	s_wait_loadcnt 0x0
	v_subrev_nc_u32_e32 v28, s12, v28
	s_delay_alu instid0(VALU_DEP_1)
	v_mul_lo_u32 v28, v28, 6
.LBB132_8:                              ;   Parent Loop BB132_7 Depth=1
                                        ; =>  This Inner Loop Header: Depth=2
	s_delay_alu instid0(VALU_DEP_1)
	v_dual_add_nc_u32 v56, s5, v28 :: v_dual_add_nc_u32 v72, 4, v29
	s_clause 0x3
	global_load_b128 v[32:35], v29, s[8:9] offset:48 scale_offset
	global_load_b128 v[36:39], v29, s[8:9] offset:32 scale_offset
	;; [unrolled: 1-line block ×3, first 2 shown]
	global_load_b128 v[44:47], v29, s[8:9] scale_offset
	s_clause 0x1
	global_load_b128 v[48:51], v56, s[10:11] scale_offset
	global_load_b128 v[52:55], v56, s[10:11] offset:16 scale_offset
	s_add_co_i32 s5, s5, 2
	s_clause 0x3
	global_load_b128 v[56:59], v72, s[8:9] scale_offset
	global_load_b128 v[60:63], v72, s[8:9] offset:16 scale_offset
	global_load_b128 v[64:67], v72, s[8:9] offset:32 scale_offset
	;; [unrolled: 1-line block ×3, first 2 shown]
	s_cmp_eq_u32 s5, 6
	v_add_nc_u32_e32 v29, 8, v29
	s_wait_loadcnt 0x5
	v_fmac_f64_e32 v[20:21], v[44:45], v[48:49]
	v_fmac_f64_e32 v[0:1], v[46:47], v[48:49]
	;; [unrolled: 1-line block ×8, first 2 shown]
	v_fma_f64 v[20:21], -v[46:47], v[50:51], v[20:21]
	v_fmac_f64_e32 v[0:1], v[44:45], v[50:51]
	v_fma_f64 v[24:25], -v[42:43], v[50:51], v[24:25]
	v_fmac_f64_e32 v[16:17], v[40:41], v[50:51]
	;; [unrolled: 2-line block ×4, first 2 shown]
	s_wait_loadcnt 0x3
	v_fmac_f64_e32 v[20:21], v[56:57], v[52:53]
	v_fmac_f64_e32 v[0:1], v[58:59], v[52:53]
	s_wait_loadcnt 0x2
	v_fmac_f64_e32 v[24:25], v[60:61], v[52:53]
	v_fmac_f64_e32 v[16:17], v[62:63], v[52:53]
	;; [unrolled: 3-line block ×4, first 2 shown]
	v_fma_f64 v[20:21], -v[58:59], v[54:55], v[20:21]
	v_fmac_f64_e32 v[0:1], v[56:57], v[54:55]
	v_fma_f64 v[24:25], -v[62:63], v[54:55], v[24:25]
	v_fmac_f64_e32 v[16:17], v[60:61], v[54:55]
	;; [unrolled: 2-line block ×4, first 2 shown]
	s_cbranch_scc0 .LBB132_8
; %bb.9:                                ;   in Loop: Header=BB132_7 Depth=1
	v_add_nc_u32_e32 v27, 8, v27
	v_add_nc_u32_e32 v26, 0xc0, v26
	s_delay_alu instid0(VALU_DEP_2) | instskip(SKIP_1) | instid1(SALU_CYCLE_1)
	v_cmp_ge_i32_e32 vcc_lo, v27, v30
	s_or_b32 s4, vcc_lo, s4
	s_and_not1_b32 exec_lo, exec_lo, s4
	s_cbranch_execnz .LBB132_7
; %bb.10:
	s_or_b32 exec_lo, exec_lo, s4
.LBB132_11:
	s_delay_alu instid0(SALU_CYCLE_1)
	s_or_b32 exec_lo, exec_lo, s3
	s_cbranch_execz .LBB132_13
	s_branch .LBB132_20
.LBB132_12:
                                        ; implicit-def: $vgpr0_vgpr1
                                        ; implicit-def: $vgpr20_vgpr21
                                        ; implicit-def: $vgpr18_vgpr19
                                        ; implicit-def: $vgpr12_vgpr13
                                        ; implicit-def: $vgpr22_vgpr23
                                        ; implicit-def: $vgpr14_vgpr15
                                        ; implicit-def: $vgpr24_vgpr25
                                        ; implicit-def: $vgpr16_vgpr17
.LBB132_13:
	v_mov_b64_e32 v[0:1], 0
	v_mov_b64_e32 v[20:21], 0
	;; [unrolled: 1-line block ×8, first 2 shown]
	s_and_saveexec_b32 s4, s2
	s_cbranch_execz .LBB132_19
; %bb.14:
	v_mul_lo_u32 v26, v31, 24
	v_mov_b64_e32 v[0:1], 0
	v_mov_b64_e32 v[20:21], 0
	;; [unrolled: 1-line block ×8, first 2 shown]
	v_mov_b32_e32 v27, 0
	s_add_nc_u64 s[2:3], s[8:9], 16
	s_mov_b32 s5, 0
.LBB132_15:                             ; =>This Loop Header: Depth=1
                                        ;     Child Loop BB132_16 Depth 2
	global_load_b32 v28, v31, s[6:7] scale_offset
	s_mov_b32 s13, 0
	s_wait_loadcnt 0x0
	v_subrev_nc_u32_e32 v28, s12, v28
	s_delay_alu instid0(VALU_DEP_1)
	v_mul_lo_u32 v32, v28, 6
	v_lshl_add_u64 v[28:29], v[26:27], 4, s[2:3]
.LBB132_16:                             ;   Parent Loop BB132_15 Depth=1
                                        ; =>  This Inner Loop Header: Depth=2
	s_delay_alu instid0(VALU_DEP_2)
	v_dual_add_nc_u32 v33, s13, v26 :: v_dual_add_nc_u32 v74, s13, v32
	s_clause 0x1
	global_load_b128 v[34:37], v[28:29], off
	global_load_b128 v[38:41], v[28:29], off offset:-16
	s_wait_xcnt 0x0
	v_add_nc_u64_e32 v[28:29], 32, v[28:29]
	s_add_co_i32 s13, s13, 2
	v_dual_add_nc_u32 v75, 6, v33 :: v_dual_add_nc_u32 v76, 12, v33
	global_load_b128 v[42:45], v74, s[10:11] scale_offset
	v_add_nc_u32_e32 v33, 18, v33
	s_cmp_eq_u32 s13, 6
	s_clause 0x2
	global_load_b128 v[46:49], v75, s[8:9] scale_offset
	global_load_b128 v[50:53], v76, s[8:9] scale_offset
	;; [unrolled: 1-line block ×3, first 2 shown]
	global_load_b128 v[58:61], v74, s[10:11] offset:16 scale_offset
	s_clause 0x2
	global_load_b128 v[62:65], v75, s[8:9] offset:16 scale_offset
	global_load_b128 v[66:69], v76, s[8:9] offset:16 scale_offset
	global_load_b128 v[70:73], v33, s[8:9] offset:16 scale_offset
	s_wait_loadcnt 0x7
	v_fmac_f64_e32 v[20:21], v[38:39], v[42:43]
	v_fmac_f64_e32 v[0:1], v[40:41], v[42:43]
	s_wait_loadcnt 0x6
	v_fmac_f64_e32 v[24:25], v[46:47], v[42:43]
	v_fmac_f64_e32 v[16:17], v[48:49], v[42:43]
	;; [unrolled: 3-line block ×4, first 2 shown]
	v_fma_f64 v[20:21], -v[40:41], v[44:45], v[20:21]
	v_fmac_f64_e32 v[0:1], v[38:39], v[44:45]
	v_fma_f64 v[24:25], -v[48:49], v[44:45], v[24:25]
	v_fmac_f64_e32 v[16:17], v[46:47], v[44:45]
	;; [unrolled: 2-line block ×4, first 2 shown]
	s_wait_loadcnt 0x3
	v_fmac_f64_e32 v[20:21], v[34:35], v[58:59]
	v_fmac_f64_e32 v[0:1], v[36:37], v[58:59]
	s_wait_loadcnt 0x2
	v_fmac_f64_e32 v[24:25], v[62:63], v[58:59]
	v_fmac_f64_e32 v[16:17], v[64:65], v[58:59]
	s_wait_loadcnt 0x1
	v_fmac_f64_e32 v[22:23], v[66:67], v[58:59]
	v_fmac_f64_e32 v[14:15], v[68:69], v[58:59]
	s_wait_loadcnt 0x0
	v_fmac_f64_e32 v[18:19], v[70:71], v[58:59]
	v_fmac_f64_e32 v[12:13], v[72:73], v[58:59]
	v_fma_f64 v[20:21], -v[36:37], v[60:61], v[20:21]
	v_fmac_f64_e32 v[0:1], v[34:35], v[60:61]
	v_fma_f64 v[24:25], -v[64:65], v[60:61], v[24:25]
	v_fmac_f64_e32 v[16:17], v[62:63], v[60:61]
	;; [unrolled: 2-line block ×4, first 2 shown]
	s_cbranch_scc0 .LBB132_16
; %bb.17:                               ;   in Loop: Header=BB132_15 Depth=1
	v_add_nc_u32_e32 v31, 8, v31
	v_add_nc_u32_e32 v26, 0xc0, v26
	s_delay_alu instid0(VALU_DEP_2) | instskip(SKIP_1) | instid1(SALU_CYCLE_1)
	v_cmp_ge_i32_e32 vcc_lo, v31, v30
	s_or_b32 s5, vcc_lo, s5
	s_and_not1_b32 exec_lo, exec_lo, s5
	s_cbranch_execnz .LBB132_15
; %bb.18:
	s_or_b32 exec_lo, exec_lo, s5
.LBB132_19:
	s_delay_alu instid0(SALU_CYCLE_1)
	s_or_b32 exec_lo, exec_lo, s4
.LBB132_20:
	v_mbcnt_lo_u32_b32 v44, -1, 0
	s_delay_alu instid0(VALU_DEP_1) | instskip(NEXT) | instid1(VALU_DEP_1)
	v_xor_b32_e32 v26, 4, v44
	v_cmp_gt_i32_e32 vcc_lo, 32, v26
	v_cndmask_b32_e32 v26, v44, v26, vcc_lo
	s_delay_alu instid0(VALU_DEP_1)
	v_lshlrev_b32_e32 v41, 2, v26
	ds_bpermute_b32 v26, v41, v20
	ds_bpermute_b32 v27, v41, v21
	;; [unrolled: 1-line block ×4, first 2 shown]
	s_wait_dscnt 0x2
	v_add_f64_e32 v[20:21], v[20:21], v[26:27]
	s_wait_dscnt 0x0
	v_add_f64_e32 v[26:27], v[0:1], v[28:29]
	ds_bpermute_b32 v30, v41, v24
	ds_bpermute_b32 v31, v41, v25
	;; [unrolled: 1-line block ×12, first 2 shown]
	v_xor_b32_e32 v0, 2, v44
	s_delay_alu instid0(VALU_DEP_1)
	v_cmp_gt_i32_e32 vcc_lo, 32, v0
	s_wait_dscnt 0xa
	v_add_f64_e32 v[28:29], v[24:25], v[30:31]
	v_cndmask_b32_e32 v0, v44, v0, vcc_lo
	s_wait_dscnt 0x8
	v_add_f64_e32 v[16:17], v[16:17], v[32:33]
	s_wait_dscnt 0x6
	v_add_f64_e32 v[30:31], v[22:23], v[34:35]
	;; [unrolled: 2-line block ×3, first 2 shown]
	s_wait_dscnt 0x2
	v_dual_add_f64 v[18:19], v[18:19], v[38:39] :: v_dual_lshlrev_b32 v24, 2, v0
	s_wait_dscnt 0x0
	v_add_f64_e32 v[34:35], v[12:13], v[40:41]
	ds_bpermute_b32 v12, v24, v26
	ds_bpermute_b32 v13, v24, v27
	;; [unrolled: 1-line block ×16, first 2 shown]
	s_wait_dscnt 0xe
	v_add_f64_e32 v[24:25], v[26:27], v[12:13]
	s_wait_dscnt 0xc
	v_add_f64_e32 v[0:1], v[20:21], v[0:1]
	v_xor_b32_e32 v26, 1, v44
	s_delay_alu instid0(VALU_DEP_1)
	v_cmp_gt_i32_e32 vcc_lo, 32, v26
	s_wait_dscnt 0xa
	v_add_f64_e32 v[12:13], v[28:29], v[14:15]
	s_wait_dscnt 0x6
	v_dual_add_f64 v[14:15], v[30:31], v[36:37] :: v_dual_cndmask_b32 v26, v44, v26, vcc_lo
	v_cmp_eq_u32_e32 vcc_lo, 7, v11
	s_wait_dscnt 0x4
	v_add_f64_e32 v[20:21], v[32:33], v[38:39]
	s_delay_alu instid0(VALU_DEP_3)
	v_lshlrev_b32_e32 v29, 2, v26
	v_add_f64_e32 v[22:23], v[16:17], v[22:23]
	s_wait_dscnt 0x2
	v_add_f64_e32 v[16:17], v[18:19], v[40:41]
	s_wait_dscnt 0x0
	v_add_f64_e32 v[18:19], v[34:35], v[42:43]
	ds_bpermute_b32 v38, v29, v24
	ds_bpermute_b32 v40, v29, v0
	;; [unrolled: 1-line block ×16, first 2 shown]
	s_and_b32 exec_lo, exec_lo, vcc_lo
	s_cbranch_execz .LBB132_25
; %bb.21:
	v_cmp_eq_f64_e32 vcc_lo, 0, v[6:7]
	v_cmp_eq_f64_e64 s2, 0, v[8:9]
	s_wait_dscnt 0xd
	v_add_f64_e32 v[0:1], v[0:1], v[40:41]
	s_wait_dscnt 0xc
	v_add_f64_e32 v[24:25], v[24:25], v[38:39]
	;; [unrolled: 2-line block ×4, first 2 shown]
	v_add_f64_e32 v[14:15], v[14:15], v[32:33]
	v_add_f64_e32 v[20:21], v[20:21], v[30:31]
	s_wait_dscnt 0x2
	v_add_f64_e32 v[16:17], v[16:17], v[26:27]
	s_wait_dscnt 0x0
	v_add_f64_e32 v[18:19], v[18:19], v[28:29]
	s_load_b64 s[0:1], s[0:1], 0x48
	s_and_b32 s2, vcc_lo, s2
	s_delay_alu instid0(SALU_CYCLE_1) | instskip(NEXT) | instid1(SALU_CYCLE_1)
	s_and_saveexec_b32 s3, s2
	s_xor_b32 s2, exec_lo, s3
	s_cbranch_execz .LBB132_23
; %bb.22:
	v_mul_f64_e64 v[6:7], v[24:25], -v[4:5]
	v_mul_f64_e32 v[8:9], v[2:3], v[24:25]
	v_mul_f64_e64 v[24:25], v[22:23], -v[4:5]
	v_mul_f64_e32 v[26:27], v[2:3], v[22:23]
	v_mul_f64_e64 v[28:29], v[20:21], -v[4:5]
	v_mul_f64_e32 v[30:31], v[2:3], v[20:21]
	v_mul_f64_e64 v[20:21], v[18:19], -v[4:5]
	v_mul_f64_e32 v[22:23], v[2:3], v[18:19]
                                        ; implicit-def: $vgpr18_vgpr19
	v_fmac_f64_e32 v[6:7], v[2:3], v[0:1]
	v_fmac_f64_e32 v[8:9], v[4:5], v[0:1]
	;; [unrolled: 1-line block ×8, first 2 shown]
	v_lshlrev_b32_e32 v0, 2, v10
                                        ; implicit-def: $vgpr10
                                        ; implicit-def: $vgpr12_vgpr13
                                        ; implicit-def: $vgpr14_vgpr15
                                        ; implicit-def: $vgpr16_vgpr17
                                        ; implicit-def: $vgpr4_vgpr5
	s_wait_kmcnt 0x0
	s_clause 0x3
	global_store_b128 v0, v[6:9], s[0:1] scale_offset
	global_store_b128 v0, v[24:27], s[0:1] offset:16 scale_offset
	global_store_b128 v0, v[28:31], s[0:1] offset:32 scale_offset
	;; [unrolled: 1-line block ×3, first 2 shown]
                                        ; implicit-def: $vgpr0_vgpr1
                                        ; implicit-def: $vgpr24_vgpr25
                                        ; implicit-def: $vgpr22_vgpr23
                                        ; implicit-def: $vgpr20_vgpr21
                                        ; implicit-def: $vgpr8_vgpr9
.LBB132_23:
	s_wait_xcnt 0x0
	s_and_not1_saveexec_b32 s2, s2
	s_cbranch_execz .LBB132_25
; %bb.24:
	v_dual_mul_f64 v[42:43], v[24:25], -v[4:5] :: v_dual_lshlrev_b32 v52, 2, v10
	v_mul_f64_e32 v[24:25], v[2:3], v[24:25]
	v_mul_f64_e64 v[46:47], v[22:23], -v[4:5]
	v_mul_f64_e32 v[44:45], v[2:3], v[22:23]
	s_wait_kmcnt 0x0
	s_clause 0x3
	global_load_b128 v[26:29], v52, s[0:1] scale_offset
	global_load_b128 v[30:33], v52, s[0:1] offset:16 scale_offset
	global_load_b128 v[34:37], v52, s[0:1] offset:32 scale_offset
	;; [unrolled: 1-line block ×3, first 2 shown]
	v_mul_f64_e64 v[48:49], v[20:21], -v[4:5]
	v_mul_f64_e32 v[20:21], v[2:3], v[20:21]
	v_mul_f64_e64 v[50:51], v[18:19], -v[4:5]
	v_mul_f64_e32 v[10:11], v[2:3], v[18:19]
	v_fmac_f64_e32 v[42:43], v[2:3], v[0:1]
	v_fmac_f64_e32 v[24:25], v[4:5], v[0:1]
	;; [unrolled: 1-line block ×8, first 2 shown]
	s_wait_loadcnt 0x3
	v_fmac_f64_e32 v[42:43], v[6:7], v[26:27]
	v_fmac_f64_e32 v[24:25], v[8:9], v[26:27]
	s_wait_loadcnt 0x2
	v_fmac_f64_e32 v[46:47], v[6:7], v[30:31]
	v_fmac_f64_e32 v[44:45], v[8:9], v[30:31]
	;; [unrolled: 3-line block ×4, first 2 shown]
	v_fma_f64 v[22:23], -v[8:9], v[28:29], v[42:43]
	v_fmac_f64_e32 v[24:25], v[6:7], v[28:29]
	v_fma_f64 v[42:43], -v[8:9], v[32:33], v[46:47]
	v_fmac_f64_e32 v[44:45], v[6:7], v[32:33]
	;; [unrolled: 2-line block ×4, first 2 shown]
	s_clause 0x3
	global_store_b128 v52, v[22:25], s[0:1] scale_offset
	global_store_b128 v52, v[42:45], s[0:1] offset:16 scale_offset
	global_store_b128 v52, v[18:21], s[0:1] offset:32 scale_offset
	;; [unrolled: 1-line block ×3, first 2 shown]
.LBB132_25:
	s_sendmsg sendmsg(MSG_DEALLOC_VGPRS)
	s_endpgm
	.section	.rodata,"a",@progbits
	.p2align	6, 0x0
	.amdhsa_kernel _ZN9rocsparseL19gebsrmvn_4xn_kernelILj128ELj6ELj8E21rocsparse_complex_numIdEEEvi20rocsparse_direction_NS_24const_host_device_scalarIT2_EEPKiS8_PKS5_SA_S6_PS5_21rocsparse_index_base_b
		.amdhsa_group_segment_fixed_size 0
		.amdhsa_private_segment_fixed_size 0
		.amdhsa_kernarg_size 88
		.amdhsa_user_sgpr_count 2
		.amdhsa_user_sgpr_dispatch_ptr 0
		.amdhsa_user_sgpr_queue_ptr 0
		.amdhsa_user_sgpr_kernarg_segment_ptr 1
		.amdhsa_user_sgpr_dispatch_id 0
		.amdhsa_user_sgpr_kernarg_preload_length 0
		.amdhsa_user_sgpr_kernarg_preload_offset 0
		.amdhsa_user_sgpr_private_segment_size 0
		.amdhsa_wavefront_size32 1
		.amdhsa_uses_dynamic_stack 0
		.amdhsa_enable_private_segment 0
		.amdhsa_system_sgpr_workgroup_id_x 1
		.amdhsa_system_sgpr_workgroup_id_y 0
		.amdhsa_system_sgpr_workgroup_id_z 0
		.amdhsa_system_sgpr_workgroup_info 0
		.amdhsa_system_vgpr_workitem_id 0
		.amdhsa_next_free_vgpr 77
		.amdhsa_next_free_sgpr 14
		.amdhsa_named_barrier_count 0
		.amdhsa_reserve_vcc 1
		.amdhsa_float_round_mode_32 0
		.amdhsa_float_round_mode_16_64 0
		.amdhsa_float_denorm_mode_32 3
		.amdhsa_float_denorm_mode_16_64 3
		.amdhsa_fp16_overflow 0
		.amdhsa_memory_ordered 1
		.amdhsa_forward_progress 1
		.amdhsa_inst_pref_size 20
		.amdhsa_round_robin_scheduling 0
		.amdhsa_exception_fp_ieee_invalid_op 0
		.amdhsa_exception_fp_denorm_src 0
		.amdhsa_exception_fp_ieee_div_zero 0
		.amdhsa_exception_fp_ieee_overflow 0
		.amdhsa_exception_fp_ieee_underflow 0
		.amdhsa_exception_fp_ieee_inexact 0
		.amdhsa_exception_int_div_zero 0
	.end_amdhsa_kernel
	.section	.text._ZN9rocsparseL19gebsrmvn_4xn_kernelILj128ELj6ELj8E21rocsparse_complex_numIdEEEvi20rocsparse_direction_NS_24const_host_device_scalarIT2_EEPKiS8_PKS5_SA_S6_PS5_21rocsparse_index_base_b,"axG",@progbits,_ZN9rocsparseL19gebsrmvn_4xn_kernelILj128ELj6ELj8E21rocsparse_complex_numIdEEEvi20rocsparse_direction_NS_24const_host_device_scalarIT2_EEPKiS8_PKS5_SA_S6_PS5_21rocsparse_index_base_b,comdat
.Lfunc_end132:
	.size	_ZN9rocsparseL19gebsrmvn_4xn_kernelILj128ELj6ELj8E21rocsparse_complex_numIdEEEvi20rocsparse_direction_NS_24const_host_device_scalarIT2_EEPKiS8_PKS5_SA_S6_PS5_21rocsparse_index_base_b, .Lfunc_end132-_ZN9rocsparseL19gebsrmvn_4xn_kernelILj128ELj6ELj8E21rocsparse_complex_numIdEEEvi20rocsparse_direction_NS_24const_host_device_scalarIT2_EEPKiS8_PKS5_SA_S6_PS5_21rocsparse_index_base_b
                                        ; -- End function
	.set _ZN9rocsparseL19gebsrmvn_4xn_kernelILj128ELj6ELj8E21rocsparse_complex_numIdEEEvi20rocsparse_direction_NS_24const_host_device_scalarIT2_EEPKiS8_PKS5_SA_S6_PS5_21rocsparse_index_base_b.num_vgpr, 77
	.set _ZN9rocsparseL19gebsrmvn_4xn_kernelILj128ELj6ELj8E21rocsparse_complex_numIdEEEvi20rocsparse_direction_NS_24const_host_device_scalarIT2_EEPKiS8_PKS5_SA_S6_PS5_21rocsparse_index_base_b.num_agpr, 0
	.set _ZN9rocsparseL19gebsrmvn_4xn_kernelILj128ELj6ELj8E21rocsparse_complex_numIdEEEvi20rocsparse_direction_NS_24const_host_device_scalarIT2_EEPKiS8_PKS5_SA_S6_PS5_21rocsparse_index_base_b.numbered_sgpr, 14
	.set _ZN9rocsparseL19gebsrmvn_4xn_kernelILj128ELj6ELj8E21rocsparse_complex_numIdEEEvi20rocsparse_direction_NS_24const_host_device_scalarIT2_EEPKiS8_PKS5_SA_S6_PS5_21rocsparse_index_base_b.num_named_barrier, 0
	.set _ZN9rocsparseL19gebsrmvn_4xn_kernelILj128ELj6ELj8E21rocsparse_complex_numIdEEEvi20rocsparse_direction_NS_24const_host_device_scalarIT2_EEPKiS8_PKS5_SA_S6_PS5_21rocsparse_index_base_b.private_seg_size, 0
	.set _ZN9rocsparseL19gebsrmvn_4xn_kernelILj128ELj6ELj8E21rocsparse_complex_numIdEEEvi20rocsparse_direction_NS_24const_host_device_scalarIT2_EEPKiS8_PKS5_SA_S6_PS5_21rocsparse_index_base_b.uses_vcc, 1
	.set _ZN9rocsparseL19gebsrmvn_4xn_kernelILj128ELj6ELj8E21rocsparse_complex_numIdEEEvi20rocsparse_direction_NS_24const_host_device_scalarIT2_EEPKiS8_PKS5_SA_S6_PS5_21rocsparse_index_base_b.uses_flat_scratch, 0
	.set _ZN9rocsparseL19gebsrmvn_4xn_kernelILj128ELj6ELj8E21rocsparse_complex_numIdEEEvi20rocsparse_direction_NS_24const_host_device_scalarIT2_EEPKiS8_PKS5_SA_S6_PS5_21rocsparse_index_base_b.has_dyn_sized_stack, 0
	.set _ZN9rocsparseL19gebsrmvn_4xn_kernelILj128ELj6ELj8E21rocsparse_complex_numIdEEEvi20rocsparse_direction_NS_24const_host_device_scalarIT2_EEPKiS8_PKS5_SA_S6_PS5_21rocsparse_index_base_b.has_recursion, 0
	.set _ZN9rocsparseL19gebsrmvn_4xn_kernelILj128ELj6ELj8E21rocsparse_complex_numIdEEEvi20rocsparse_direction_NS_24const_host_device_scalarIT2_EEPKiS8_PKS5_SA_S6_PS5_21rocsparse_index_base_b.has_indirect_call, 0
	.section	.AMDGPU.csdata,"",@progbits
; Kernel info:
; codeLenInByte = 2560
; TotalNumSgprs: 16
; NumVgprs: 77
; ScratchSize: 0
; MemoryBound: 0
; FloatMode: 240
; IeeeMode: 1
; LDSByteSize: 0 bytes/workgroup (compile time only)
; SGPRBlocks: 0
; VGPRBlocks: 4
; NumSGPRsForWavesPerEU: 16
; NumVGPRsForWavesPerEU: 77
; NamedBarCnt: 0
; Occupancy: 12
; WaveLimiterHint : 1
; COMPUTE_PGM_RSRC2:SCRATCH_EN: 0
; COMPUTE_PGM_RSRC2:USER_SGPR: 2
; COMPUTE_PGM_RSRC2:TRAP_HANDLER: 0
; COMPUTE_PGM_RSRC2:TGID_X_EN: 1
; COMPUTE_PGM_RSRC2:TGID_Y_EN: 0
; COMPUTE_PGM_RSRC2:TGID_Z_EN: 0
; COMPUTE_PGM_RSRC2:TIDIG_COMP_CNT: 0
	.section	.text._ZN9rocsparseL19gebsrmvn_4xn_kernelILj128ELj6ELj16E21rocsparse_complex_numIdEEEvi20rocsparse_direction_NS_24const_host_device_scalarIT2_EEPKiS8_PKS5_SA_S6_PS5_21rocsparse_index_base_b,"axG",@progbits,_ZN9rocsparseL19gebsrmvn_4xn_kernelILj128ELj6ELj16E21rocsparse_complex_numIdEEEvi20rocsparse_direction_NS_24const_host_device_scalarIT2_EEPKiS8_PKS5_SA_S6_PS5_21rocsparse_index_base_b,comdat
	.globl	_ZN9rocsparseL19gebsrmvn_4xn_kernelILj128ELj6ELj16E21rocsparse_complex_numIdEEEvi20rocsparse_direction_NS_24const_host_device_scalarIT2_EEPKiS8_PKS5_SA_S6_PS5_21rocsparse_index_base_b ; -- Begin function _ZN9rocsparseL19gebsrmvn_4xn_kernelILj128ELj6ELj16E21rocsparse_complex_numIdEEEvi20rocsparse_direction_NS_24const_host_device_scalarIT2_EEPKiS8_PKS5_SA_S6_PS5_21rocsparse_index_base_b
	.p2align	8
	.type	_ZN9rocsparseL19gebsrmvn_4xn_kernelILj128ELj6ELj16E21rocsparse_complex_numIdEEEvi20rocsparse_direction_NS_24const_host_device_scalarIT2_EEPKiS8_PKS5_SA_S6_PS5_21rocsparse_index_base_b,@function
_ZN9rocsparseL19gebsrmvn_4xn_kernelILj128ELj6ELj16E21rocsparse_complex_numIdEEEvi20rocsparse_direction_NS_24const_host_device_scalarIT2_EEPKiS8_PKS5_SA_S6_PS5_21rocsparse_index_base_b: ; @_ZN9rocsparseL19gebsrmvn_4xn_kernelILj128ELj6ELj16E21rocsparse_complex_numIdEEEvi20rocsparse_direction_NS_24const_host_device_scalarIT2_EEPKiS8_PKS5_SA_S6_PS5_21rocsparse_index_base_b
; %bb.0:
	s_clause 0x1
	s_load_b64 s[12:13], s[0:1], 0x50
	s_load_b64 s[2:3], s[0:1], 0x8
	v_mov_b32_e32 v1, 0
	s_add_nc_u64 s[4:5], s[0:1], 8
	s_load_b64 s[6:7], s[0:1], 0x38
	s_wait_kmcnt 0x0
	s_bitcmp1_b32 s13, 0
	s_cselect_b32 s3, s5, s3
	s_cselect_b32 s2, s4, s2
	flat_load_b128 v[2:5], v1, s[2:3]
	s_wait_xcnt 0x0
	s_add_nc_u64 s[2:3], s[0:1], 56
	s_delay_alu instid0(SALU_CYCLE_1)
	s_cselect_b32 s3, s3, s7
	s_cselect_b32 s2, s2, s6
	flat_load_b128 v[6:9], v1, s[2:3]
	s_wait_loadcnt_dscnt 0x101
	v_cmp_eq_f64_e32 vcc_lo, 0, v[2:3]
	s_wait_xcnt 0x0
	v_cmp_eq_f64_e64 s2, 0, v[4:5]
	s_and_b32 s4, vcc_lo, s2
	s_mov_b32 s2, -1
	s_and_saveexec_b32 s3, s4
	s_cbranch_execz .LBB133_2
; %bb.1:
	s_wait_loadcnt_dscnt 0x0
	v_cmp_neq_f64_e32 vcc_lo, 1.0, v[6:7]
	v_cmp_neq_f64_e64 s2, 0, v[8:9]
	s_or_b32 s2, vcc_lo, s2
	s_delay_alu instid0(SALU_CYCLE_1)
	s_or_not1_b32 s2, s2, exec_lo
.LBB133_2:
	s_or_b32 exec_lo, exec_lo, s3
	s_and_saveexec_b32 s3, s2
	s_cbranch_execz .LBB133_25
; %bb.3:
	s_load_b64 s[2:3], s[0:1], 0x0
	s_bfe_u32 s4, ttmp6, 0x4000c
	s_and_b32 s5, ttmp6, 15
	s_add_co_i32 s4, s4, 1
	s_getreg_b32 s6, hwreg(HW_REG_IB_STS2, 6, 4)
	s_mul_i32 s4, ttmp9, s4
	v_lshrrev_b32_e32 v1, 4, v0
	s_add_co_i32 s5, s5, s4
	s_cmp_eq_u32 s6, 0
	s_cselect_b32 s4, ttmp9, s5
	s_delay_alu instid0(VALU_DEP_1) | instid1(SALU_CYCLE_1)
	v_lshl_or_b32 v10, s4, 3, v1
	s_wait_kmcnt 0x0
	s_delay_alu instid0(VALU_DEP_1)
	v_cmp_gt_i32_e32 vcc_lo, s2, v10
	s_and_b32 exec_lo, exec_lo, vcc_lo
	s_cbranch_execz .LBB133_25
; %bb.4:
	s_load_b256 s[4:11], s[0:1], 0x18
	v_ashrrev_i32_e32 v11, 31, v10
	s_cmp_lg_u32 s3, 0
	s_wait_kmcnt 0x0
	s_delay_alu instid0(VALU_DEP_1)
	v_lshl_add_u64 v[12:13], v[10:11], 2, s[4:5]
	v_and_b32_e32 v11, 15, v0
	global_load_b64 v[12:13], v[12:13], off
	s_wait_loadcnt 0x0
	v_subrev_nc_u32_e32 v0, s12, v12
	v_subrev_nc_u32_e32 v30, s12, v13
	s_delay_alu instid0(VALU_DEP_2) | instskip(NEXT) | instid1(VALU_DEP_1)
	v_add_nc_u32_e32 v31, v0, v11
	v_cmp_lt_i32_e64 s2, v31, v30
	s_cbranch_scc0 .LBB133_12
; %bb.5:
	v_mov_b64_e32 v[0:1], 0
	v_mov_b64_e32 v[20:21], 0
	;; [unrolled: 1-line block ×8, first 2 shown]
	s_and_saveexec_b32 s3, s2
	s_cbranch_execz .LBB133_11
; %bb.6:
	v_mul_lo_u32 v26, v31, 24
	v_mov_b64_e32 v[0:1], 0
	v_mov_b64_e32 v[20:21], 0
	;; [unrolled: 1-line block ×8, first 2 shown]
	v_mov_b32_e32 v27, v31
	s_mov_b32 s4, 0
.LBB133_7:                              ; =>This Loop Header: Depth=1
                                        ;     Child Loop BB133_8 Depth 2
	global_load_b32 v28, v27, s[6:7] scale_offset
	v_mov_b32_e32 v29, v26
	s_mov_b32 s5, 0
	s_wait_loadcnt 0x0
	v_subrev_nc_u32_e32 v28, s12, v28
	s_delay_alu instid0(VALU_DEP_1)
	v_mul_lo_u32 v28, v28, 6
.LBB133_8:                              ;   Parent Loop BB133_7 Depth=1
                                        ; =>  This Inner Loop Header: Depth=2
	s_delay_alu instid0(VALU_DEP_1)
	v_dual_add_nc_u32 v56, s5, v28 :: v_dual_add_nc_u32 v72, 4, v29
	s_clause 0x3
	global_load_b128 v[32:35], v29, s[8:9] offset:48 scale_offset
	global_load_b128 v[36:39], v29, s[8:9] offset:32 scale_offset
	;; [unrolled: 1-line block ×3, first 2 shown]
	global_load_b128 v[44:47], v29, s[8:9] scale_offset
	s_clause 0x1
	global_load_b128 v[48:51], v56, s[10:11] scale_offset
	global_load_b128 v[52:55], v56, s[10:11] offset:16 scale_offset
	s_add_co_i32 s5, s5, 2
	s_clause 0x3
	global_load_b128 v[56:59], v72, s[8:9] scale_offset
	global_load_b128 v[60:63], v72, s[8:9] offset:16 scale_offset
	global_load_b128 v[64:67], v72, s[8:9] offset:32 scale_offset
	;; [unrolled: 1-line block ×3, first 2 shown]
	s_cmp_eq_u32 s5, 6
	v_add_nc_u32_e32 v29, 8, v29
	s_wait_loadcnt 0x5
	v_fmac_f64_e32 v[20:21], v[44:45], v[48:49]
	v_fmac_f64_e32 v[0:1], v[46:47], v[48:49]
	;; [unrolled: 1-line block ×8, first 2 shown]
	v_fma_f64 v[20:21], -v[46:47], v[50:51], v[20:21]
	v_fmac_f64_e32 v[0:1], v[44:45], v[50:51]
	v_fma_f64 v[24:25], -v[42:43], v[50:51], v[24:25]
	v_fmac_f64_e32 v[16:17], v[40:41], v[50:51]
	;; [unrolled: 2-line block ×4, first 2 shown]
	s_wait_loadcnt 0x3
	v_fmac_f64_e32 v[20:21], v[56:57], v[52:53]
	v_fmac_f64_e32 v[0:1], v[58:59], v[52:53]
	s_wait_loadcnt 0x2
	v_fmac_f64_e32 v[24:25], v[60:61], v[52:53]
	v_fmac_f64_e32 v[16:17], v[62:63], v[52:53]
	;; [unrolled: 3-line block ×4, first 2 shown]
	v_fma_f64 v[20:21], -v[58:59], v[54:55], v[20:21]
	v_fmac_f64_e32 v[0:1], v[56:57], v[54:55]
	v_fma_f64 v[24:25], -v[62:63], v[54:55], v[24:25]
	v_fmac_f64_e32 v[16:17], v[60:61], v[54:55]
	v_fma_f64 v[22:23], -v[66:67], v[54:55], v[22:23]
	v_fmac_f64_e32 v[14:15], v[64:65], v[54:55]
	v_fma_f64 v[18:19], -v[70:71], v[54:55], v[18:19]
	v_fmac_f64_e32 v[12:13], v[68:69], v[54:55]
	s_cbranch_scc0 .LBB133_8
; %bb.9:                                ;   in Loop: Header=BB133_7 Depth=1
	v_add_nc_u32_e32 v27, 16, v27
	v_add_nc_u32_e32 v26, 0x180, v26
	s_delay_alu instid0(VALU_DEP_2) | instskip(SKIP_1) | instid1(SALU_CYCLE_1)
	v_cmp_ge_i32_e32 vcc_lo, v27, v30
	s_or_b32 s4, vcc_lo, s4
	s_and_not1_b32 exec_lo, exec_lo, s4
	s_cbranch_execnz .LBB133_7
; %bb.10:
	s_or_b32 exec_lo, exec_lo, s4
.LBB133_11:
	s_delay_alu instid0(SALU_CYCLE_1)
	s_or_b32 exec_lo, exec_lo, s3
	s_cbranch_execz .LBB133_13
	s_branch .LBB133_20
.LBB133_12:
                                        ; implicit-def: $vgpr0_vgpr1
                                        ; implicit-def: $vgpr20_vgpr21
                                        ; implicit-def: $vgpr18_vgpr19
                                        ; implicit-def: $vgpr12_vgpr13
                                        ; implicit-def: $vgpr22_vgpr23
                                        ; implicit-def: $vgpr14_vgpr15
                                        ; implicit-def: $vgpr24_vgpr25
                                        ; implicit-def: $vgpr16_vgpr17
.LBB133_13:
	v_mov_b64_e32 v[0:1], 0
	v_mov_b64_e32 v[20:21], 0
	;; [unrolled: 1-line block ×8, first 2 shown]
	s_and_saveexec_b32 s4, s2
	s_cbranch_execz .LBB133_19
; %bb.14:
	v_mul_lo_u32 v26, v31, 24
	v_mov_b64_e32 v[0:1], 0
	v_mov_b64_e32 v[20:21], 0
	;; [unrolled: 1-line block ×8, first 2 shown]
	v_mov_b32_e32 v27, 0
	s_add_nc_u64 s[2:3], s[8:9], 16
	s_mov_b32 s5, 0
.LBB133_15:                             ; =>This Loop Header: Depth=1
                                        ;     Child Loop BB133_16 Depth 2
	global_load_b32 v28, v31, s[6:7] scale_offset
	s_mov_b32 s13, 0
	s_wait_loadcnt 0x0
	v_subrev_nc_u32_e32 v28, s12, v28
	s_delay_alu instid0(VALU_DEP_1)
	v_mul_lo_u32 v32, v28, 6
	v_lshl_add_u64 v[28:29], v[26:27], 4, s[2:3]
.LBB133_16:                             ;   Parent Loop BB133_15 Depth=1
                                        ; =>  This Inner Loop Header: Depth=2
	s_delay_alu instid0(VALU_DEP_2)
	v_dual_add_nc_u32 v33, s13, v26 :: v_dual_add_nc_u32 v74, s13, v32
	s_clause 0x1
	global_load_b128 v[34:37], v[28:29], off
	global_load_b128 v[38:41], v[28:29], off offset:-16
	s_wait_xcnt 0x0
	v_add_nc_u64_e32 v[28:29], 32, v[28:29]
	s_add_co_i32 s13, s13, 2
	v_dual_add_nc_u32 v75, 6, v33 :: v_dual_add_nc_u32 v76, 12, v33
	global_load_b128 v[42:45], v74, s[10:11] scale_offset
	v_add_nc_u32_e32 v33, 18, v33
	s_cmp_eq_u32 s13, 6
	s_clause 0x2
	global_load_b128 v[46:49], v75, s[8:9] scale_offset
	global_load_b128 v[50:53], v76, s[8:9] scale_offset
	;; [unrolled: 1-line block ×3, first 2 shown]
	global_load_b128 v[58:61], v74, s[10:11] offset:16 scale_offset
	s_clause 0x2
	global_load_b128 v[62:65], v75, s[8:9] offset:16 scale_offset
	global_load_b128 v[66:69], v76, s[8:9] offset:16 scale_offset
	;; [unrolled: 1-line block ×3, first 2 shown]
	s_wait_loadcnt 0x7
	v_fmac_f64_e32 v[20:21], v[38:39], v[42:43]
	v_fmac_f64_e32 v[0:1], v[40:41], v[42:43]
	s_wait_loadcnt 0x6
	v_fmac_f64_e32 v[24:25], v[46:47], v[42:43]
	v_fmac_f64_e32 v[16:17], v[48:49], v[42:43]
	;; [unrolled: 3-line block ×4, first 2 shown]
	v_fma_f64 v[20:21], -v[40:41], v[44:45], v[20:21]
	v_fmac_f64_e32 v[0:1], v[38:39], v[44:45]
	v_fma_f64 v[24:25], -v[48:49], v[44:45], v[24:25]
	v_fmac_f64_e32 v[16:17], v[46:47], v[44:45]
	;; [unrolled: 2-line block ×4, first 2 shown]
	s_wait_loadcnt 0x3
	v_fmac_f64_e32 v[20:21], v[34:35], v[58:59]
	v_fmac_f64_e32 v[0:1], v[36:37], v[58:59]
	s_wait_loadcnt 0x2
	v_fmac_f64_e32 v[24:25], v[62:63], v[58:59]
	v_fmac_f64_e32 v[16:17], v[64:65], v[58:59]
	;; [unrolled: 3-line block ×4, first 2 shown]
	v_fma_f64 v[20:21], -v[36:37], v[60:61], v[20:21]
	v_fmac_f64_e32 v[0:1], v[34:35], v[60:61]
	v_fma_f64 v[24:25], -v[64:65], v[60:61], v[24:25]
	v_fmac_f64_e32 v[16:17], v[62:63], v[60:61]
	;; [unrolled: 2-line block ×4, first 2 shown]
	s_cbranch_scc0 .LBB133_16
; %bb.17:                               ;   in Loop: Header=BB133_15 Depth=1
	v_add_nc_u32_e32 v31, 16, v31
	v_add_nc_u32_e32 v26, 0x180, v26
	s_delay_alu instid0(VALU_DEP_2) | instskip(SKIP_1) | instid1(SALU_CYCLE_1)
	v_cmp_ge_i32_e32 vcc_lo, v31, v30
	s_or_b32 s5, vcc_lo, s5
	s_and_not1_b32 exec_lo, exec_lo, s5
	s_cbranch_execnz .LBB133_15
; %bb.18:
	s_or_b32 exec_lo, exec_lo, s5
.LBB133_19:
	s_delay_alu instid0(SALU_CYCLE_1)
	s_or_b32 exec_lo, exec_lo, s4
.LBB133_20:
	v_mbcnt_lo_u32_b32 v44, -1, 0
	s_delay_alu instid0(VALU_DEP_1) | instskip(NEXT) | instid1(VALU_DEP_1)
	v_xor_b32_e32 v26, 8, v44
	v_cmp_gt_i32_e32 vcc_lo, 32, v26
	v_cndmask_b32_e32 v26, v44, v26, vcc_lo
	s_delay_alu instid0(VALU_DEP_1)
	v_lshlrev_b32_e32 v41, 2, v26
	ds_bpermute_b32 v28, v41, v0
	ds_bpermute_b32 v29, v41, v1
	s_wait_dscnt 0x0
	v_add_f64_e32 v[0:1], v[0:1], v[28:29]
	ds_bpermute_b32 v26, v41, v20
	ds_bpermute_b32 v27, v41, v21
	;; [unrolled: 1-line block ×14, first 2 shown]
	s_wait_dscnt 0xc
	v_dual_add_f64 v[20:21], v[20:21], v[26:27] :: v_dual_bitop2_b32 v26, 4, v44 bitop3:0x14
	s_wait_dscnt 0xa
	v_add_f64_e32 v[14:15], v[14:15], v[36:37]
	s_wait_dscnt 0x8
	v_add_f64_e32 v[24:25], v[24:25], v[30:31]
	v_cmp_gt_i32_e32 vcc_lo, 32, v26
	s_wait_dscnt 0x4
	v_add_f64_e32 v[22:23], v[22:23], v[34:35]
	v_cndmask_b32_e32 v26, v44, v26, vcc_lo
	v_add_f64_e32 v[16:17], v[16:17], v[32:33]
	s_wait_dscnt 0x0
	s_delay_alu instid0(VALU_DEP_2)
	v_dual_add_f64 v[12:13], v[12:13], v[40:41] :: v_dual_lshlrev_b32 v41, 2, v26
	ds_bpermute_b32 v28, v41, v0
	ds_bpermute_b32 v29, v41, v1
	;; [unrolled: 1-line block ×11, first 2 shown]
	s_wait_dscnt 0x7
	v_add_f64_e32 v[20:21], v[20:21], v[26:27]
	v_add_f64_e32 v[26:27], v[0:1], v[28:29]
	v_xor_b32_e32 v0, 2, v44
	ds_bpermute_b32 v34, v41, v22
	ds_bpermute_b32 v35, v41, v23
	s_wait_dscnt 0x5
	v_add_f64_e32 v[28:29], v[24:25], v[30:31]
	v_cmp_gt_i32_e32 vcc_lo, 32, v0
	v_dual_add_f64 v[18:19], v[18:19], v[38:39] :: v_dual_cndmask_b32 v0, v44, v0, vcc_lo
	s_wait_dscnt 0x3
	v_add_f64_e32 v[16:17], v[16:17], v[32:33]
	v_add_f64_e32 v[32:33], v[14:15], v[36:37]
	s_wait_dscnt 0x0
	v_dual_add_f64 v[30:31], v[22:23], v[34:35] :: v_dual_lshlrev_b32 v24, 2, v0
	ds_bpermute_b32 v0, v24, v20
	ds_bpermute_b32 v1, v24, v21
	;; [unrolled: 1-line block ×9, first 2 shown]
	s_wait_dscnt 0x7
	v_add_f64_e32 v[0:1], v[20:21], v[0:1]
	ds_bpermute_b32 v36, v24, v30
	ds_bpermute_b32 v37, v24, v31
	s_wait_dscnt 0x5
	v_add_f64_e32 v[18:19], v[18:19], v[38:39]
	s_wait_dscnt 0x4
	v_add_f64_e32 v[34:35], v[12:13], v[40:41]
	ds_bpermute_b32 v12, v24, v26
	ds_bpermute_b32 v13, v24, v27
	;; [unrolled: 1-line block ×4, first 2 shown]
	s_wait_dscnt 0x6
	v_add_f64_e32 v[22:23], v[16:17], v[22:23]
	s_wait_dscnt 0x0
	v_add_f64_e32 v[20:21], v[32:33], v[38:39]
	ds_bpermute_b32 v40, v24, v18
	ds_bpermute_b32 v41, v24, v19
	;; [unrolled: 1-line block ×4, first 2 shown]
	v_add_f64_e32 v[24:25], v[26:27], v[12:13]
	v_dual_add_f64 v[12:13], v[28:29], v[14:15] :: v_dual_bitop2_b32 v26, 1, v44 bitop3:0x14
	v_add_f64_e32 v[14:15], v[30:31], v[36:37]
	s_delay_alu instid0(VALU_DEP_2) | instskip(SKIP_3) | instid1(VALU_DEP_2)
	v_cmp_gt_i32_e32 vcc_lo, 32, v26
	v_cndmask_b32_e32 v26, v44, v26, vcc_lo
	v_cmp_eq_u32_e32 vcc_lo, 15, v11
	s_wait_dscnt 0x2
	v_dual_add_f64 v[16:17], v[18:19], v[40:41] :: v_dual_lshlrev_b32 v29, 2, v26
	s_wait_dscnt 0x0
	v_add_f64_e32 v[18:19], v[34:35], v[42:43]
	ds_bpermute_b32 v40, v29, v0
	ds_bpermute_b32 v41, v29, v1
	;; [unrolled: 1-line block ×16, first 2 shown]
	s_and_b32 exec_lo, exec_lo, vcc_lo
	s_cbranch_execz .LBB133_25
; %bb.21:
	v_cmp_eq_f64_e32 vcc_lo, 0, v[6:7]
	v_cmp_eq_f64_e64 s2, 0, v[8:9]
	s_wait_dscnt 0xe
	v_add_f64_e32 v[0:1], v[0:1], v[40:41]
	s_wait_dscnt 0x8
	v_add_f64_e32 v[24:25], v[24:25], v[38:39]
	;; [unrolled: 2-line block ×3, first 2 shown]
	v_add_f64_e32 v[22:23], v[22:23], v[34:35]
	s_wait_dscnt 0x4
	v_add_f64_e32 v[14:15], v[14:15], v[32:33]
	v_add_f64_e32 v[20:21], v[20:21], v[30:31]
	s_wait_dscnt 0x2
	v_add_f64_e32 v[16:17], v[16:17], v[26:27]
	s_wait_dscnt 0x0
	v_add_f64_e32 v[18:19], v[18:19], v[28:29]
	s_load_b64 s[0:1], s[0:1], 0x48
	s_and_b32 s2, vcc_lo, s2
	s_delay_alu instid0(SALU_CYCLE_1) | instskip(NEXT) | instid1(SALU_CYCLE_1)
	s_and_saveexec_b32 s3, s2
	s_xor_b32 s2, exec_lo, s3
	s_cbranch_execz .LBB133_23
; %bb.22:
	v_mul_f64_e64 v[6:7], v[24:25], -v[4:5]
	v_mul_f64_e32 v[8:9], v[2:3], v[24:25]
	v_mul_f64_e64 v[24:25], v[22:23], -v[4:5]
	v_mul_f64_e32 v[26:27], v[2:3], v[22:23]
	;; [unrolled: 2-line block ×4, first 2 shown]
                                        ; implicit-def: $vgpr18_vgpr19
	v_fmac_f64_e32 v[6:7], v[2:3], v[0:1]
	v_fmac_f64_e32 v[8:9], v[4:5], v[0:1]
	;; [unrolled: 1-line block ×8, first 2 shown]
	v_lshlrev_b32_e32 v0, 2, v10
                                        ; implicit-def: $vgpr10
                                        ; implicit-def: $vgpr12_vgpr13
                                        ; implicit-def: $vgpr14_vgpr15
                                        ; implicit-def: $vgpr16_vgpr17
                                        ; implicit-def: $vgpr4_vgpr5
	s_wait_kmcnt 0x0
	s_clause 0x3
	global_store_b128 v0, v[6:9], s[0:1] scale_offset
	global_store_b128 v0, v[24:27], s[0:1] offset:16 scale_offset
	global_store_b128 v0, v[28:31], s[0:1] offset:32 scale_offset
	;; [unrolled: 1-line block ×3, first 2 shown]
                                        ; implicit-def: $vgpr0_vgpr1
                                        ; implicit-def: $vgpr24_vgpr25
                                        ; implicit-def: $vgpr22_vgpr23
                                        ; implicit-def: $vgpr20_vgpr21
                                        ; implicit-def: $vgpr8_vgpr9
.LBB133_23:
	s_wait_xcnt 0x0
	s_and_not1_saveexec_b32 s2, s2
	s_cbranch_execz .LBB133_25
; %bb.24:
	v_dual_mul_f64 v[42:43], v[24:25], -v[4:5] :: v_dual_lshlrev_b32 v52, 2, v10
	v_mul_f64_e32 v[24:25], v[2:3], v[24:25]
	v_mul_f64_e64 v[46:47], v[22:23], -v[4:5]
	v_mul_f64_e32 v[44:45], v[2:3], v[22:23]
	s_wait_kmcnt 0x0
	s_clause 0x3
	global_load_b128 v[26:29], v52, s[0:1] scale_offset
	global_load_b128 v[30:33], v52, s[0:1] offset:16 scale_offset
	global_load_b128 v[34:37], v52, s[0:1] offset:32 scale_offset
	;; [unrolled: 1-line block ×3, first 2 shown]
	v_mul_f64_e64 v[48:49], v[20:21], -v[4:5]
	v_mul_f64_e32 v[20:21], v[2:3], v[20:21]
	v_mul_f64_e64 v[50:51], v[18:19], -v[4:5]
	v_mul_f64_e32 v[10:11], v[2:3], v[18:19]
	v_fmac_f64_e32 v[42:43], v[2:3], v[0:1]
	v_fmac_f64_e32 v[24:25], v[4:5], v[0:1]
	;; [unrolled: 1-line block ×8, first 2 shown]
	s_wait_loadcnt 0x3
	v_fmac_f64_e32 v[42:43], v[6:7], v[26:27]
	v_fmac_f64_e32 v[24:25], v[8:9], v[26:27]
	s_wait_loadcnt 0x2
	v_fmac_f64_e32 v[46:47], v[6:7], v[30:31]
	v_fmac_f64_e32 v[44:45], v[8:9], v[30:31]
	s_wait_loadcnt 0x1
	v_fmac_f64_e32 v[48:49], v[6:7], v[34:35]
	v_fmac_f64_e32 v[20:21], v[8:9], v[34:35]
	s_wait_loadcnt 0x0
	v_fmac_f64_e32 v[50:51], v[6:7], v[38:39]
	v_fmac_f64_e32 v[10:11], v[8:9], v[38:39]
	v_fma_f64 v[22:23], -v[8:9], v[28:29], v[42:43]
	v_fmac_f64_e32 v[24:25], v[6:7], v[28:29]
	v_fma_f64 v[42:43], -v[8:9], v[32:33], v[46:47]
	v_fmac_f64_e32 v[44:45], v[6:7], v[32:33]
	;; [unrolled: 2-line block ×4, first 2 shown]
	s_clause 0x3
	global_store_b128 v52, v[22:25], s[0:1] scale_offset
	global_store_b128 v52, v[42:45], s[0:1] offset:16 scale_offset
	global_store_b128 v52, v[18:21], s[0:1] offset:32 scale_offset
	;; [unrolled: 1-line block ×3, first 2 shown]
.LBB133_25:
	s_sendmsg sendmsg(MSG_DEALLOC_VGPRS)
	s_endpgm
	.section	.rodata,"a",@progbits
	.p2align	6, 0x0
	.amdhsa_kernel _ZN9rocsparseL19gebsrmvn_4xn_kernelILj128ELj6ELj16E21rocsparse_complex_numIdEEEvi20rocsparse_direction_NS_24const_host_device_scalarIT2_EEPKiS8_PKS5_SA_S6_PS5_21rocsparse_index_base_b
		.amdhsa_group_segment_fixed_size 0
		.amdhsa_private_segment_fixed_size 0
		.amdhsa_kernarg_size 88
		.amdhsa_user_sgpr_count 2
		.amdhsa_user_sgpr_dispatch_ptr 0
		.amdhsa_user_sgpr_queue_ptr 0
		.amdhsa_user_sgpr_kernarg_segment_ptr 1
		.amdhsa_user_sgpr_dispatch_id 0
		.amdhsa_user_sgpr_kernarg_preload_length 0
		.amdhsa_user_sgpr_kernarg_preload_offset 0
		.amdhsa_user_sgpr_private_segment_size 0
		.amdhsa_wavefront_size32 1
		.amdhsa_uses_dynamic_stack 0
		.amdhsa_enable_private_segment 0
		.amdhsa_system_sgpr_workgroup_id_x 1
		.amdhsa_system_sgpr_workgroup_id_y 0
		.amdhsa_system_sgpr_workgroup_id_z 0
		.amdhsa_system_sgpr_workgroup_info 0
		.amdhsa_system_vgpr_workitem_id 0
		.amdhsa_next_free_vgpr 77
		.amdhsa_next_free_sgpr 14
		.amdhsa_named_barrier_count 0
		.amdhsa_reserve_vcc 1
		.amdhsa_float_round_mode_32 0
		.amdhsa_float_round_mode_16_64 0
		.amdhsa_float_denorm_mode_32 3
		.amdhsa_float_denorm_mode_16_64 3
		.amdhsa_fp16_overflow 0
		.amdhsa_memory_ordered 1
		.amdhsa_forward_progress 1
		.amdhsa_inst_pref_size 22
		.amdhsa_round_robin_scheduling 0
		.amdhsa_exception_fp_ieee_invalid_op 0
		.amdhsa_exception_fp_denorm_src 0
		.amdhsa_exception_fp_ieee_div_zero 0
		.amdhsa_exception_fp_ieee_overflow 0
		.amdhsa_exception_fp_ieee_underflow 0
		.amdhsa_exception_fp_ieee_inexact 0
		.amdhsa_exception_int_div_zero 0
	.end_amdhsa_kernel
	.section	.text._ZN9rocsparseL19gebsrmvn_4xn_kernelILj128ELj6ELj16E21rocsparse_complex_numIdEEEvi20rocsparse_direction_NS_24const_host_device_scalarIT2_EEPKiS8_PKS5_SA_S6_PS5_21rocsparse_index_base_b,"axG",@progbits,_ZN9rocsparseL19gebsrmvn_4xn_kernelILj128ELj6ELj16E21rocsparse_complex_numIdEEEvi20rocsparse_direction_NS_24const_host_device_scalarIT2_EEPKiS8_PKS5_SA_S6_PS5_21rocsparse_index_base_b,comdat
.Lfunc_end133:
	.size	_ZN9rocsparseL19gebsrmvn_4xn_kernelILj128ELj6ELj16E21rocsparse_complex_numIdEEEvi20rocsparse_direction_NS_24const_host_device_scalarIT2_EEPKiS8_PKS5_SA_S6_PS5_21rocsparse_index_base_b, .Lfunc_end133-_ZN9rocsparseL19gebsrmvn_4xn_kernelILj128ELj6ELj16E21rocsparse_complex_numIdEEEvi20rocsparse_direction_NS_24const_host_device_scalarIT2_EEPKiS8_PKS5_SA_S6_PS5_21rocsparse_index_base_b
                                        ; -- End function
	.set _ZN9rocsparseL19gebsrmvn_4xn_kernelILj128ELj6ELj16E21rocsparse_complex_numIdEEEvi20rocsparse_direction_NS_24const_host_device_scalarIT2_EEPKiS8_PKS5_SA_S6_PS5_21rocsparse_index_base_b.num_vgpr, 77
	.set _ZN9rocsparseL19gebsrmvn_4xn_kernelILj128ELj6ELj16E21rocsparse_complex_numIdEEEvi20rocsparse_direction_NS_24const_host_device_scalarIT2_EEPKiS8_PKS5_SA_S6_PS5_21rocsparse_index_base_b.num_agpr, 0
	.set _ZN9rocsparseL19gebsrmvn_4xn_kernelILj128ELj6ELj16E21rocsparse_complex_numIdEEEvi20rocsparse_direction_NS_24const_host_device_scalarIT2_EEPKiS8_PKS5_SA_S6_PS5_21rocsparse_index_base_b.numbered_sgpr, 14
	.set _ZN9rocsparseL19gebsrmvn_4xn_kernelILj128ELj6ELj16E21rocsparse_complex_numIdEEEvi20rocsparse_direction_NS_24const_host_device_scalarIT2_EEPKiS8_PKS5_SA_S6_PS5_21rocsparse_index_base_b.num_named_barrier, 0
	.set _ZN9rocsparseL19gebsrmvn_4xn_kernelILj128ELj6ELj16E21rocsparse_complex_numIdEEEvi20rocsparse_direction_NS_24const_host_device_scalarIT2_EEPKiS8_PKS5_SA_S6_PS5_21rocsparse_index_base_b.private_seg_size, 0
	.set _ZN9rocsparseL19gebsrmvn_4xn_kernelILj128ELj6ELj16E21rocsparse_complex_numIdEEEvi20rocsparse_direction_NS_24const_host_device_scalarIT2_EEPKiS8_PKS5_SA_S6_PS5_21rocsparse_index_base_b.uses_vcc, 1
	.set _ZN9rocsparseL19gebsrmvn_4xn_kernelILj128ELj6ELj16E21rocsparse_complex_numIdEEEvi20rocsparse_direction_NS_24const_host_device_scalarIT2_EEPKiS8_PKS5_SA_S6_PS5_21rocsparse_index_base_b.uses_flat_scratch, 0
	.set _ZN9rocsparseL19gebsrmvn_4xn_kernelILj128ELj6ELj16E21rocsparse_complex_numIdEEEvi20rocsparse_direction_NS_24const_host_device_scalarIT2_EEPKiS8_PKS5_SA_S6_PS5_21rocsparse_index_base_b.has_dyn_sized_stack, 0
	.set _ZN9rocsparseL19gebsrmvn_4xn_kernelILj128ELj6ELj16E21rocsparse_complex_numIdEEEvi20rocsparse_direction_NS_24const_host_device_scalarIT2_EEPKiS8_PKS5_SA_S6_PS5_21rocsparse_index_base_b.has_recursion, 0
	.set _ZN9rocsparseL19gebsrmvn_4xn_kernelILj128ELj6ELj16E21rocsparse_complex_numIdEEEvi20rocsparse_direction_NS_24const_host_device_scalarIT2_EEPKiS8_PKS5_SA_S6_PS5_21rocsparse_index_base_b.has_indirect_call, 0
	.section	.AMDGPU.csdata,"",@progbits
; Kernel info:
; codeLenInByte = 2756
; TotalNumSgprs: 16
; NumVgprs: 77
; ScratchSize: 0
; MemoryBound: 0
; FloatMode: 240
; IeeeMode: 1
; LDSByteSize: 0 bytes/workgroup (compile time only)
; SGPRBlocks: 0
; VGPRBlocks: 4
; NumSGPRsForWavesPerEU: 16
; NumVGPRsForWavesPerEU: 77
; NamedBarCnt: 0
; Occupancy: 12
; WaveLimiterHint : 1
; COMPUTE_PGM_RSRC2:SCRATCH_EN: 0
; COMPUTE_PGM_RSRC2:USER_SGPR: 2
; COMPUTE_PGM_RSRC2:TRAP_HANDLER: 0
; COMPUTE_PGM_RSRC2:TGID_X_EN: 1
; COMPUTE_PGM_RSRC2:TGID_Y_EN: 0
; COMPUTE_PGM_RSRC2:TGID_Z_EN: 0
; COMPUTE_PGM_RSRC2:TIDIG_COMP_CNT: 0
	.section	.text._ZN9rocsparseL19gebsrmvn_4xn_kernelILj128ELj6ELj32E21rocsparse_complex_numIdEEEvi20rocsparse_direction_NS_24const_host_device_scalarIT2_EEPKiS8_PKS5_SA_S6_PS5_21rocsparse_index_base_b,"axG",@progbits,_ZN9rocsparseL19gebsrmvn_4xn_kernelILj128ELj6ELj32E21rocsparse_complex_numIdEEEvi20rocsparse_direction_NS_24const_host_device_scalarIT2_EEPKiS8_PKS5_SA_S6_PS5_21rocsparse_index_base_b,comdat
	.globl	_ZN9rocsparseL19gebsrmvn_4xn_kernelILj128ELj6ELj32E21rocsparse_complex_numIdEEEvi20rocsparse_direction_NS_24const_host_device_scalarIT2_EEPKiS8_PKS5_SA_S6_PS5_21rocsparse_index_base_b ; -- Begin function _ZN9rocsparseL19gebsrmvn_4xn_kernelILj128ELj6ELj32E21rocsparse_complex_numIdEEEvi20rocsparse_direction_NS_24const_host_device_scalarIT2_EEPKiS8_PKS5_SA_S6_PS5_21rocsparse_index_base_b
	.p2align	8
	.type	_ZN9rocsparseL19gebsrmvn_4xn_kernelILj128ELj6ELj32E21rocsparse_complex_numIdEEEvi20rocsparse_direction_NS_24const_host_device_scalarIT2_EEPKiS8_PKS5_SA_S6_PS5_21rocsparse_index_base_b,@function
_ZN9rocsparseL19gebsrmvn_4xn_kernelILj128ELj6ELj32E21rocsparse_complex_numIdEEEvi20rocsparse_direction_NS_24const_host_device_scalarIT2_EEPKiS8_PKS5_SA_S6_PS5_21rocsparse_index_base_b: ; @_ZN9rocsparseL19gebsrmvn_4xn_kernelILj128ELj6ELj32E21rocsparse_complex_numIdEEEvi20rocsparse_direction_NS_24const_host_device_scalarIT2_EEPKiS8_PKS5_SA_S6_PS5_21rocsparse_index_base_b
; %bb.0:
	s_clause 0x1
	s_load_b64 s[12:13], s[0:1], 0x50
	s_load_b64 s[2:3], s[0:1], 0x8
	v_mov_b32_e32 v1, 0
	s_add_nc_u64 s[4:5], s[0:1], 8
	s_load_b64 s[6:7], s[0:1], 0x38
	s_wait_kmcnt 0x0
	s_bitcmp1_b32 s13, 0
	s_cselect_b32 s3, s5, s3
	s_cselect_b32 s2, s4, s2
	flat_load_b128 v[2:5], v1, s[2:3]
	s_wait_xcnt 0x0
	s_add_nc_u64 s[2:3], s[0:1], 56
	s_delay_alu instid0(SALU_CYCLE_1)
	s_cselect_b32 s3, s3, s7
	s_cselect_b32 s2, s2, s6
	flat_load_b128 v[6:9], v1, s[2:3]
	s_wait_loadcnt_dscnt 0x101
	v_cmp_eq_f64_e32 vcc_lo, 0, v[2:3]
	s_wait_xcnt 0x0
	v_cmp_eq_f64_e64 s2, 0, v[4:5]
	s_and_b32 s4, vcc_lo, s2
	s_mov_b32 s2, -1
	s_and_saveexec_b32 s3, s4
	s_cbranch_execz .LBB134_2
; %bb.1:
	s_wait_loadcnt_dscnt 0x0
	v_cmp_neq_f64_e32 vcc_lo, 1.0, v[6:7]
	v_cmp_neq_f64_e64 s2, 0, v[8:9]
	s_or_b32 s2, vcc_lo, s2
	s_delay_alu instid0(SALU_CYCLE_1)
	s_or_not1_b32 s2, s2, exec_lo
.LBB134_2:
	s_or_b32 exec_lo, exec_lo, s3
	s_and_saveexec_b32 s3, s2
	s_cbranch_execz .LBB134_25
; %bb.3:
	s_load_b64 s[2:3], s[0:1], 0x0
	s_bfe_u32 s4, ttmp6, 0x4000c
	s_and_b32 s5, ttmp6, 15
	s_add_co_i32 s4, s4, 1
	s_getreg_b32 s6, hwreg(HW_REG_IB_STS2, 6, 4)
	s_mul_i32 s4, ttmp9, s4
	v_lshrrev_b32_e32 v1, 5, v0
	s_add_co_i32 s5, s5, s4
	s_cmp_eq_u32 s6, 0
	s_cselect_b32 s4, ttmp9, s5
	s_delay_alu instid0(VALU_DEP_1) | instid1(SALU_CYCLE_1)
	v_lshl_or_b32 v10, s4, 2, v1
	s_wait_kmcnt 0x0
	s_delay_alu instid0(VALU_DEP_1)
	v_cmp_gt_i32_e32 vcc_lo, s2, v10
	s_and_b32 exec_lo, exec_lo, vcc_lo
	s_cbranch_execz .LBB134_25
; %bb.4:
	s_load_b256 s[4:11], s[0:1], 0x18
	v_ashrrev_i32_e32 v11, 31, v10
	s_cmp_lg_u32 s3, 0
	s_wait_kmcnt 0x0
	s_delay_alu instid0(VALU_DEP_1)
	v_lshl_add_u64 v[12:13], v[10:11], 2, s[4:5]
	v_and_b32_e32 v11, 31, v0
	global_load_b64 v[12:13], v[12:13], off
	s_wait_loadcnt 0x0
	v_subrev_nc_u32_e32 v0, s12, v12
	v_subrev_nc_u32_e32 v30, s12, v13
	s_delay_alu instid0(VALU_DEP_2) | instskip(NEXT) | instid1(VALU_DEP_1)
	v_add_nc_u32_e32 v31, v0, v11
	v_cmp_lt_i32_e64 s2, v31, v30
	s_cbranch_scc0 .LBB134_12
; %bb.5:
	v_mov_b64_e32 v[0:1], 0
	v_mov_b64_e32 v[20:21], 0
	;; [unrolled: 1-line block ×8, first 2 shown]
	s_and_saveexec_b32 s3, s2
	s_cbranch_execz .LBB134_11
; %bb.6:
	v_mul_lo_u32 v26, v31, 24
	v_mov_b64_e32 v[0:1], 0
	v_mov_b64_e32 v[20:21], 0
	;; [unrolled: 1-line block ×8, first 2 shown]
	v_mov_b32_e32 v27, v31
	s_mov_b32 s4, 0
.LBB134_7:                              ; =>This Loop Header: Depth=1
                                        ;     Child Loop BB134_8 Depth 2
	global_load_b32 v28, v27, s[6:7] scale_offset
	v_mov_b32_e32 v29, v26
	s_mov_b32 s5, 0
	s_wait_loadcnt 0x0
	v_subrev_nc_u32_e32 v28, s12, v28
	s_delay_alu instid0(VALU_DEP_1)
	v_mul_lo_u32 v28, v28, 6
.LBB134_8:                              ;   Parent Loop BB134_7 Depth=1
                                        ; =>  This Inner Loop Header: Depth=2
	s_delay_alu instid0(VALU_DEP_1)
	v_dual_add_nc_u32 v56, s5, v28 :: v_dual_add_nc_u32 v72, 4, v29
	s_clause 0x3
	global_load_b128 v[32:35], v29, s[8:9] offset:48 scale_offset
	global_load_b128 v[36:39], v29, s[8:9] offset:32 scale_offset
	;; [unrolled: 1-line block ×3, first 2 shown]
	global_load_b128 v[44:47], v29, s[8:9] scale_offset
	s_clause 0x1
	global_load_b128 v[48:51], v56, s[10:11] scale_offset
	global_load_b128 v[52:55], v56, s[10:11] offset:16 scale_offset
	s_add_co_i32 s5, s5, 2
	s_clause 0x3
	global_load_b128 v[56:59], v72, s[8:9] scale_offset
	global_load_b128 v[60:63], v72, s[8:9] offset:16 scale_offset
	global_load_b128 v[64:67], v72, s[8:9] offset:32 scale_offset
	;; [unrolled: 1-line block ×3, first 2 shown]
	s_cmp_eq_u32 s5, 6
	v_add_nc_u32_e32 v29, 8, v29
	s_wait_loadcnt 0x5
	v_fmac_f64_e32 v[20:21], v[44:45], v[48:49]
	v_fmac_f64_e32 v[0:1], v[46:47], v[48:49]
	v_fmac_f64_e32 v[24:25], v[40:41], v[48:49]
	v_fmac_f64_e32 v[16:17], v[42:43], v[48:49]
	v_fmac_f64_e32 v[22:23], v[36:37], v[48:49]
	v_fmac_f64_e32 v[14:15], v[38:39], v[48:49]
	v_fmac_f64_e32 v[18:19], v[32:33], v[48:49]
	v_fmac_f64_e32 v[12:13], v[34:35], v[48:49]
	v_fma_f64 v[20:21], -v[46:47], v[50:51], v[20:21]
	v_fmac_f64_e32 v[0:1], v[44:45], v[50:51]
	v_fma_f64 v[24:25], -v[42:43], v[50:51], v[24:25]
	v_fmac_f64_e32 v[16:17], v[40:41], v[50:51]
	;; [unrolled: 2-line block ×4, first 2 shown]
	s_wait_loadcnt 0x3
	v_fmac_f64_e32 v[20:21], v[56:57], v[52:53]
	v_fmac_f64_e32 v[0:1], v[58:59], v[52:53]
	s_wait_loadcnt 0x2
	v_fmac_f64_e32 v[24:25], v[60:61], v[52:53]
	v_fmac_f64_e32 v[16:17], v[62:63], v[52:53]
	s_wait_loadcnt 0x1
	v_fmac_f64_e32 v[22:23], v[64:65], v[52:53]
	v_fmac_f64_e32 v[14:15], v[66:67], v[52:53]
	s_wait_loadcnt 0x0
	v_fmac_f64_e32 v[18:19], v[68:69], v[52:53]
	v_fmac_f64_e32 v[12:13], v[70:71], v[52:53]
	v_fma_f64 v[20:21], -v[58:59], v[54:55], v[20:21]
	v_fmac_f64_e32 v[0:1], v[56:57], v[54:55]
	v_fma_f64 v[24:25], -v[62:63], v[54:55], v[24:25]
	v_fmac_f64_e32 v[16:17], v[60:61], v[54:55]
	;; [unrolled: 2-line block ×4, first 2 shown]
	s_cbranch_scc0 .LBB134_8
; %bb.9:                                ;   in Loop: Header=BB134_7 Depth=1
	v_add_nc_u32_e32 v27, 32, v27
	v_add_nc_u32_e32 v26, 0x300, v26
	s_delay_alu instid0(VALU_DEP_2) | instskip(SKIP_1) | instid1(SALU_CYCLE_1)
	v_cmp_ge_i32_e32 vcc_lo, v27, v30
	s_or_b32 s4, vcc_lo, s4
	s_and_not1_b32 exec_lo, exec_lo, s4
	s_cbranch_execnz .LBB134_7
; %bb.10:
	s_or_b32 exec_lo, exec_lo, s4
.LBB134_11:
	s_delay_alu instid0(SALU_CYCLE_1)
	s_or_b32 exec_lo, exec_lo, s3
	s_cbranch_execz .LBB134_13
	s_branch .LBB134_20
.LBB134_12:
                                        ; implicit-def: $vgpr0_vgpr1
                                        ; implicit-def: $vgpr20_vgpr21
                                        ; implicit-def: $vgpr18_vgpr19
                                        ; implicit-def: $vgpr12_vgpr13
                                        ; implicit-def: $vgpr22_vgpr23
                                        ; implicit-def: $vgpr14_vgpr15
                                        ; implicit-def: $vgpr24_vgpr25
                                        ; implicit-def: $vgpr16_vgpr17
.LBB134_13:
	v_mov_b64_e32 v[0:1], 0
	v_mov_b64_e32 v[20:21], 0
	v_mov_b64_e32 v[18:19], 0
	v_mov_b64_e32 v[12:13], 0
	v_mov_b64_e32 v[22:23], 0
	v_mov_b64_e32 v[14:15], 0
	v_mov_b64_e32 v[24:25], 0
	v_mov_b64_e32 v[16:17], 0
	s_and_saveexec_b32 s4, s2
	s_cbranch_execz .LBB134_19
; %bb.14:
	v_mul_lo_u32 v26, v31, 24
	v_mov_b64_e32 v[0:1], 0
	v_mov_b64_e32 v[20:21], 0
	;; [unrolled: 1-line block ×8, first 2 shown]
	v_mov_b32_e32 v27, 0
	s_add_nc_u64 s[2:3], s[8:9], 16
	s_mov_b32 s5, 0
.LBB134_15:                             ; =>This Loop Header: Depth=1
                                        ;     Child Loop BB134_16 Depth 2
	global_load_b32 v28, v31, s[6:7] scale_offset
	s_mov_b32 s13, 0
	s_wait_loadcnt 0x0
	v_subrev_nc_u32_e32 v28, s12, v28
	s_delay_alu instid0(VALU_DEP_1)
	v_mul_lo_u32 v32, v28, 6
	v_lshl_add_u64 v[28:29], v[26:27], 4, s[2:3]
.LBB134_16:                             ;   Parent Loop BB134_15 Depth=1
                                        ; =>  This Inner Loop Header: Depth=2
	s_delay_alu instid0(VALU_DEP_2)
	v_dual_add_nc_u32 v33, s13, v26 :: v_dual_add_nc_u32 v74, s13, v32
	s_clause 0x1
	global_load_b128 v[34:37], v[28:29], off
	global_load_b128 v[38:41], v[28:29], off offset:-16
	s_wait_xcnt 0x0
	v_add_nc_u64_e32 v[28:29], 32, v[28:29]
	s_add_co_i32 s13, s13, 2
	v_dual_add_nc_u32 v75, 6, v33 :: v_dual_add_nc_u32 v76, 12, v33
	global_load_b128 v[42:45], v74, s[10:11] scale_offset
	v_add_nc_u32_e32 v33, 18, v33
	s_cmp_eq_u32 s13, 6
	s_clause 0x2
	global_load_b128 v[46:49], v75, s[8:9] scale_offset
	global_load_b128 v[50:53], v76, s[8:9] scale_offset
	;; [unrolled: 1-line block ×3, first 2 shown]
	global_load_b128 v[58:61], v74, s[10:11] offset:16 scale_offset
	s_clause 0x2
	global_load_b128 v[62:65], v75, s[8:9] offset:16 scale_offset
	global_load_b128 v[66:69], v76, s[8:9] offset:16 scale_offset
	;; [unrolled: 1-line block ×3, first 2 shown]
	s_wait_loadcnt 0x7
	v_fmac_f64_e32 v[20:21], v[38:39], v[42:43]
	v_fmac_f64_e32 v[0:1], v[40:41], v[42:43]
	s_wait_loadcnt 0x6
	v_fmac_f64_e32 v[24:25], v[46:47], v[42:43]
	v_fmac_f64_e32 v[16:17], v[48:49], v[42:43]
	;; [unrolled: 3-line block ×4, first 2 shown]
	v_fma_f64 v[20:21], -v[40:41], v[44:45], v[20:21]
	v_fmac_f64_e32 v[0:1], v[38:39], v[44:45]
	v_fma_f64 v[24:25], -v[48:49], v[44:45], v[24:25]
	v_fmac_f64_e32 v[16:17], v[46:47], v[44:45]
	;; [unrolled: 2-line block ×4, first 2 shown]
	s_wait_loadcnt 0x3
	v_fmac_f64_e32 v[20:21], v[34:35], v[58:59]
	v_fmac_f64_e32 v[0:1], v[36:37], v[58:59]
	s_wait_loadcnt 0x2
	v_fmac_f64_e32 v[24:25], v[62:63], v[58:59]
	v_fmac_f64_e32 v[16:17], v[64:65], v[58:59]
	;; [unrolled: 3-line block ×4, first 2 shown]
	v_fma_f64 v[20:21], -v[36:37], v[60:61], v[20:21]
	v_fmac_f64_e32 v[0:1], v[34:35], v[60:61]
	v_fma_f64 v[24:25], -v[64:65], v[60:61], v[24:25]
	v_fmac_f64_e32 v[16:17], v[62:63], v[60:61]
	;; [unrolled: 2-line block ×4, first 2 shown]
	s_cbranch_scc0 .LBB134_16
; %bb.17:                               ;   in Loop: Header=BB134_15 Depth=1
	v_add_nc_u32_e32 v31, 32, v31
	v_add_nc_u32_e32 v26, 0x300, v26
	s_delay_alu instid0(VALU_DEP_2) | instskip(SKIP_1) | instid1(SALU_CYCLE_1)
	v_cmp_ge_i32_e32 vcc_lo, v31, v30
	s_or_b32 s5, vcc_lo, s5
	s_and_not1_b32 exec_lo, exec_lo, s5
	s_cbranch_execnz .LBB134_15
; %bb.18:
	s_or_b32 exec_lo, exec_lo, s5
.LBB134_19:
	s_delay_alu instid0(SALU_CYCLE_1)
	s_or_b32 exec_lo, exec_lo, s4
.LBB134_20:
	v_mbcnt_lo_u32_b32 v44, -1, 0
	s_delay_alu instid0(VALU_DEP_1) | instskip(NEXT) | instid1(VALU_DEP_1)
	v_xor_b32_e32 v26, 16, v44
	v_cmp_gt_i32_e32 vcc_lo, 32, v26
	v_cndmask_b32_e32 v26, v44, v26, vcc_lo
	s_delay_alu instid0(VALU_DEP_1)
	v_lshlrev_b32_e32 v41, 2, v26
	ds_bpermute_b32 v28, v41, v0
	ds_bpermute_b32 v29, v41, v1
	s_wait_dscnt 0x0
	v_add_f64_e32 v[0:1], v[0:1], v[28:29]
	ds_bpermute_b32 v26, v41, v20
	ds_bpermute_b32 v27, v41, v21
	;; [unrolled: 1-line block ×14, first 2 shown]
	s_wait_dscnt 0xc
	v_dual_add_f64 v[20:21], v[20:21], v[26:27] :: v_dual_bitop2_b32 v26, 8, v44 bitop3:0x14
	s_wait_dscnt 0xa
	v_add_f64_e32 v[14:15], v[14:15], v[36:37]
	s_wait_dscnt 0x8
	v_add_f64_e32 v[24:25], v[24:25], v[30:31]
	v_cmp_gt_i32_e32 vcc_lo, 32, v26
	s_wait_dscnt 0x4
	v_add_f64_e32 v[22:23], v[22:23], v[34:35]
	s_wait_dscnt 0x2
	v_add_f64_e32 v[18:19], v[18:19], v[38:39]
	v_cndmask_b32_e32 v26, v44, v26, vcc_lo
	v_add_f64_e32 v[16:17], v[16:17], v[32:33]
	s_wait_dscnt 0x0
	s_delay_alu instid0(VALU_DEP_2)
	v_dual_add_f64 v[12:13], v[12:13], v[40:41] :: v_dual_lshlrev_b32 v41, 2, v26
	ds_bpermute_b32 v28, v41, v0
	ds_bpermute_b32 v29, v41, v1
	;; [unrolled: 1-line block ×8, first 2 shown]
	s_wait_dscnt 0x6
	v_add_f64_e32 v[0:1], v[0:1], v[28:29]
	ds_bpermute_b32 v38, v41, v18
	ds_bpermute_b32 v32, v41, v16
	;; [unrolled: 1-line block ×5, first 2 shown]
	s_wait_dscnt 0x9
	v_dual_add_f64 v[20:21], v[20:21], v[26:27] :: v_dual_bitop2_b32 v26, 4, v44 bitop3:0x14
	ds_bpermute_b32 v34, v41, v22
	ds_bpermute_b32 v35, v41, v23
	;; [unrolled: 1-line block ×3, first 2 shown]
	s_wait_dscnt 0xa
	v_add_f64_e32 v[14:15], v[14:15], v[36:37]
	v_cmp_gt_i32_e32 vcc_lo, 32, v26
	s_wait_dscnt 0x8
	v_add_f64_e32 v[24:25], v[24:25], v[30:31]
	v_cndmask_b32_e32 v26, v44, v26, vcc_lo
	s_wait_dscnt 0x5
	v_add_f64_e32 v[16:17], v[16:17], v[32:33]
	s_wait_dscnt 0x0
	s_delay_alu instid0(VALU_DEP_2)
	v_dual_add_f64 v[12:13], v[12:13], v[40:41] :: v_dual_lshlrev_b32 v41, 2, v26
	ds_bpermute_b32 v28, v41, v0
	ds_bpermute_b32 v29, v41, v1
	;; [unrolled: 1-line block ×10, first 2 shown]
	s_wait_dscnt 0x6
	v_add_f64_e32 v[20:21], v[20:21], v[26:27]
	v_add_f64_e32 v[26:27], v[0:1], v[28:29]
	v_dual_add_f64 v[18:19], v[18:19], v[38:39] :: v_dual_bitop2_b32 v0, 2, v44 bitop3:0x14
	ds_bpermute_b32 v40, v41, v12
	v_cmp_gt_i32_e32 vcc_lo, 32, v0
	v_add_f64_e32 v[22:23], v[22:23], v[34:35]
	s_wait_dscnt 0x3
	v_add_f64_e32 v[28:29], v[24:25], v[30:31]
	v_cndmask_b32_e32 v0, v44, v0, vcc_lo
	s_wait_dscnt 0x1
	v_add_f64_e32 v[16:17], v[16:17], v[32:33]
	v_add_f64_e32 v[32:33], v[14:15], v[36:37]
	s_delay_alu instid0(VALU_DEP_3)
	v_lshlrev_b32_e32 v24, 2, v0
	ds_bpermute_b32 v0, v24, v20
	ds_bpermute_b32 v1, v24, v21
	;; [unrolled: 1-line block ×9, first 2 shown]
	s_wait_dscnt 0x7
	v_add_f64_e32 v[0:1], v[20:21], v[0:1]
	s_wait_dscnt 0x5
	v_add_f64_e32 v[18:19], v[18:19], v[38:39]
	ds_bpermute_b32 v38, v24, v32
	ds_bpermute_b32 v39, v24, v33
	s_wait_dscnt 0x5
	v_add_f64_e32 v[30:31], v[22:23], v[34:35]
	s_wait_dscnt 0x4
	v_add_f64_e32 v[34:35], v[12:13], v[40:41]
	ds_bpermute_b32 v12, v24, v26
	ds_bpermute_b32 v13, v24, v27
	;; [unrolled: 1-line block ×4, first 2 shown]
	s_wait_dscnt 0x4
	v_add_f64_e32 v[20:21], v[32:33], v[38:39]
	s_wait_dscnt 0x0
	v_add_f64_e32 v[22:23], v[16:17], v[22:23]
	ds_bpermute_b32 v40, v24, v18
	ds_bpermute_b32 v41, v24, v19
	;; [unrolled: 1-line block ×6, first 2 shown]
	v_add_f64_e32 v[24:25], v[26:27], v[12:13]
	v_dual_add_f64 v[12:13], v[28:29], v[14:15] :: v_dual_bitop2_b32 v26, 1, v44 bitop3:0x14
	s_delay_alu instid0(VALU_DEP_1) | instskip(SKIP_4) | instid1(VALU_DEP_2)
	v_cmp_gt_i32_e32 vcc_lo, 32, v26
	s_wait_dscnt 0x4
	v_dual_add_f64 v[16:17], v[18:19], v[40:41] :: v_dual_cndmask_b32 v26, v44, v26, vcc_lo
	v_cmp_eq_u32_e32 vcc_lo, 31, v11
	s_wait_dscnt 0x2
	v_dual_add_f64 v[14:15], v[30:31], v[36:37] :: v_dual_lshlrev_b32 v29, 2, v26
	s_wait_dscnt 0x0
	v_add_f64_e32 v[18:19], v[34:35], v[42:43]
	ds_bpermute_b32 v40, v29, v0
	ds_bpermute_b32 v41, v29, v1
	;; [unrolled: 1-line block ×16, first 2 shown]
	s_and_b32 exec_lo, exec_lo, vcc_lo
	s_cbranch_execz .LBB134_25
; %bb.21:
	v_cmp_eq_f64_e32 vcc_lo, 0, v[6:7]
	v_cmp_eq_f64_e64 s2, 0, v[8:9]
	s_wait_dscnt 0xe
	v_add_f64_e32 v[0:1], v[0:1], v[40:41]
	s_wait_dscnt 0x8
	v_add_f64_e32 v[24:25], v[24:25], v[38:39]
	;; [unrolled: 2-line block ×3, first 2 shown]
	v_add_f64_e32 v[22:23], v[22:23], v[34:35]
	s_wait_dscnt 0x2
	v_add_f64_e32 v[14:15], v[14:15], v[32:33]
	v_add_f64_e32 v[20:21], v[20:21], v[30:31]
	;; [unrolled: 1-line block ×3, first 2 shown]
	s_wait_dscnt 0x0
	v_add_f64_e32 v[18:19], v[18:19], v[28:29]
	s_load_b64 s[0:1], s[0:1], 0x48
	s_and_b32 s2, vcc_lo, s2
	s_delay_alu instid0(SALU_CYCLE_1) | instskip(NEXT) | instid1(SALU_CYCLE_1)
	s_and_saveexec_b32 s3, s2
	s_xor_b32 s2, exec_lo, s3
	s_cbranch_execz .LBB134_23
; %bb.22:
	v_mul_f64_e64 v[6:7], v[24:25], -v[4:5]
	v_mul_f64_e32 v[8:9], v[2:3], v[24:25]
	v_mul_f64_e64 v[24:25], v[22:23], -v[4:5]
	v_mul_f64_e32 v[26:27], v[2:3], v[22:23]
	;; [unrolled: 2-line block ×4, first 2 shown]
                                        ; implicit-def: $vgpr18_vgpr19
	v_fmac_f64_e32 v[6:7], v[2:3], v[0:1]
	v_fmac_f64_e32 v[8:9], v[4:5], v[0:1]
	;; [unrolled: 1-line block ×8, first 2 shown]
	v_lshlrev_b32_e32 v0, 2, v10
                                        ; implicit-def: $vgpr10
                                        ; implicit-def: $vgpr12_vgpr13
                                        ; implicit-def: $vgpr14_vgpr15
                                        ; implicit-def: $vgpr16_vgpr17
                                        ; implicit-def: $vgpr4_vgpr5
	s_wait_kmcnt 0x0
	s_clause 0x3
	global_store_b128 v0, v[6:9], s[0:1] scale_offset
	global_store_b128 v0, v[24:27], s[0:1] offset:16 scale_offset
	global_store_b128 v0, v[28:31], s[0:1] offset:32 scale_offset
	;; [unrolled: 1-line block ×3, first 2 shown]
                                        ; implicit-def: $vgpr0_vgpr1
                                        ; implicit-def: $vgpr24_vgpr25
                                        ; implicit-def: $vgpr22_vgpr23
                                        ; implicit-def: $vgpr20_vgpr21
                                        ; implicit-def: $vgpr8_vgpr9
.LBB134_23:
	s_wait_xcnt 0x0
	s_and_not1_saveexec_b32 s2, s2
	s_cbranch_execz .LBB134_25
; %bb.24:
	v_dual_mul_f64 v[42:43], v[24:25], -v[4:5] :: v_dual_lshlrev_b32 v52, 2, v10
	v_mul_f64_e32 v[24:25], v[2:3], v[24:25]
	v_mul_f64_e64 v[46:47], v[22:23], -v[4:5]
	v_mul_f64_e32 v[44:45], v[2:3], v[22:23]
	s_wait_kmcnt 0x0
	s_clause 0x3
	global_load_b128 v[26:29], v52, s[0:1] scale_offset
	global_load_b128 v[30:33], v52, s[0:1] offset:16 scale_offset
	global_load_b128 v[34:37], v52, s[0:1] offset:32 scale_offset
	;; [unrolled: 1-line block ×3, first 2 shown]
	v_mul_f64_e64 v[48:49], v[20:21], -v[4:5]
	v_mul_f64_e32 v[20:21], v[2:3], v[20:21]
	v_mul_f64_e64 v[50:51], v[18:19], -v[4:5]
	v_mul_f64_e32 v[10:11], v[2:3], v[18:19]
	v_fmac_f64_e32 v[42:43], v[2:3], v[0:1]
	v_fmac_f64_e32 v[24:25], v[4:5], v[0:1]
	;; [unrolled: 1-line block ×8, first 2 shown]
	s_wait_loadcnt 0x3
	v_fmac_f64_e32 v[42:43], v[6:7], v[26:27]
	v_fmac_f64_e32 v[24:25], v[8:9], v[26:27]
	s_wait_loadcnt 0x2
	v_fmac_f64_e32 v[46:47], v[6:7], v[30:31]
	v_fmac_f64_e32 v[44:45], v[8:9], v[30:31]
	;; [unrolled: 3-line block ×4, first 2 shown]
	v_fma_f64 v[22:23], -v[8:9], v[28:29], v[42:43]
	v_fmac_f64_e32 v[24:25], v[6:7], v[28:29]
	v_fma_f64 v[42:43], -v[8:9], v[32:33], v[46:47]
	v_fmac_f64_e32 v[44:45], v[6:7], v[32:33]
	;; [unrolled: 2-line block ×4, first 2 shown]
	s_clause 0x3
	global_store_b128 v52, v[22:25], s[0:1] scale_offset
	global_store_b128 v52, v[42:45], s[0:1] offset:16 scale_offset
	global_store_b128 v52, v[18:21], s[0:1] offset:32 scale_offset
	;; [unrolled: 1-line block ×3, first 2 shown]
.LBB134_25:
	s_sendmsg sendmsg(MSG_DEALLOC_VGPRS)
	s_endpgm
	.section	.rodata,"a",@progbits
	.p2align	6, 0x0
	.amdhsa_kernel _ZN9rocsparseL19gebsrmvn_4xn_kernelILj128ELj6ELj32E21rocsparse_complex_numIdEEEvi20rocsparse_direction_NS_24const_host_device_scalarIT2_EEPKiS8_PKS5_SA_S6_PS5_21rocsparse_index_base_b
		.amdhsa_group_segment_fixed_size 0
		.amdhsa_private_segment_fixed_size 0
		.amdhsa_kernarg_size 88
		.amdhsa_user_sgpr_count 2
		.amdhsa_user_sgpr_dispatch_ptr 0
		.amdhsa_user_sgpr_queue_ptr 0
		.amdhsa_user_sgpr_kernarg_segment_ptr 1
		.amdhsa_user_sgpr_dispatch_id 0
		.amdhsa_user_sgpr_kernarg_preload_length 0
		.amdhsa_user_sgpr_kernarg_preload_offset 0
		.amdhsa_user_sgpr_private_segment_size 0
		.amdhsa_wavefront_size32 1
		.amdhsa_uses_dynamic_stack 0
		.amdhsa_enable_private_segment 0
		.amdhsa_system_sgpr_workgroup_id_x 1
		.amdhsa_system_sgpr_workgroup_id_y 0
		.amdhsa_system_sgpr_workgroup_id_z 0
		.amdhsa_system_sgpr_workgroup_info 0
		.amdhsa_system_vgpr_workitem_id 0
		.amdhsa_next_free_vgpr 77
		.amdhsa_next_free_sgpr 14
		.amdhsa_named_barrier_count 0
		.amdhsa_reserve_vcc 1
		.amdhsa_float_round_mode_32 0
		.amdhsa_float_round_mode_16_64 0
		.amdhsa_float_denorm_mode_32 3
		.amdhsa_float_denorm_mode_16_64 3
		.amdhsa_fp16_overflow 0
		.amdhsa_memory_ordered 1
		.amdhsa_forward_progress 1
		.amdhsa_inst_pref_size 24
		.amdhsa_round_robin_scheduling 0
		.amdhsa_exception_fp_ieee_invalid_op 0
		.amdhsa_exception_fp_denorm_src 0
		.amdhsa_exception_fp_ieee_div_zero 0
		.amdhsa_exception_fp_ieee_overflow 0
		.amdhsa_exception_fp_ieee_underflow 0
		.amdhsa_exception_fp_ieee_inexact 0
		.amdhsa_exception_int_div_zero 0
	.end_amdhsa_kernel
	.section	.text._ZN9rocsparseL19gebsrmvn_4xn_kernelILj128ELj6ELj32E21rocsparse_complex_numIdEEEvi20rocsparse_direction_NS_24const_host_device_scalarIT2_EEPKiS8_PKS5_SA_S6_PS5_21rocsparse_index_base_b,"axG",@progbits,_ZN9rocsparseL19gebsrmvn_4xn_kernelILj128ELj6ELj32E21rocsparse_complex_numIdEEEvi20rocsparse_direction_NS_24const_host_device_scalarIT2_EEPKiS8_PKS5_SA_S6_PS5_21rocsparse_index_base_b,comdat
.Lfunc_end134:
	.size	_ZN9rocsparseL19gebsrmvn_4xn_kernelILj128ELj6ELj32E21rocsparse_complex_numIdEEEvi20rocsparse_direction_NS_24const_host_device_scalarIT2_EEPKiS8_PKS5_SA_S6_PS5_21rocsparse_index_base_b, .Lfunc_end134-_ZN9rocsparseL19gebsrmvn_4xn_kernelILj128ELj6ELj32E21rocsparse_complex_numIdEEEvi20rocsparse_direction_NS_24const_host_device_scalarIT2_EEPKiS8_PKS5_SA_S6_PS5_21rocsparse_index_base_b
                                        ; -- End function
	.set _ZN9rocsparseL19gebsrmvn_4xn_kernelILj128ELj6ELj32E21rocsparse_complex_numIdEEEvi20rocsparse_direction_NS_24const_host_device_scalarIT2_EEPKiS8_PKS5_SA_S6_PS5_21rocsparse_index_base_b.num_vgpr, 77
	.set _ZN9rocsparseL19gebsrmvn_4xn_kernelILj128ELj6ELj32E21rocsparse_complex_numIdEEEvi20rocsparse_direction_NS_24const_host_device_scalarIT2_EEPKiS8_PKS5_SA_S6_PS5_21rocsparse_index_base_b.num_agpr, 0
	.set _ZN9rocsparseL19gebsrmvn_4xn_kernelILj128ELj6ELj32E21rocsparse_complex_numIdEEEvi20rocsparse_direction_NS_24const_host_device_scalarIT2_EEPKiS8_PKS5_SA_S6_PS5_21rocsparse_index_base_b.numbered_sgpr, 14
	.set _ZN9rocsparseL19gebsrmvn_4xn_kernelILj128ELj6ELj32E21rocsparse_complex_numIdEEEvi20rocsparse_direction_NS_24const_host_device_scalarIT2_EEPKiS8_PKS5_SA_S6_PS5_21rocsparse_index_base_b.num_named_barrier, 0
	.set _ZN9rocsparseL19gebsrmvn_4xn_kernelILj128ELj6ELj32E21rocsparse_complex_numIdEEEvi20rocsparse_direction_NS_24const_host_device_scalarIT2_EEPKiS8_PKS5_SA_S6_PS5_21rocsparse_index_base_b.private_seg_size, 0
	.set _ZN9rocsparseL19gebsrmvn_4xn_kernelILj128ELj6ELj32E21rocsparse_complex_numIdEEEvi20rocsparse_direction_NS_24const_host_device_scalarIT2_EEPKiS8_PKS5_SA_S6_PS5_21rocsparse_index_base_b.uses_vcc, 1
	.set _ZN9rocsparseL19gebsrmvn_4xn_kernelILj128ELj6ELj32E21rocsparse_complex_numIdEEEvi20rocsparse_direction_NS_24const_host_device_scalarIT2_EEPKiS8_PKS5_SA_S6_PS5_21rocsparse_index_base_b.uses_flat_scratch, 0
	.set _ZN9rocsparseL19gebsrmvn_4xn_kernelILj128ELj6ELj32E21rocsparse_complex_numIdEEEvi20rocsparse_direction_NS_24const_host_device_scalarIT2_EEPKiS8_PKS5_SA_S6_PS5_21rocsparse_index_base_b.has_dyn_sized_stack, 0
	.set _ZN9rocsparseL19gebsrmvn_4xn_kernelILj128ELj6ELj32E21rocsparse_complex_numIdEEEvi20rocsparse_direction_NS_24const_host_device_scalarIT2_EEPKiS8_PKS5_SA_S6_PS5_21rocsparse_index_base_b.has_recursion, 0
	.set _ZN9rocsparseL19gebsrmvn_4xn_kernelILj128ELj6ELj32E21rocsparse_complex_numIdEEEvi20rocsparse_direction_NS_24const_host_device_scalarIT2_EEPKiS8_PKS5_SA_S6_PS5_21rocsparse_index_base_b.has_indirect_call, 0
	.section	.AMDGPU.csdata,"",@progbits
; Kernel info:
; codeLenInByte = 2976
; TotalNumSgprs: 16
; NumVgprs: 77
; ScratchSize: 0
; MemoryBound: 0
; FloatMode: 240
; IeeeMode: 1
; LDSByteSize: 0 bytes/workgroup (compile time only)
; SGPRBlocks: 0
; VGPRBlocks: 4
; NumSGPRsForWavesPerEU: 16
; NumVGPRsForWavesPerEU: 77
; NamedBarCnt: 0
; Occupancy: 12
; WaveLimiterHint : 1
; COMPUTE_PGM_RSRC2:SCRATCH_EN: 0
; COMPUTE_PGM_RSRC2:USER_SGPR: 2
; COMPUTE_PGM_RSRC2:TRAP_HANDLER: 0
; COMPUTE_PGM_RSRC2:TGID_X_EN: 1
; COMPUTE_PGM_RSRC2:TGID_Y_EN: 0
; COMPUTE_PGM_RSRC2:TGID_Z_EN: 0
; COMPUTE_PGM_RSRC2:TIDIG_COMP_CNT: 0
	.section	.text._ZN9rocsparseL19gebsrmvn_4xn_kernelILj128ELj6ELj64E21rocsparse_complex_numIdEEEvi20rocsparse_direction_NS_24const_host_device_scalarIT2_EEPKiS8_PKS5_SA_S6_PS5_21rocsparse_index_base_b,"axG",@progbits,_ZN9rocsparseL19gebsrmvn_4xn_kernelILj128ELj6ELj64E21rocsparse_complex_numIdEEEvi20rocsparse_direction_NS_24const_host_device_scalarIT2_EEPKiS8_PKS5_SA_S6_PS5_21rocsparse_index_base_b,comdat
	.globl	_ZN9rocsparseL19gebsrmvn_4xn_kernelILj128ELj6ELj64E21rocsparse_complex_numIdEEEvi20rocsparse_direction_NS_24const_host_device_scalarIT2_EEPKiS8_PKS5_SA_S6_PS5_21rocsparse_index_base_b ; -- Begin function _ZN9rocsparseL19gebsrmvn_4xn_kernelILj128ELj6ELj64E21rocsparse_complex_numIdEEEvi20rocsparse_direction_NS_24const_host_device_scalarIT2_EEPKiS8_PKS5_SA_S6_PS5_21rocsparse_index_base_b
	.p2align	8
	.type	_ZN9rocsparseL19gebsrmvn_4xn_kernelILj128ELj6ELj64E21rocsparse_complex_numIdEEEvi20rocsparse_direction_NS_24const_host_device_scalarIT2_EEPKiS8_PKS5_SA_S6_PS5_21rocsparse_index_base_b,@function
_ZN9rocsparseL19gebsrmvn_4xn_kernelILj128ELj6ELj64E21rocsparse_complex_numIdEEEvi20rocsparse_direction_NS_24const_host_device_scalarIT2_EEPKiS8_PKS5_SA_S6_PS5_21rocsparse_index_base_b: ; @_ZN9rocsparseL19gebsrmvn_4xn_kernelILj128ELj6ELj64E21rocsparse_complex_numIdEEEvi20rocsparse_direction_NS_24const_host_device_scalarIT2_EEPKiS8_PKS5_SA_S6_PS5_21rocsparse_index_base_b
; %bb.0:
	s_clause 0x1
	s_load_b64 s[12:13], s[0:1], 0x50
	s_load_b64 s[2:3], s[0:1], 0x8
	v_mov_b32_e32 v1, 0
	s_add_nc_u64 s[4:5], s[0:1], 8
	s_load_b64 s[6:7], s[0:1], 0x38
	s_wait_kmcnt 0x0
	s_bitcmp1_b32 s13, 0
	s_cselect_b32 s3, s5, s3
	s_cselect_b32 s2, s4, s2
	flat_load_b128 v[2:5], v1, s[2:3]
	s_wait_xcnt 0x0
	s_add_nc_u64 s[2:3], s[0:1], 56
	s_delay_alu instid0(SALU_CYCLE_1)
	s_cselect_b32 s3, s3, s7
	s_cselect_b32 s2, s2, s6
	flat_load_b128 v[6:9], v1, s[2:3]
	s_wait_loadcnt_dscnt 0x101
	v_cmp_eq_f64_e32 vcc_lo, 0, v[2:3]
	s_wait_xcnt 0x0
	v_cmp_eq_f64_e64 s2, 0, v[4:5]
	s_and_b32 s4, vcc_lo, s2
	s_mov_b32 s2, -1
	s_and_saveexec_b32 s3, s4
	s_cbranch_execz .LBB135_2
; %bb.1:
	s_wait_loadcnt_dscnt 0x0
	v_cmp_neq_f64_e32 vcc_lo, 1.0, v[6:7]
	v_cmp_neq_f64_e64 s2, 0, v[8:9]
	s_or_b32 s2, vcc_lo, s2
	s_delay_alu instid0(SALU_CYCLE_1)
	s_or_not1_b32 s2, s2, exec_lo
.LBB135_2:
	s_or_b32 exec_lo, exec_lo, s3
	s_and_saveexec_b32 s3, s2
	s_cbranch_execz .LBB135_25
; %bb.3:
	s_load_b64 s[2:3], s[0:1], 0x0
	s_bfe_u32 s4, ttmp6, 0x4000c
	s_and_b32 s5, ttmp6, 15
	s_add_co_i32 s4, s4, 1
	s_getreg_b32 s6, hwreg(HW_REG_IB_STS2, 6, 4)
	s_mul_i32 s4, ttmp9, s4
	v_lshrrev_b32_e32 v1, 6, v0
	s_add_co_i32 s5, s5, s4
	s_cmp_eq_u32 s6, 0
	s_cselect_b32 s4, ttmp9, s5
	s_delay_alu instid0(VALU_DEP_1) | instid1(SALU_CYCLE_1)
	v_lshl_or_b32 v10, s4, 1, v1
	s_wait_kmcnt 0x0
	s_delay_alu instid0(VALU_DEP_1)
	v_cmp_gt_i32_e32 vcc_lo, s2, v10
	s_and_b32 exec_lo, exec_lo, vcc_lo
	s_cbranch_execz .LBB135_25
; %bb.4:
	s_load_b256 s[4:11], s[0:1], 0x18
	v_ashrrev_i32_e32 v11, 31, v10
	s_cmp_lg_u32 s3, 0
	s_wait_kmcnt 0x0
	s_delay_alu instid0(VALU_DEP_1)
	v_lshl_add_u64 v[12:13], v[10:11], 2, s[4:5]
	v_and_b32_e32 v11, 63, v0
	global_load_b64 v[12:13], v[12:13], off
	s_wait_loadcnt 0x0
	v_subrev_nc_u32_e32 v0, s12, v12
	v_subrev_nc_u32_e32 v30, s12, v13
	s_delay_alu instid0(VALU_DEP_2) | instskip(NEXT) | instid1(VALU_DEP_1)
	v_add_nc_u32_e32 v31, v0, v11
	v_cmp_lt_i32_e64 s2, v31, v30
	s_cbranch_scc0 .LBB135_12
; %bb.5:
	v_mov_b64_e32 v[0:1], 0
	v_mov_b64_e32 v[20:21], 0
	;; [unrolled: 1-line block ×8, first 2 shown]
	s_and_saveexec_b32 s3, s2
	s_cbranch_execz .LBB135_11
; %bb.6:
	v_mul_lo_u32 v26, v31, 24
	v_mov_b64_e32 v[0:1], 0
	v_mov_b64_e32 v[20:21], 0
	;; [unrolled: 1-line block ×8, first 2 shown]
	v_mov_b32_e32 v27, v31
	s_mov_b32 s4, 0
.LBB135_7:                              ; =>This Loop Header: Depth=1
                                        ;     Child Loop BB135_8 Depth 2
	global_load_b32 v28, v27, s[6:7] scale_offset
	v_mov_b32_e32 v29, v26
	s_mov_b32 s5, 0
	s_wait_loadcnt 0x0
	v_subrev_nc_u32_e32 v28, s12, v28
	s_delay_alu instid0(VALU_DEP_1)
	v_mul_lo_u32 v28, v28, 6
.LBB135_8:                              ;   Parent Loop BB135_7 Depth=1
                                        ; =>  This Inner Loop Header: Depth=2
	s_delay_alu instid0(VALU_DEP_1)
	v_dual_add_nc_u32 v56, s5, v28 :: v_dual_add_nc_u32 v72, 4, v29
	s_clause 0x3
	global_load_b128 v[32:35], v29, s[8:9] offset:48 scale_offset
	global_load_b128 v[36:39], v29, s[8:9] offset:32 scale_offset
	global_load_b128 v[40:43], v29, s[8:9] offset:16 scale_offset
	global_load_b128 v[44:47], v29, s[8:9] scale_offset
	s_clause 0x1
	global_load_b128 v[48:51], v56, s[10:11] scale_offset
	global_load_b128 v[52:55], v56, s[10:11] offset:16 scale_offset
	s_add_co_i32 s5, s5, 2
	s_clause 0x3
	global_load_b128 v[56:59], v72, s[8:9] scale_offset
	global_load_b128 v[60:63], v72, s[8:9] offset:16 scale_offset
	global_load_b128 v[64:67], v72, s[8:9] offset:32 scale_offset
	global_load_b128 v[68:71], v72, s[8:9] offset:48 scale_offset
	s_cmp_eq_u32 s5, 6
	v_add_nc_u32_e32 v29, 8, v29
	s_wait_loadcnt 0x5
	v_fmac_f64_e32 v[20:21], v[44:45], v[48:49]
	v_fmac_f64_e32 v[0:1], v[46:47], v[48:49]
	;; [unrolled: 1-line block ×8, first 2 shown]
	v_fma_f64 v[20:21], -v[46:47], v[50:51], v[20:21]
	v_fmac_f64_e32 v[0:1], v[44:45], v[50:51]
	v_fma_f64 v[24:25], -v[42:43], v[50:51], v[24:25]
	v_fmac_f64_e32 v[16:17], v[40:41], v[50:51]
	;; [unrolled: 2-line block ×4, first 2 shown]
	s_wait_loadcnt 0x3
	v_fmac_f64_e32 v[20:21], v[56:57], v[52:53]
	v_fmac_f64_e32 v[0:1], v[58:59], v[52:53]
	s_wait_loadcnt 0x2
	v_fmac_f64_e32 v[24:25], v[60:61], v[52:53]
	v_fmac_f64_e32 v[16:17], v[62:63], v[52:53]
	;; [unrolled: 3-line block ×4, first 2 shown]
	v_fma_f64 v[20:21], -v[58:59], v[54:55], v[20:21]
	v_fmac_f64_e32 v[0:1], v[56:57], v[54:55]
	v_fma_f64 v[24:25], -v[62:63], v[54:55], v[24:25]
	v_fmac_f64_e32 v[16:17], v[60:61], v[54:55]
	;; [unrolled: 2-line block ×4, first 2 shown]
	s_cbranch_scc0 .LBB135_8
; %bb.9:                                ;   in Loop: Header=BB135_7 Depth=1
	v_add_nc_u32_e32 v27, 64, v27
	v_add_nc_u32_e32 v26, 0x600, v26
	s_delay_alu instid0(VALU_DEP_2) | instskip(SKIP_1) | instid1(SALU_CYCLE_1)
	v_cmp_ge_i32_e32 vcc_lo, v27, v30
	s_or_b32 s4, vcc_lo, s4
	s_and_not1_b32 exec_lo, exec_lo, s4
	s_cbranch_execnz .LBB135_7
; %bb.10:
	s_or_b32 exec_lo, exec_lo, s4
.LBB135_11:
	s_delay_alu instid0(SALU_CYCLE_1)
	s_or_b32 exec_lo, exec_lo, s3
	s_cbranch_execz .LBB135_13
	s_branch .LBB135_20
.LBB135_12:
                                        ; implicit-def: $vgpr0_vgpr1
                                        ; implicit-def: $vgpr20_vgpr21
                                        ; implicit-def: $vgpr18_vgpr19
                                        ; implicit-def: $vgpr12_vgpr13
                                        ; implicit-def: $vgpr22_vgpr23
                                        ; implicit-def: $vgpr14_vgpr15
                                        ; implicit-def: $vgpr24_vgpr25
                                        ; implicit-def: $vgpr16_vgpr17
.LBB135_13:
	v_mov_b64_e32 v[0:1], 0
	v_mov_b64_e32 v[20:21], 0
	;; [unrolled: 1-line block ×8, first 2 shown]
	s_and_saveexec_b32 s4, s2
	s_cbranch_execz .LBB135_19
; %bb.14:
	v_mul_lo_u32 v26, v31, 24
	v_mov_b64_e32 v[0:1], 0
	v_mov_b64_e32 v[20:21], 0
	;; [unrolled: 1-line block ×8, first 2 shown]
	v_mov_b32_e32 v27, 0
	s_add_nc_u64 s[2:3], s[8:9], 16
	s_mov_b32 s5, 0
.LBB135_15:                             ; =>This Loop Header: Depth=1
                                        ;     Child Loop BB135_16 Depth 2
	global_load_b32 v28, v31, s[6:7] scale_offset
	s_mov_b32 s13, 0
	s_wait_loadcnt 0x0
	v_subrev_nc_u32_e32 v28, s12, v28
	s_delay_alu instid0(VALU_DEP_1)
	v_mul_lo_u32 v32, v28, 6
	v_lshl_add_u64 v[28:29], v[26:27], 4, s[2:3]
.LBB135_16:                             ;   Parent Loop BB135_15 Depth=1
                                        ; =>  This Inner Loop Header: Depth=2
	s_delay_alu instid0(VALU_DEP_2)
	v_dual_add_nc_u32 v33, s13, v26 :: v_dual_add_nc_u32 v74, s13, v32
	s_clause 0x1
	global_load_b128 v[34:37], v[28:29], off
	global_load_b128 v[38:41], v[28:29], off offset:-16
	s_wait_xcnt 0x0
	v_add_nc_u64_e32 v[28:29], 32, v[28:29]
	s_add_co_i32 s13, s13, 2
	v_dual_add_nc_u32 v75, 6, v33 :: v_dual_add_nc_u32 v76, 12, v33
	global_load_b128 v[42:45], v74, s[10:11] scale_offset
	v_add_nc_u32_e32 v33, 18, v33
	s_cmp_eq_u32 s13, 6
	s_clause 0x2
	global_load_b128 v[46:49], v75, s[8:9] scale_offset
	global_load_b128 v[50:53], v76, s[8:9] scale_offset
	;; [unrolled: 1-line block ×3, first 2 shown]
	global_load_b128 v[58:61], v74, s[10:11] offset:16 scale_offset
	s_clause 0x2
	global_load_b128 v[62:65], v75, s[8:9] offset:16 scale_offset
	global_load_b128 v[66:69], v76, s[8:9] offset:16 scale_offset
	;; [unrolled: 1-line block ×3, first 2 shown]
	s_wait_loadcnt 0x7
	v_fmac_f64_e32 v[20:21], v[38:39], v[42:43]
	v_fmac_f64_e32 v[0:1], v[40:41], v[42:43]
	s_wait_loadcnt 0x6
	v_fmac_f64_e32 v[24:25], v[46:47], v[42:43]
	v_fmac_f64_e32 v[16:17], v[48:49], v[42:43]
	;; [unrolled: 3-line block ×4, first 2 shown]
	v_fma_f64 v[20:21], -v[40:41], v[44:45], v[20:21]
	v_fmac_f64_e32 v[0:1], v[38:39], v[44:45]
	v_fma_f64 v[24:25], -v[48:49], v[44:45], v[24:25]
	v_fmac_f64_e32 v[16:17], v[46:47], v[44:45]
	;; [unrolled: 2-line block ×4, first 2 shown]
	s_wait_loadcnt 0x3
	v_fmac_f64_e32 v[20:21], v[34:35], v[58:59]
	v_fmac_f64_e32 v[0:1], v[36:37], v[58:59]
	s_wait_loadcnt 0x2
	v_fmac_f64_e32 v[24:25], v[62:63], v[58:59]
	v_fmac_f64_e32 v[16:17], v[64:65], v[58:59]
	;; [unrolled: 3-line block ×4, first 2 shown]
	v_fma_f64 v[20:21], -v[36:37], v[60:61], v[20:21]
	v_fmac_f64_e32 v[0:1], v[34:35], v[60:61]
	v_fma_f64 v[24:25], -v[64:65], v[60:61], v[24:25]
	v_fmac_f64_e32 v[16:17], v[62:63], v[60:61]
	v_fma_f64 v[22:23], -v[68:69], v[60:61], v[22:23]
	v_fmac_f64_e32 v[14:15], v[66:67], v[60:61]
	v_fma_f64 v[18:19], -v[72:73], v[60:61], v[18:19]
	v_fmac_f64_e32 v[12:13], v[70:71], v[60:61]
	s_cbranch_scc0 .LBB135_16
; %bb.17:                               ;   in Loop: Header=BB135_15 Depth=1
	v_add_nc_u32_e32 v31, 64, v31
	v_add_nc_u32_e32 v26, 0x600, v26
	s_delay_alu instid0(VALU_DEP_2) | instskip(SKIP_1) | instid1(SALU_CYCLE_1)
	v_cmp_ge_i32_e32 vcc_lo, v31, v30
	s_or_b32 s5, vcc_lo, s5
	s_and_not1_b32 exec_lo, exec_lo, s5
	s_cbranch_execnz .LBB135_15
; %bb.18:
	s_or_b32 exec_lo, exec_lo, s5
.LBB135_19:
	s_delay_alu instid0(SALU_CYCLE_1)
	s_or_b32 exec_lo, exec_lo, s4
.LBB135_20:
	v_mbcnt_lo_u32_b32 v44, -1, 0
	s_delay_alu instid0(VALU_DEP_1) | instskip(NEXT) | instid1(VALU_DEP_1)
	v_or_b32_e32 v26, 32, v44
	v_cmp_gt_i32_e32 vcc_lo, 32, v26
	v_cndmask_b32_e32 v26, v44, v26, vcc_lo
	s_delay_alu instid0(VALU_DEP_1)
	v_lshlrev_b32_e32 v41, 2, v26
	ds_bpermute_b32 v28, v41, v0
	ds_bpermute_b32 v29, v41, v1
	s_wait_dscnt 0x0
	v_add_f64_e32 v[0:1], v[0:1], v[28:29]
	ds_bpermute_b32 v26, v41, v20
	ds_bpermute_b32 v27, v41, v21
	;; [unrolled: 1-line block ×14, first 2 shown]
	s_wait_dscnt 0xc
	v_dual_add_f64 v[20:21], v[20:21], v[26:27] :: v_dual_bitop2_b32 v26, 16, v44 bitop3:0x14
	s_wait_dscnt 0xa
	v_add_f64_e32 v[14:15], v[14:15], v[36:37]
	s_wait_dscnt 0x8
	v_add_f64_e32 v[24:25], v[24:25], v[30:31]
	v_cmp_gt_i32_e32 vcc_lo, 32, v26
	s_wait_dscnt 0x4
	v_add_f64_e32 v[22:23], v[22:23], v[34:35]
	s_wait_dscnt 0x2
	v_add_f64_e32 v[18:19], v[18:19], v[38:39]
	v_cndmask_b32_e32 v26, v44, v26, vcc_lo
	v_add_f64_e32 v[16:17], v[16:17], v[32:33]
	s_wait_dscnt 0x0
	s_delay_alu instid0(VALU_DEP_2)
	v_dual_add_f64 v[12:13], v[12:13], v[40:41] :: v_dual_lshlrev_b32 v41, 2, v26
	ds_bpermute_b32 v28, v41, v0
	ds_bpermute_b32 v29, v41, v1
	;; [unrolled: 1-line block ×13, first 2 shown]
	s_wait_dscnt 0x9
	v_dual_add_f64 v[20:21], v[20:21], v[26:27] :: v_dual_bitop2_b32 v26, 8, v44 bitop3:0x14
	ds_bpermute_b32 v34, v41, v22
	ds_bpermute_b32 v35, v41, v23
	;; [unrolled: 1-line block ×3, first 2 shown]
	s_wait_dscnt 0xa
	v_add_f64_e32 v[14:15], v[14:15], v[36:37]
	v_cmp_gt_i32_e32 vcc_lo, 32, v26
	s_wait_dscnt 0x8
	v_add_f64_e32 v[24:25], v[24:25], v[30:31]
	v_cndmask_b32_e32 v26, v44, v26, vcc_lo
	s_wait_dscnt 0x4
	v_add_f64_e32 v[16:17], v[16:17], v[32:33]
	s_wait_dscnt 0x1
	v_add_f64_e32 v[22:23], v[22:23], v[34:35]
	s_wait_dscnt 0x0
	v_dual_add_f64 v[12:13], v[12:13], v[40:41] :: v_dual_lshlrev_b32 v41, 2, v26
	ds_bpermute_b32 v26, v41, v20
	ds_bpermute_b32 v27, v41, v21
	;; [unrolled: 1-line block ×8, first 2 shown]
	s_wait_dscnt 0x6
	v_dual_add_f64 v[20:21], v[20:21], v[26:27] :: v_dual_bitop2_b32 v26, 4, v44 bitop3:0x14
	v_add_f64_e32 v[18:19], v[18:19], v[38:39]
	ds_bpermute_b32 v34, v41, v22
	ds_bpermute_b32 v35, v41, v23
	s_wait_dscnt 0x6
	v_add_f64_e32 v[14:15], v[14:15], v[36:37]
	v_cmp_gt_i32_e32 vcc_lo, 32, v26
	ds_bpermute_b32 v40, v41, v12
	s_wait_dscnt 0x5
	v_add_f64_e32 v[24:25], v[24:25], v[30:31]
	v_cndmask_b32_e32 v26, v44, v26, vcc_lo
	v_add_f64_e32 v[0:1], v[0:1], v[28:29]
	s_wait_dscnt 0x3
	v_add_f64_e32 v[16:17], v[16:17], v[32:33]
	ds_bpermute_b32 v38, v41, v18
	ds_bpermute_b32 v39, v41, v19
	;; [unrolled: 1-line block ×5, first 2 shown]
	s_wait_dscnt 0x0
	v_dual_add_f64 v[12:13], v[12:13], v[40:41] :: v_dual_lshlrev_b32 v41, 2, v26
	v_add_f64_e32 v[0:1], v[0:1], v[28:29]
	ds_bpermute_b32 v26, v41, v20
	ds_bpermute_b32 v27, v41, v21
	ds_bpermute_b32 v30, v41, v24
	ds_bpermute_b32 v31, v41, v25
	ds_bpermute_b32 v32, v41, v16
	ds_bpermute_b32 v33, v41, v17
	ds_bpermute_b32 v36, v41, v14
	ds_bpermute_b32 v37, v41, v15
	s_wait_dscnt 0x6
	v_add_f64_e32 v[20:21], v[20:21], v[26:27]
	s_wait_dscnt 0x2
	v_add_f64_e32 v[16:17], v[16:17], v[32:33]
	ds_bpermute_b32 v40, v41, v12
	s_wait_dscnt 0x1
	v_add_f64_e32 v[32:33], v[14:15], v[36:37]
	ds_bpermute_b32 v28, v41, v0
	ds_bpermute_b32 v29, v41, v1
	s_wait_dscnt 0x0
	v_add_f64_e32 v[26:27], v[0:1], v[28:29]
	v_dual_add_f64 v[28:29], v[24:25], v[30:31] :: v_dual_bitop2_b32 v0, 2, v44 bitop3:0x14
	s_delay_alu instid0(VALU_DEP_1) | instskip(SKIP_1) | instid1(VALU_DEP_1)
	v_cmp_gt_i32_e32 vcc_lo, 32, v0
	v_dual_add_f64 v[22:23], v[22:23], v[34:35] :: v_dual_cndmask_b32 v0, v44, v0, vcc_lo
	v_dual_add_f64 v[18:19], v[18:19], v[38:39] :: v_dual_lshlrev_b32 v24, 2, v0
	ds_bpermute_b32 v0, v24, v20
	ds_bpermute_b32 v1, v24, v21
	;; [unrolled: 1-line block ×4, first 2 shown]
	s_wait_dscnt 0x2
	v_add_f64_e32 v[0:1], v[20:21], v[0:1]
	ds_bpermute_b32 v34, v41, v22
	ds_bpermute_b32 v35, v41, v23
	;; [unrolled: 1-line block ×5, first 2 shown]
	s_wait_dscnt 0x3
	v_add_f64_e32 v[30:31], v[22:23], v[34:35]
	ds_bpermute_b32 v22, v24, v16
	ds_bpermute_b32 v23, v24, v17
	s_wait_dscnt 0x3
	v_add_f64_e32 v[18:19], v[18:19], v[38:39]
	s_wait_dscnt 0x2
	v_add_f64_e32 v[34:35], v[12:13], v[40:41]
	ds_bpermute_b32 v12, v24, v26
	ds_bpermute_b32 v13, v24, v27
	;; [unrolled: 1-line block ×4, first 2 shown]
	s_wait_dscnt 0x4
	v_add_f64_e32 v[22:23], v[16:17], v[22:23]
	s_wait_dscnt 0x0
	v_add_f64_e32 v[20:21], v[32:33], v[38:39]
	ds_bpermute_b32 v36, v24, v30
	ds_bpermute_b32 v37, v24, v31
	;; [unrolled: 1-line block ×6, first 2 shown]
	v_add_f64_e32 v[24:25], v[26:27], v[12:13]
	v_dual_add_f64 v[12:13], v[28:29], v[14:15] :: v_dual_bitop2_b32 v26, 1, v44 bitop3:0x14
	s_delay_alu instid0(VALU_DEP_1) | instskip(SKIP_4) | instid1(VALU_DEP_2)
	v_cmp_gt_i32_e32 vcc_lo, 32, v26
	s_wait_dscnt 0x4
	v_dual_add_f64 v[14:15], v[30:31], v[36:37] :: v_dual_cndmask_b32 v26, v44, v26, vcc_lo
	v_cmp_eq_u32_e32 vcc_lo, 63, v11
	s_wait_dscnt 0x2
	v_dual_add_f64 v[16:17], v[18:19], v[40:41] :: v_dual_lshlrev_b32 v29, 2, v26
	s_wait_dscnt 0x0
	v_add_f64_e32 v[18:19], v[34:35], v[42:43]
	ds_bpermute_b32 v40, v29, v0
	ds_bpermute_b32 v41, v29, v1
	;; [unrolled: 1-line block ×16, first 2 shown]
	s_and_b32 exec_lo, exec_lo, vcc_lo
	s_cbranch_execz .LBB135_25
; %bb.21:
	v_cmp_eq_f64_e32 vcc_lo, 0, v[6:7]
	v_cmp_eq_f64_e64 s2, 0, v[8:9]
	s_wait_dscnt 0xe
	v_add_f64_e32 v[0:1], v[0:1], v[40:41]
	s_wait_dscnt 0x8
	v_add_f64_e32 v[24:25], v[24:25], v[38:39]
	;; [unrolled: 2-line block ×3, first 2 shown]
	v_add_f64_e32 v[22:23], v[22:23], v[34:35]
	s_wait_dscnt 0x4
	v_add_f64_e32 v[14:15], v[14:15], v[32:33]
	v_add_f64_e32 v[20:21], v[20:21], v[30:31]
	s_wait_dscnt 0x2
	v_add_f64_e32 v[16:17], v[16:17], v[26:27]
	s_wait_dscnt 0x0
	v_add_f64_e32 v[18:19], v[18:19], v[28:29]
	s_load_b64 s[0:1], s[0:1], 0x48
	s_and_b32 s2, vcc_lo, s2
	s_delay_alu instid0(SALU_CYCLE_1) | instskip(NEXT) | instid1(SALU_CYCLE_1)
	s_and_saveexec_b32 s3, s2
	s_xor_b32 s2, exec_lo, s3
	s_cbranch_execz .LBB135_23
; %bb.22:
	v_mul_f64_e64 v[6:7], v[24:25], -v[4:5]
	v_mul_f64_e32 v[8:9], v[2:3], v[24:25]
	v_mul_f64_e64 v[24:25], v[22:23], -v[4:5]
	v_mul_f64_e32 v[26:27], v[2:3], v[22:23]
	v_mul_f64_e64 v[28:29], v[20:21], -v[4:5]
	v_mul_f64_e32 v[30:31], v[2:3], v[20:21]
	v_mul_f64_e64 v[20:21], v[18:19], -v[4:5]
	v_mul_f64_e32 v[22:23], v[2:3], v[18:19]
                                        ; implicit-def: $vgpr18_vgpr19
	v_fmac_f64_e32 v[6:7], v[2:3], v[0:1]
	v_fmac_f64_e32 v[8:9], v[4:5], v[0:1]
	;; [unrolled: 1-line block ×8, first 2 shown]
	v_lshlrev_b32_e32 v0, 2, v10
                                        ; implicit-def: $vgpr10
                                        ; implicit-def: $vgpr12_vgpr13
                                        ; implicit-def: $vgpr14_vgpr15
                                        ; implicit-def: $vgpr16_vgpr17
                                        ; implicit-def: $vgpr4_vgpr5
	s_wait_kmcnt 0x0
	s_clause 0x3
	global_store_b128 v0, v[6:9], s[0:1] scale_offset
	global_store_b128 v0, v[24:27], s[0:1] offset:16 scale_offset
	global_store_b128 v0, v[28:31], s[0:1] offset:32 scale_offset
	global_store_b128 v0, v[20:23], s[0:1] offset:48 scale_offset
                                        ; implicit-def: $vgpr0_vgpr1
                                        ; implicit-def: $vgpr24_vgpr25
                                        ; implicit-def: $vgpr22_vgpr23
                                        ; implicit-def: $vgpr20_vgpr21
                                        ; implicit-def: $vgpr8_vgpr9
.LBB135_23:
	s_wait_xcnt 0x0
	s_and_not1_saveexec_b32 s2, s2
	s_cbranch_execz .LBB135_25
; %bb.24:
	v_dual_mul_f64 v[42:43], v[24:25], -v[4:5] :: v_dual_lshlrev_b32 v52, 2, v10
	v_mul_f64_e32 v[24:25], v[2:3], v[24:25]
	v_mul_f64_e64 v[46:47], v[22:23], -v[4:5]
	v_mul_f64_e32 v[44:45], v[2:3], v[22:23]
	s_wait_kmcnt 0x0
	s_clause 0x3
	global_load_b128 v[26:29], v52, s[0:1] scale_offset
	global_load_b128 v[30:33], v52, s[0:1] offset:16 scale_offset
	global_load_b128 v[34:37], v52, s[0:1] offset:32 scale_offset
	;; [unrolled: 1-line block ×3, first 2 shown]
	v_mul_f64_e64 v[48:49], v[20:21], -v[4:5]
	v_mul_f64_e32 v[20:21], v[2:3], v[20:21]
	v_mul_f64_e64 v[50:51], v[18:19], -v[4:5]
	v_mul_f64_e32 v[10:11], v[2:3], v[18:19]
	v_fmac_f64_e32 v[42:43], v[2:3], v[0:1]
	v_fmac_f64_e32 v[24:25], v[4:5], v[0:1]
	;; [unrolled: 1-line block ×8, first 2 shown]
	s_wait_loadcnt 0x3
	v_fmac_f64_e32 v[42:43], v[6:7], v[26:27]
	v_fmac_f64_e32 v[24:25], v[8:9], v[26:27]
	s_wait_loadcnt 0x2
	v_fmac_f64_e32 v[46:47], v[6:7], v[30:31]
	v_fmac_f64_e32 v[44:45], v[8:9], v[30:31]
	;; [unrolled: 3-line block ×4, first 2 shown]
	v_fma_f64 v[22:23], -v[8:9], v[28:29], v[42:43]
	v_fmac_f64_e32 v[24:25], v[6:7], v[28:29]
	v_fma_f64 v[42:43], -v[8:9], v[32:33], v[46:47]
	v_fmac_f64_e32 v[44:45], v[6:7], v[32:33]
	;; [unrolled: 2-line block ×4, first 2 shown]
	s_clause 0x3
	global_store_b128 v52, v[22:25], s[0:1] scale_offset
	global_store_b128 v52, v[42:45], s[0:1] offset:16 scale_offset
	global_store_b128 v52, v[18:21], s[0:1] offset:32 scale_offset
	;; [unrolled: 1-line block ×3, first 2 shown]
.LBB135_25:
	s_sendmsg sendmsg(MSG_DEALLOC_VGPRS)
	s_endpgm
	.section	.rodata,"a",@progbits
	.p2align	6, 0x0
	.amdhsa_kernel _ZN9rocsparseL19gebsrmvn_4xn_kernelILj128ELj6ELj64E21rocsparse_complex_numIdEEEvi20rocsparse_direction_NS_24const_host_device_scalarIT2_EEPKiS8_PKS5_SA_S6_PS5_21rocsparse_index_base_b
		.amdhsa_group_segment_fixed_size 0
		.amdhsa_private_segment_fixed_size 0
		.amdhsa_kernarg_size 88
		.amdhsa_user_sgpr_count 2
		.amdhsa_user_sgpr_dispatch_ptr 0
		.amdhsa_user_sgpr_queue_ptr 0
		.amdhsa_user_sgpr_kernarg_segment_ptr 1
		.amdhsa_user_sgpr_dispatch_id 0
		.amdhsa_user_sgpr_kernarg_preload_length 0
		.amdhsa_user_sgpr_kernarg_preload_offset 0
		.amdhsa_user_sgpr_private_segment_size 0
		.amdhsa_wavefront_size32 1
		.amdhsa_uses_dynamic_stack 0
		.amdhsa_enable_private_segment 0
		.amdhsa_system_sgpr_workgroup_id_x 1
		.amdhsa_system_sgpr_workgroup_id_y 0
		.amdhsa_system_sgpr_workgroup_id_z 0
		.amdhsa_system_sgpr_workgroup_info 0
		.amdhsa_system_vgpr_workitem_id 0
		.amdhsa_next_free_vgpr 77
		.amdhsa_next_free_sgpr 14
		.amdhsa_named_barrier_count 0
		.amdhsa_reserve_vcc 1
		.amdhsa_float_round_mode_32 0
		.amdhsa_float_round_mode_16_64 0
		.amdhsa_float_denorm_mode_32 3
		.amdhsa_float_denorm_mode_16_64 3
		.amdhsa_fp16_overflow 0
		.amdhsa_memory_ordered 1
		.amdhsa_forward_progress 1
		.amdhsa_inst_pref_size 25
		.amdhsa_round_robin_scheduling 0
		.amdhsa_exception_fp_ieee_invalid_op 0
		.amdhsa_exception_fp_denorm_src 0
		.amdhsa_exception_fp_ieee_div_zero 0
		.amdhsa_exception_fp_ieee_overflow 0
		.amdhsa_exception_fp_ieee_underflow 0
		.amdhsa_exception_fp_ieee_inexact 0
		.amdhsa_exception_int_div_zero 0
	.end_amdhsa_kernel
	.section	.text._ZN9rocsparseL19gebsrmvn_4xn_kernelILj128ELj6ELj64E21rocsparse_complex_numIdEEEvi20rocsparse_direction_NS_24const_host_device_scalarIT2_EEPKiS8_PKS5_SA_S6_PS5_21rocsparse_index_base_b,"axG",@progbits,_ZN9rocsparseL19gebsrmvn_4xn_kernelILj128ELj6ELj64E21rocsparse_complex_numIdEEEvi20rocsparse_direction_NS_24const_host_device_scalarIT2_EEPKiS8_PKS5_SA_S6_PS5_21rocsparse_index_base_b,comdat
.Lfunc_end135:
	.size	_ZN9rocsparseL19gebsrmvn_4xn_kernelILj128ELj6ELj64E21rocsparse_complex_numIdEEEvi20rocsparse_direction_NS_24const_host_device_scalarIT2_EEPKiS8_PKS5_SA_S6_PS5_21rocsparse_index_base_b, .Lfunc_end135-_ZN9rocsparseL19gebsrmvn_4xn_kernelILj128ELj6ELj64E21rocsparse_complex_numIdEEEvi20rocsparse_direction_NS_24const_host_device_scalarIT2_EEPKiS8_PKS5_SA_S6_PS5_21rocsparse_index_base_b
                                        ; -- End function
	.set _ZN9rocsparseL19gebsrmvn_4xn_kernelILj128ELj6ELj64E21rocsparse_complex_numIdEEEvi20rocsparse_direction_NS_24const_host_device_scalarIT2_EEPKiS8_PKS5_SA_S6_PS5_21rocsparse_index_base_b.num_vgpr, 77
	.set _ZN9rocsparseL19gebsrmvn_4xn_kernelILj128ELj6ELj64E21rocsparse_complex_numIdEEEvi20rocsparse_direction_NS_24const_host_device_scalarIT2_EEPKiS8_PKS5_SA_S6_PS5_21rocsparse_index_base_b.num_agpr, 0
	.set _ZN9rocsparseL19gebsrmvn_4xn_kernelILj128ELj6ELj64E21rocsparse_complex_numIdEEEvi20rocsparse_direction_NS_24const_host_device_scalarIT2_EEPKiS8_PKS5_SA_S6_PS5_21rocsparse_index_base_b.numbered_sgpr, 14
	.set _ZN9rocsparseL19gebsrmvn_4xn_kernelILj128ELj6ELj64E21rocsparse_complex_numIdEEEvi20rocsparse_direction_NS_24const_host_device_scalarIT2_EEPKiS8_PKS5_SA_S6_PS5_21rocsparse_index_base_b.num_named_barrier, 0
	.set _ZN9rocsparseL19gebsrmvn_4xn_kernelILj128ELj6ELj64E21rocsparse_complex_numIdEEEvi20rocsparse_direction_NS_24const_host_device_scalarIT2_EEPKiS8_PKS5_SA_S6_PS5_21rocsparse_index_base_b.private_seg_size, 0
	.set _ZN9rocsparseL19gebsrmvn_4xn_kernelILj128ELj6ELj64E21rocsparse_complex_numIdEEEvi20rocsparse_direction_NS_24const_host_device_scalarIT2_EEPKiS8_PKS5_SA_S6_PS5_21rocsparse_index_base_b.uses_vcc, 1
	.set _ZN9rocsparseL19gebsrmvn_4xn_kernelILj128ELj6ELj64E21rocsparse_complex_numIdEEEvi20rocsparse_direction_NS_24const_host_device_scalarIT2_EEPKiS8_PKS5_SA_S6_PS5_21rocsparse_index_base_b.uses_flat_scratch, 0
	.set _ZN9rocsparseL19gebsrmvn_4xn_kernelILj128ELj6ELj64E21rocsparse_complex_numIdEEEvi20rocsparse_direction_NS_24const_host_device_scalarIT2_EEPKiS8_PKS5_SA_S6_PS5_21rocsparse_index_base_b.has_dyn_sized_stack, 0
	.set _ZN9rocsparseL19gebsrmvn_4xn_kernelILj128ELj6ELj64E21rocsparse_complex_numIdEEEvi20rocsparse_direction_NS_24const_host_device_scalarIT2_EEPKiS8_PKS5_SA_S6_PS5_21rocsparse_index_base_b.has_recursion, 0
	.set _ZN9rocsparseL19gebsrmvn_4xn_kernelILj128ELj6ELj64E21rocsparse_complex_numIdEEEvi20rocsparse_direction_NS_24const_host_device_scalarIT2_EEPKiS8_PKS5_SA_S6_PS5_21rocsparse_index_base_b.has_indirect_call, 0
	.section	.AMDGPU.csdata,"",@progbits
; Kernel info:
; codeLenInByte = 3192
; TotalNumSgprs: 16
; NumVgprs: 77
; ScratchSize: 0
; MemoryBound: 0
; FloatMode: 240
; IeeeMode: 1
; LDSByteSize: 0 bytes/workgroup (compile time only)
; SGPRBlocks: 0
; VGPRBlocks: 4
; NumSGPRsForWavesPerEU: 16
; NumVGPRsForWavesPerEU: 77
; NamedBarCnt: 0
; Occupancy: 12
; WaveLimiterHint : 1
; COMPUTE_PGM_RSRC2:SCRATCH_EN: 0
; COMPUTE_PGM_RSRC2:USER_SGPR: 2
; COMPUTE_PGM_RSRC2:TRAP_HANDLER: 0
; COMPUTE_PGM_RSRC2:TGID_X_EN: 1
; COMPUTE_PGM_RSRC2:TGID_Y_EN: 0
; COMPUTE_PGM_RSRC2:TGID_Z_EN: 0
; COMPUTE_PGM_RSRC2:TIDIG_COMP_CNT: 0
	.section	.text._ZN9rocsparseL19gebsrmvn_4xn_kernelILj128ELj7ELj4E21rocsparse_complex_numIdEEEvi20rocsparse_direction_NS_24const_host_device_scalarIT2_EEPKiS8_PKS5_SA_S6_PS5_21rocsparse_index_base_b,"axG",@progbits,_ZN9rocsparseL19gebsrmvn_4xn_kernelILj128ELj7ELj4E21rocsparse_complex_numIdEEEvi20rocsparse_direction_NS_24const_host_device_scalarIT2_EEPKiS8_PKS5_SA_S6_PS5_21rocsparse_index_base_b,comdat
	.globl	_ZN9rocsparseL19gebsrmvn_4xn_kernelILj128ELj7ELj4E21rocsparse_complex_numIdEEEvi20rocsparse_direction_NS_24const_host_device_scalarIT2_EEPKiS8_PKS5_SA_S6_PS5_21rocsparse_index_base_b ; -- Begin function _ZN9rocsparseL19gebsrmvn_4xn_kernelILj128ELj7ELj4E21rocsparse_complex_numIdEEEvi20rocsparse_direction_NS_24const_host_device_scalarIT2_EEPKiS8_PKS5_SA_S6_PS5_21rocsparse_index_base_b
	.p2align	8
	.type	_ZN9rocsparseL19gebsrmvn_4xn_kernelILj128ELj7ELj4E21rocsparse_complex_numIdEEEvi20rocsparse_direction_NS_24const_host_device_scalarIT2_EEPKiS8_PKS5_SA_S6_PS5_21rocsparse_index_base_b,@function
_ZN9rocsparseL19gebsrmvn_4xn_kernelILj128ELj7ELj4E21rocsparse_complex_numIdEEEvi20rocsparse_direction_NS_24const_host_device_scalarIT2_EEPKiS8_PKS5_SA_S6_PS5_21rocsparse_index_base_b: ; @_ZN9rocsparseL19gebsrmvn_4xn_kernelILj128ELj7ELj4E21rocsparse_complex_numIdEEEvi20rocsparse_direction_NS_24const_host_device_scalarIT2_EEPKiS8_PKS5_SA_S6_PS5_21rocsparse_index_base_b
; %bb.0:
	s_clause 0x1
	s_load_b64 s[12:13], s[0:1], 0x50
	s_load_b64 s[2:3], s[0:1], 0x8
	v_mov_b32_e32 v1, 0
	s_add_nc_u64 s[4:5], s[0:1], 8
	s_load_b64 s[6:7], s[0:1], 0x38
	s_wait_kmcnt 0x0
	s_bitcmp1_b32 s13, 0
	s_cselect_b32 s3, s5, s3
	s_cselect_b32 s2, s4, s2
	flat_load_b128 v[2:5], v1, s[2:3]
	s_wait_xcnt 0x0
	s_add_nc_u64 s[2:3], s[0:1], 56
	s_delay_alu instid0(SALU_CYCLE_1)
	s_cselect_b32 s3, s3, s7
	s_cselect_b32 s2, s2, s6
	flat_load_b128 v[6:9], v1, s[2:3]
	s_wait_loadcnt_dscnt 0x101
	v_cmp_eq_f64_e32 vcc_lo, 0, v[2:3]
	s_wait_xcnt 0x0
	v_cmp_eq_f64_e64 s2, 0, v[4:5]
	s_and_b32 s4, vcc_lo, s2
	s_mov_b32 s2, -1
	s_and_saveexec_b32 s3, s4
	s_cbranch_execz .LBB136_2
; %bb.1:
	s_wait_loadcnt_dscnt 0x0
	v_cmp_neq_f64_e32 vcc_lo, 1.0, v[6:7]
	v_cmp_neq_f64_e64 s2, 0, v[8:9]
	s_or_b32 s2, vcc_lo, s2
	s_delay_alu instid0(SALU_CYCLE_1)
	s_or_not1_b32 s2, s2, exec_lo
.LBB136_2:
	s_or_b32 exec_lo, exec_lo, s3
	s_and_saveexec_b32 s3, s2
	s_cbranch_execz .LBB136_29
; %bb.3:
	s_load_b64 s[2:3], s[0:1], 0x0
	s_bfe_u32 s4, ttmp6, 0x4000c
	s_and_b32 s5, ttmp6, 15
	s_add_co_i32 s4, s4, 1
	s_getreg_b32 s6, hwreg(HW_REG_IB_STS2, 6, 4)
	s_mul_i32 s4, ttmp9, s4
	v_lshrrev_b32_e32 v1, 2, v0
	s_add_co_i32 s5, s5, s4
	s_cmp_eq_u32 s6, 0
	s_cselect_b32 s4, ttmp9, s5
	s_delay_alu instid0(VALU_DEP_1) | instid1(SALU_CYCLE_1)
	v_lshl_or_b32 v10, s4, 5, v1
	s_wait_kmcnt 0x0
	s_delay_alu instid0(VALU_DEP_1)
	v_cmp_gt_i32_e32 vcc_lo, s2, v10
	s_and_b32 exec_lo, exec_lo, vcc_lo
	s_cbranch_execz .LBB136_29
; %bb.4:
	s_load_b256 s[4:11], s[0:1], 0x18
	v_ashrrev_i32_e32 v11, 31, v10
	s_cmp_lg_u32 s3, 0
	s_wait_kmcnt 0x0
	s_delay_alu instid0(VALU_DEP_1)
	v_lshl_add_u64 v[12:13], v[10:11], 2, s[4:5]
	v_and_b32_e32 v11, 3, v0
	global_load_b64 v[26:27], v[12:13], off
	s_wait_loadcnt 0x0
	v_subrev_nc_u32_e32 v0, s12, v26
	v_subrev_nc_u32_e32 v44, s12, v27
	s_delay_alu instid0(VALU_DEP_2) | instskip(NEXT) | instid1(VALU_DEP_1)
	v_add_nc_u32_e32 v45, v0, v11
	v_cmp_lt_i32_e64 s2, v45, v44
	s_cbranch_scc0 .LBB136_12
; %bb.5:
	v_mov_b64_e32 v[0:1], 0
	v_mov_b64_e32 v[12:13], 0
	;; [unrolled: 1-line block ×8, first 2 shown]
	s_and_saveexec_b32 s3, s2
	s_cbranch_execz .LBB136_14
; %bb.6:
	v_mul_lo_u32 v27, v45, 28
	v_mov_b64_e32 v[0:1], 0
	v_mov_b64_e32 v[12:13], 0
	;; [unrolled: 1-line block ×8, first 2 shown]
	v_mov_b32_e32 v46, v45
	s_mov_b32 s4, 0
	s_branch .LBB136_8
.LBB136_7:                              ;   in Loop: Header=BB136_8 Depth=1
	v_add_nc_u32_e32 v46, 4, v46
	v_add_nc_u32_e32 v27, 0x70, v27
	s_delay_alu instid0(VALU_DEP_2) | instskip(SKIP_1) | instid1(SALU_CYCLE_1)
	v_cmp_ge_i32_e32 vcc_lo, v46, v44
	s_or_b32 s4, vcc_lo, s4
	s_and_not1_b32 exec_lo, exec_lo, s4
	s_cbranch_execz .LBB136_13
.LBB136_8:                              ; =>This Loop Header: Depth=1
                                        ;     Child Loop BB136_10 Depth 2
	global_load_b32 v28, v46, s[6:7] scale_offset
	v_mov_b64_e32 v[38:39], v[12:13]
	v_mov_b64_e32 v[36:37], v[16:17]
	;; [unrolled: 1-line block ×6, first 2 shown]
	v_mov_b32_e32 v48, v27
	s_mov_b32 s5, 0
	s_wait_loadcnt 0x0
	v_subrev_nc_u32_e32 v30, s12, v28
	v_mov_b64_e32 v[28:29], v[0:1]
	s_delay_alu instid0(VALU_DEP_2)
	v_mul_lo_u32 v47, v30, 7
	v_mov_b64_e32 v[30:31], v[24:25]
	s_branch .LBB136_10
.LBB136_9:                              ;   in Loop: Header=BB136_8 Depth=1
                                        ; implicit-def: $vgpr30_vgpr31
                                        ; implicit-def: $vgpr42_vgpr43
                                        ; implicit-def: $vgpr32_vgpr33
                                        ; implicit-def: $vgpr40_vgpr41
                                        ; implicit-def: $vgpr34_vgpr35
                                        ; implicit-def: $vgpr36_vgpr37
                                        ; implicit-def: $vgpr38_vgpr39
                                        ; implicit-def: $vgpr28_vgpr29
                                        ; implicit-def: $sgpr5
                                        ; implicit-def: $vgpr48
	s_branch .LBB136_7
.LBB136_10:                             ;   Parent Loop BB136_8 Depth=1
                                        ; =>  This Inner Loop Header: Depth=2
	s_delay_alu instid0(VALU_DEP_2)
	v_add_nc_u32_e32 v49, s5, v47
	s_cmp_eq_u32 s5, 6
	global_load_b128 v[50:53], v49, s[10:11] scale_offset
	s_clause 0x3
	global_load_b128 v[54:57], v48, s[8:9] scale_offset
	global_load_b128 v[58:61], v48, s[8:9] offset:16 scale_offset
	global_load_b128 v[62:65], v48, s[8:9] offset:32 scale_offset
	;; [unrolled: 1-line block ×3, first 2 shown]
	s_wait_loadcnt 0x3
	v_fmac_f64_e32 v[28:29], v[56:57], v[50:51]
	s_wait_loadcnt 0x2
	v_fmac_f64_e32 v[30:31], v[60:61], v[50:51]
	;; [unrolled: 2-line block ×4, first 2 shown]
	v_fmac_f64_e32 v[38:39], v[54:55], v[50:51]
	v_fmac_f64_e32 v[42:43], v[58:59], v[50:51]
	;; [unrolled: 1-line block ×4, first 2 shown]
	v_mov_b64_e32 v[0:1], v[28:29]
	v_mov_b64_e32 v[24:25], v[30:31]
	;; [unrolled: 1-line block ×4, first 2 shown]
	v_fma_f64 v[12:13], -v[56:57], v[52:53], v[38:39]
	v_fma_f64 v[22:23], -v[60:61], v[52:53], v[42:43]
	;; [unrolled: 1-line block ×4, first 2 shown]
	v_fmac_f64_e32 v[0:1], v[54:55], v[52:53]
	v_fmac_f64_e32 v[24:25], v[58:59], v[52:53]
	;; [unrolled: 1-line block ×4, first 2 shown]
	s_cbranch_scc1 .LBB136_9
; %bb.11:                               ;   in Loop: Header=BB136_10 Depth=2
	v_dual_add_nc_u32 v28, 1, v49 :: v_dual_add_nc_u32 v29, 4, v48
	s_add_co_i32 s5, s5, 2
	global_load_b128 v[50:53], v28, s[10:11] scale_offset
	s_clause 0x3
	global_load_b128 v[36:39], v29, s[8:9] scale_offset
	global_load_b128 v[40:43], v29, s[8:9] offset:16 scale_offset
	global_load_b128 v[54:57], v29, s[8:9] offset:32 scale_offset
	;; [unrolled: 1-line block ×3, first 2 shown]
	s_wait_loadcnt 0x3
	v_dual_fma_f64 v[62:63], v[36:37], v[50:51], v[12:13] :: v_dual_add_nc_u32 v48, 8, v48
	s_wait_xcnt 0x0
	v_fma_f64 v[28:29], v[38:39], v[50:51], v[0:1]
	s_wait_loadcnt 0x2
	v_fma_f64 v[64:65], v[40:41], v[50:51], v[22:23]
	v_fma_f64 v[30:31], v[42:43], v[50:51], v[24:25]
	s_wait_loadcnt 0x1
	v_fma_f64 v[66:67], v[54:55], v[50:51], v[18:19]
	v_fma_f64 v[32:33], v[56:57], v[50:51], v[20:21]
	s_wait_loadcnt 0x0
	v_fma_f64 v[68:69], v[58:59], v[50:51], v[16:17]
	v_fma_f64 v[34:35], v[60:61], v[50:51], v[14:15]
	v_fma_f64 v[38:39], -v[38:39], v[52:53], v[62:63]
	v_fmac_f64_e32 v[28:29], v[36:37], v[52:53]
	v_fma_f64 v[42:43], -v[42:43], v[52:53], v[64:65]
	v_fmac_f64_e32 v[30:31], v[40:41], v[52:53]
	;; [unrolled: 2-line block ×4, first 2 shown]
	s_cbranch_execnz .LBB136_10
	s_branch .LBB136_7
.LBB136_12:
                                        ; implicit-def: $vgpr0_vgpr1
                                        ; implicit-def: $vgpr12_vgpr13
                                        ; implicit-def: $vgpr16_vgpr17
                                        ; implicit-def: $vgpr14_vgpr15
                                        ; implicit-def: $vgpr18_vgpr19
                                        ; implicit-def: $vgpr20_vgpr21
                                        ; implicit-def: $vgpr22_vgpr23
                                        ; implicit-def: $vgpr24_vgpr25
	s_branch .LBB136_15
.LBB136_13:
	s_or_b32 exec_lo, exec_lo, s4
.LBB136_14:
	s_delay_alu instid0(SALU_CYCLE_1)
	s_or_b32 exec_lo, exec_lo, s3
	s_cbranch_execnz .LBB136_24
.LBB136_15:
	v_mov_b64_e32 v[0:1], 0
	v_mov_b64_e32 v[12:13], 0
	;; [unrolled: 1-line block ×8, first 2 shown]
	s_and_saveexec_b32 s3, s2
	s_cbranch_execz .LBB136_23
; %bb.16:
	v_mul_u32_u24_e32 v0, 28, v11
	v_mul_lo_u32 v42, v45, 28
	s_mul_i32 s2, s12, 28
	v_mov_b64_e32 v[12:13], 0
	v_mov_b64_e32 v[16:17], 0
	v_mad_u32 v26, v26, 28, v0
	v_mov_b64_e32 v[0:1], 0
	v_mov_b64_e32 v[14:15], 0
	;; [unrolled: 1-line block ×6, first 2 shown]
	v_subrev_nc_u32_e32 v43, s2, v26
	s_mov_b32 s2, 0
	s_branch .LBB136_18
.LBB136_17:                             ;   in Loop: Header=BB136_18 Depth=1
	v_add_nc_u32_e32 v45, 4, v45
	v_add_nc_u32_e32 v42, 0x70, v42
	;; [unrolled: 1-line block ×3, first 2 shown]
	s_delay_alu instid0(VALU_DEP_3) | instskip(SKIP_1) | instid1(SALU_CYCLE_1)
	v_cmp_ge_i32_e32 vcc_lo, v45, v44
	s_or_b32 s2, vcc_lo, s2
	s_and_not1_b32 exec_lo, exec_lo, s2
	s_cbranch_execz .LBB136_22
.LBB136_18:                             ; =>This Loop Header: Depth=1
                                        ;     Child Loop BB136_20 Depth 2
	global_load_b32 v26, v45, s[6:7] scale_offset
	v_mov_b64_e32 v[28:29], v[0:1]
	v_mov_b64_e32 v[38:39], v[12:13]
	;; [unrolled: 1-line block ×7, first 2 shown]
	s_mov_b32 s4, 0
	s_wait_loadcnt 0x0
	v_subrev_nc_u32_e32 v26, s12, v26
	s_delay_alu instid0(VALU_DEP_1)
	v_mul_lo_u32 v46, v26, 7
	v_mov_b64_e32 v[26:27], v[24:25]
	s_branch .LBB136_20
.LBB136_19:                             ;   in Loop: Header=BB136_20 Depth=2
	s_and_not1_b32 vcc_lo, exec_lo, s5
	s_cbranch_vccz .LBB136_17
.LBB136_20:                             ;   Parent Loop BB136_18 Depth=1
                                        ; =>  This Inner Loop Header: Depth=2
	s_delay_alu instid0(VALU_DEP_2)
	v_dual_add_nc_u32 v0, s4, v43 :: v_dual_add_nc_u32 v48, s4, v46
	s_cmp_eq_u32 s4, 6
	s_mov_b32 s5, -1
	global_load_b128 v[14:17], v0, s[8:9] scale_offset
	global_load_b128 v[50:53], v48, s[10:11] scale_offset
	s_wait_loadcnt 0x0
	v_fmac_f64_e32 v[38:39], v[14:15], v[50:51]
	v_add_nc_u32_e32 v47, s4, v42
	v_fmac_f64_e32 v[28:29], v[16:17], v[50:51]
	s_delay_alu instid0(VALU_DEP_2)
	v_dual_add_nc_u32 v0, 7, v47 :: v_dual_add_nc_u32 v1, 14, v47
	v_add_nc_u32_e32 v12, 21, v47
	s_clause 0x2
	global_load_b128 v[54:57], v0, s[8:9] scale_offset
	global_load_b128 v[58:61], v1, s[8:9] scale_offset
	;; [unrolled: 1-line block ×3, first 2 shown]
	s_wait_xcnt 0x0
	v_fma_f64 v[12:13], -v[16:17], v[52:53], v[38:39]
                                        ; implicit-def: $vgpr38_vgpr39
	v_mov_b64_e32 v[0:1], v[28:29]
                                        ; implicit-def: $vgpr28_vgpr29
	s_delay_alu instid0(VALU_DEP_1)
	v_fmac_f64_e32 v[0:1], v[14:15], v[52:53]
	s_wait_loadcnt 0x2
	v_fmac_f64_e32 v[26:27], v[56:57], v[50:51]
	s_wait_loadcnt 0x1
	v_fmac_f64_e32 v[30:31], v[60:61], v[50:51]
	s_wait_loadcnt 0x0
	v_fmac_f64_e32 v[32:33], v[64:65], v[50:51]
	v_fmac_f64_e32 v[40:41], v[54:55], v[50:51]
	v_fmac_f64_e32 v[34:35], v[58:59], v[50:51]
	v_fmac_f64_e32 v[36:37], v[62:63], v[50:51]
	v_mov_b64_e32 v[24:25], v[26:27]
	v_mov_b64_e32 v[20:21], v[30:31]
	;; [unrolled: 1-line block ×3, first 2 shown]
	v_fma_f64 v[22:23], -v[56:57], v[52:53], v[40:41]
	v_fma_f64 v[18:19], -v[60:61], v[52:53], v[34:35]
	;; [unrolled: 1-line block ×3, first 2 shown]
                                        ; implicit-def: $vgpr26_vgpr27
                                        ; implicit-def: $vgpr40_vgpr41
                                        ; implicit-def: $vgpr30_vgpr31
                                        ; implicit-def: $vgpr34_vgpr35
                                        ; implicit-def: $vgpr32_vgpr33
                                        ; implicit-def: $vgpr36_vgpr37
	v_fmac_f64_e32 v[24:25], v[54:55], v[52:53]
	v_fmac_f64_e32 v[20:21], v[58:59], v[52:53]
	;; [unrolled: 1-line block ×3, first 2 shown]
	s_cbranch_scc1 .LBB136_19
; %bb.21:                               ;   in Loop: Header=BB136_20 Depth=2
	v_dual_add_nc_u32 v26, 1, v47 :: v_dual_add_nc_u32 v27, 1, v48
	v_dual_add_nc_u32 v28, 8, v47 :: v_dual_add_nc_u32 v29, 15, v47
	s_add_co_i32 s4, s4, 2
	global_load_b128 v[34:37], v26, s[8:9] scale_offset
	global_load_b128 v[48:51], v27, s[10:11] scale_offset
	s_wait_xcnt 0x1
	v_add_nc_u32_e32 v26, 22, v47
	s_mov_b32 s5, 0
	s_wait_loadcnt 0x0
	v_fma_f64 v[38:39], v[34:35], v[48:49], v[12:13]
	s_clause 0x2
	global_load_b128 v[52:55], v28, s[8:9] scale_offset
	global_load_b128 v[56:59], v29, s[8:9] scale_offset
	;; [unrolled: 1-line block ×3, first 2 shown]
	s_wait_xcnt 0x1
	v_fma_f64 v[28:29], v[36:37], v[48:49], v[0:1]
	v_fma_f64 v[38:39], -v[36:37], v[50:51], v[38:39]
	s_delay_alu instid0(VALU_DEP_2)
	v_fmac_f64_e32 v[28:29], v[34:35], v[50:51]
	s_wait_loadcnt 0x2
	v_fma_f64 v[40:41], v[52:53], v[48:49], v[22:23]
	s_wait_xcnt 0x0
	v_fma_f64 v[26:27], v[54:55], v[48:49], v[24:25]
	s_wait_loadcnt 0x1
	v_fma_f64 v[64:65], v[56:57], v[48:49], v[18:19]
	v_fma_f64 v[30:31], v[58:59], v[48:49], v[20:21]
	s_wait_loadcnt 0x0
	v_fma_f64 v[66:67], v[60:61], v[48:49], v[16:17]
	v_fma_f64 v[32:33], v[62:63], v[48:49], v[14:15]
	v_fma_f64 v[40:41], -v[54:55], v[50:51], v[40:41]
	v_fmac_f64_e32 v[26:27], v[52:53], v[50:51]
	v_fma_f64 v[34:35], -v[58:59], v[50:51], v[64:65]
	v_fmac_f64_e32 v[30:31], v[56:57], v[50:51]
	;; [unrolled: 2-line block ×3, first 2 shown]
	s_branch .LBB136_19
.LBB136_22:
	s_or_b32 exec_lo, exec_lo, s2
.LBB136_23:
	s_delay_alu instid0(SALU_CYCLE_1)
	s_or_b32 exec_lo, exec_lo, s3
.LBB136_24:
	v_mbcnt_lo_u32_b32 v44, -1, 0
	s_delay_alu instid0(VALU_DEP_1) | instskip(NEXT) | instid1(VALU_DEP_1)
	v_xor_b32_e32 v26, 2, v44
	v_cmp_gt_i32_e32 vcc_lo, 32, v26
	v_cndmask_b32_e32 v26, v44, v26, vcc_lo
	s_delay_alu instid0(VALU_DEP_1)
	v_lshlrev_b32_e32 v30, 2, v26
	ds_bpermute_b32 v28, v30, v0
	ds_bpermute_b32 v29, v30, v1
	s_wait_dscnt 0x0
	v_add_f64_e32 v[28:29], v[0:1], v[28:29]
	ds_bpermute_b32 v26, v30, v12
	ds_bpermute_b32 v27, v30, v13
	;; [unrolled: 1-line block ×14, first 2 shown]
	v_xor_b32_e32 v0, 1, v44
	s_delay_alu instid0(VALU_DEP_1)
	v_cmp_gt_i32_e32 vcc_lo, 32, v0
	s_wait_dscnt 0xc
	v_add_f64_e32 v[30:31], v[12:13], v[26:27]
	s_wait_dscnt 0xa
	v_add_f64_e32 v[12:13], v[22:23], v[32:33]
	v_cndmask_b32_e32 v0, v44, v0, vcc_lo
	s_wait_dscnt 0x8
	v_add_f64_e32 v[22:23], v[24:25], v[34:35]
	v_cmp_eq_u32_e32 vcc_lo, 3, v11
	s_wait_dscnt 0x6
	v_add_f64_e32 v[26:27], v[18:19], v[36:37]
	s_wait_dscnt 0x4
	v_dual_add_f64 v[20:21], v[20:21], v[38:39] :: v_dual_lshlrev_b32 v35, 2, v0
	s_wait_dscnt 0x2
	v_add_f64_e32 v[16:17], v[16:17], v[40:41]
	s_wait_dscnt 0x0
	v_add_f64_e32 v[18:19], v[14:15], v[42:43]
	ds_bpermute_b32 v24, v35, v28
	ds_bpermute_b32 v25, v35, v29
	;; [unrolled: 1-line block ×16, first 2 shown]
	s_and_b32 exec_lo, exec_lo, vcc_lo
	s_cbranch_execz .LBB136_29
; %bb.25:
	v_cmp_eq_f64_e32 vcc_lo, 0, v[6:7]
	v_cmp_eq_f64_e64 s2, 0, v[8:9]
	s_wait_dscnt 0xc
	v_add_f64_e32 v[0:1], v[30:31], v[0:1]
	v_add_f64_e32 v[24:25], v[28:29], v[24:25]
	s_wait_dscnt 0xa
	v_add_f64_e32 v[12:13], v[12:13], v[40:41]
	s_wait_dscnt 0x8
	;; [unrolled: 2-line block ×6, first 2 shown]
	v_add_f64_e32 v[18:19], v[18:19], v[34:35]
	s_load_b64 s[0:1], s[0:1], 0x48
	s_and_b32 s2, vcc_lo, s2
	s_delay_alu instid0(SALU_CYCLE_1) | instskip(NEXT) | instid1(SALU_CYCLE_1)
	s_and_saveexec_b32 s3, s2
	s_xor_b32 s2, exec_lo, s3
	s_cbranch_execz .LBB136_27
; %bb.26:
	v_mul_f64_e64 v[6:7], v[24:25], -v[4:5]
	v_mul_f64_e32 v[8:9], v[2:3], v[24:25]
	v_mul_f64_e64 v[24:25], v[22:23], -v[4:5]
	v_mul_f64_e32 v[26:27], v[2:3], v[22:23]
	;; [unrolled: 2-line block ×4, first 2 shown]
                                        ; implicit-def: $vgpr18_vgpr19
	v_fmac_f64_e32 v[6:7], v[2:3], v[0:1]
	v_fmac_f64_e32 v[8:9], v[4:5], v[0:1]
	;; [unrolled: 1-line block ×8, first 2 shown]
	v_lshlrev_b32_e32 v0, 2, v10
                                        ; implicit-def: $vgpr10
                                        ; implicit-def: $vgpr12_vgpr13
                                        ; implicit-def: $vgpr14_vgpr15
                                        ; implicit-def: $vgpr16_vgpr17
                                        ; implicit-def: $vgpr4_vgpr5
	s_wait_kmcnt 0x0
	s_clause 0x3
	global_store_b128 v0, v[6:9], s[0:1] scale_offset
	global_store_b128 v0, v[24:27], s[0:1] offset:16 scale_offset
	global_store_b128 v0, v[28:31], s[0:1] offset:32 scale_offset
	;; [unrolled: 1-line block ×3, first 2 shown]
                                        ; implicit-def: $vgpr0_vgpr1
                                        ; implicit-def: $vgpr24_vgpr25
                                        ; implicit-def: $vgpr22_vgpr23
                                        ; implicit-def: $vgpr20_vgpr21
                                        ; implicit-def: $vgpr8_vgpr9
.LBB136_27:
	s_wait_xcnt 0x0
	s_and_not1_saveexec_b32 s2, s2
	s_cbranch_execz .LBB136_29
; %bb.28:
	v_dual_mul_f64 v[42:43], v[24:25], -v[4:5] :: v_dual_lshlrev_b32 v52, 2, v10
	v_mul_f64_e32 v[24:25], v[2:3], v[24:25]
	v_mul_f64_e64 v[46:47], v[22:23], -v[4:5]
	v_mul_f64_e32 v[44:45], v[2:3], v[22:23]
	s_wait_kmcnt 0x0
	s_clause 0x3
	global_load_b128 v[26:29], v52, s[0:1] scale_offset
	global_load_b128 v[30:33], v52, s[0:1] offset:16 scale_offset
	global_load_b128 v[34:37], v52, s[0:1] offset:32 scale_offset
	;; [unrolled: 1-line block ×3, first 2 shown]
	v_mul_f64_e64 v[48:49], v[20:21], -v[4:5]
	v_mul_f64_e32 v[20:21], v[2:3], v[20:21]
	v_mul_f64_e64 v[50:51], v[18:19], -v[4:5]
	v_mul_f64_e32 v[10:11], v[2:3], v[18:19]
	v_fmac_f64_e32 v[42:43], v[2:3], v[0:1]
	v_fmac_f64_e32 v[24:25], v[4:5], v[0:1]
	;; [unrolled: 1-line block ×8, first 2 shown]
	s_wait_loadcnt 0x3
	v_fmac_f64_e32 v[42:43], v[6:7], v[26:27]
	v_fmac_f64_e32 v[24:25], v[8:9], v[26:27]
	s_wait_loadcnt 0x2
	v_fmac_f64_e32 v[46:47], v[6:7], v[30:31]
	v_fmac_f64_e32 v[44:45], v[8:9], v[30:31]
	;; [unrolled: 3-line block ×4, first 2 shown]
	v_fma_f64 v[22:23], -v[8:9], v[28:29], v[42:43]
	v_fmac_f64_e32 v[24:25], v[6:7], v[28:29]
	v_fma_f64 v[42:43], -v[8:9], v[32:33], v[46:47]
	v_fmac_f64_e32 v[44:45], v[6:7], v[32:33]
	v_fma_f64 v[18:19], -v[8:9], v[36:37], v[48:49]
	v_fmac_f64_e32 v[20:21], v[6:7], v[36:37]
	v_fma_f64 v[8:9], -v[8:9], v[40:41], v[50:51]
	v_fmac_f64_e32 v[10:11], v[6:7], v[40:41]
	s_clause 0x3
	global_store_b128 v52, v[22:25], s[0:1] scale_offset
	global_store_b128 v52, v[42:45], s[0:1] offset:16 scale_offset
	global_store_b128 v52, v[18:21], s[0:1] offset:32 scale_offset
	;; [unrolled: 1-line block ×3, first 2 shown]
.LBB136_29:
	s_sendmsg sendmsg(MSG_DEALLOC_VGPRS)
	s_endpgm
	.section	.rodata,"a",@progbits
	.p2align	6, 0x0
	.amdhsa_kernel _ZN9rocsparseL19gebsrmvn_4xn_kernelILj128ELj7ELj4E21rocsparse_complex_numIdEEEvi20rocsparse_direction_NS_24const_host_device_scalarIT2_EEPKiS8_PKS5_SA_S6_PS5_21rocsparse_index_base_b
		.amdhsa_group_segment_fixed_size 0
		.amdhsa_private_segment_fixed_size 0
		.amdhsa_kernarg_size 88
		.amdhsa_user_sgpr_count 2
		.amdhsa_user_sgpr_dispatch_ptr 0
		.amdhsa_user_sgpr_queue_ptr 0
		.amdhsa_user_sgpr_kernarg_segment_ptr 1
		.amdhsa_user_sgpr_dispatch_id 0
		.amdhsa_user_sgpr_kernarg_preload_length 0
		.amdhsa_user_sgpr_kernarg_preload_offset 0
		.amdhsa_user_sgpr_private_segment_size 0
		.amdhsa_wavefront_size32 1
		.amdhsa_uses_dynamic_stack 0
		.amdhsa_enable_private_segment 0
		.amdhsa_system_sgpr_workgroup_id_x 1
		.amdhsa_system_sgpr_workgroup_id_y 0
		.amdhsa_system_sgpr_workgroup_id_z 0
		.amdhsa_system_sgpr_workgroup_info 0
		.amdhsa_system_vgpr_workitem_id 0
		.amdhsa_next_free_vgpr 70
		.amdhsa_next_free_sgpr 14
		.amdhsa_named_barrier_count 0
		.amdhsa_reserve_vcc 1
		.amdhsa_float_round_mode_32 0
		.amdhsa_float_round_mode_16_64 0
		.amdhsa_float_denorm_mode_32 3
		.amdhsa_float_denorm_mode_16_64 3
		.amdhsa_fp16_overflow 0
		.amdhsa_memory_ordered 1
		.amdhsa_forward_progress 1
		.amdhsa_inst_pref_size 21
		.amdhsa_round_robin_scheduling 0
		.amdhsa_exception_fp_ieee_invalid_op 0
		.amdhsa_exception_fp_denorm_src 0
		.amdhsa_exception_fp_ieee_div_zero 0
		.amdhsa_exception_fp_ieee_overflow 0
		.amdhsa_exception_fp_ieee_underflow 0
		.amdhsa_exception_fp_ieee_inexact 0
		.amdhsa_exception_int_div_zero 0
	.end_amdhsa_kernel
	.section	.text._ZN9rocsparseL19gebsrmvn_4xn_kernelILj128ELj7ELj4E21rocsparse_complex_numIdEEEvi20rocsparse_direction_NS_24const_host_device_scalarIT2_EEPKiS8_PKS5_SA_S6_PS5_21rocsparse_index_base_b,"axG",@progbits,_ZN9rocsparseL19gebsrmvn_4xn_kernelILj128ELj7ELj4E21rocsparse_complex_numIdEEEvi20rocsparse_direction_NS_24const_host_device_scalarIT2_EEPKiS8_PKS5_SA_S6_PS5_21rocsparse_index_base_b,comdat
.Lfunc_end136:
	.size	_ZN9rocsparseL19gebsrmvn_4xn_kernelILj128ELj7ELj4E21rocsparse_complex_numIdEEEvi20rocsparse_direction_NS_24const_host_device_scalarIT2_EEPKiS8_PKS5_SA_S6_PS5_21rocsparse_index_base_b, .Lfunc_end136-_ZN9rocsparseL19gebsrmvn_4xn_kernelILj128ELj7ELj4E21rocsparse_complex_numIdEEEvi20rocsparse_direction_NS_24const_host_device_scalarIT2_EEPKiS8_PKS5_SA_S6_PS5_21rocsparse_index_base_b
                                        ; -- End function
	.set _ZN9rocsparseL19gebsrmvn_4xn_kernelILj128ELj7ELj4E21rocsparse_complex_numIdEEEvi20rocsparse_direction_NS_24const_host_device_scalarIT2_EEPKiS8_PKS5_SA_S6_PS5_21rocsparse_index_base_b.num_vgpr, 70
	.set _ZN9rocsparseL19gebsrmvn_4xn_kernelILj128ELj7ELj4E21rocsparse_complex_numIdEEEvi20rocsparse_direction_NS_24const_host_device_scalarIT2_EEPKiS8_PKS5_SA_S6_PS5_21rocsparse_index_base_b.num_agpr, 0
	.set _ZN9rocsparseL19gebsrmvn_4xn_kernelILj128ELj7ELj4E21rocsparse_complex_numIdEEEvi20rocsparse_direction_NS_24const_host_device_scalarIT2_EEPKiS8_PKS5_SA_S6_PS5_21rocsparse_index_base_b.numbered_sgpr, 14
	.set _ZN9rocsparseL19gebsrmvn_4xn_kernelILj128ELj7ELj4E21rocsparse_complex_numIdEEEvi20rocsparse_direction_NS_24const_host_device_scalarIT2_EEPKiS8_PKS5_SA_S6_PS5_21rocsparse_index_base_b.num_named_barrier, 0
	.set _ZN9rocsparseL19gebsrmvn_4xn_kernelILj128ELj7ELj4E21rocsparse_complex_numIdEEEvi20rocsparse_direction_NS_24const_host_device_scalarIT2_EEPKiS8_PKS5_SA_S6_PS5_21rocsparse_index_base_b.private_seg_size, 0
	.set _ZN9rocsparseL19gebsrmvn_4xn_kernelILj128ELj7ELj4E21rocsparse_complex_numIdEEEvi20rocsparse_direction_NS_24const_host_device_scalarIT2_EEPKiS8_PKS5_SA_S6_PS5_21rocsparse_index_base_b.uses_vcc, 1
	.set _ZN9rocsparseL19gebsrmvn_4xn_kernelILj128ELj7ELj4E21rocsparse_complex_numIdEEEvi20rocsparse_direction_NS_24const_host_device_scalarIT2_EEPKiS8_PKS5_SA_S6_PS5_21rocsparse_index_base_b.uses_flat_scratch, 0
	.set _ZN9rocsparseL19gebsrmvn_4xn_kernelILj128ELj7ELj4E21rocsparse_complex_numIdEEEvi20rocsparse_direction_NS_24const_host_device_scalarIT2_EEPKiS8_PKS5_SA_S6_PS5_21rocsparse_index_base_b.has_dyn_sized_stack, 0
	.set _ZN9rocsparseL19gebsrmvn_4xn_kernelILj128ELj7ELj4E21rocsparse_complex_numIdEEEvi20rocsparse_direction_NS_24const_host_device_scalarIT2_EEPKiS8_PKS5_SA_S6_PS5_21rocsparse_index_base_b.has_recursion, 0
	.set _ZN9rocsparseL19gebsrmvn_4xn_kernelILj128ELj7ELj4E21rocsparse_complex_numIdEEEvi20rocsparse_direction_NS_24const_host_device_scalarIT2_EEPKiS8_PKS5_SA_S6_PS5_21rocsparse_index_base_b.has_indirect_call, 0
	.section	.AMDGPU.csdata,"",@progbits
; Kernel info:
; codeLenInByte = 2632
; TotalNumSgprs: 16
; NumVgprs: 70
; ScratchSize: 0
; MemoryBound: 0
; FloatMode: 240
; IeeeMode: 1
; LDSByteSize: 0 bytes/workgroup (compile time only)
; SGPRBlocks: 0
; VGPRBlocks: 4
; NumSGPRsForWavesPerEU: 16
; NumVGPRsForWavesPerEU: 70
; NamedBarCnt: 0
; Occupancy: 12
; WaveLimiterHint : 1
; COMPUTE_PGM_RSRC2:SCRATCH_EN: 0
; COMPUTE_PGM_RSRC2:USER_SGPR: 2
; COMPUTE_PGM_RSRC2:TRAP_HANDLER: 0
; COMPUTE_PGM_RSRC2:TGID_X_EN: 1
; COMPUTE_PGM_RSRC2:TGID_Y_EN: 0
; COMPUTE_PGM_RSRC2:TGID_Z_EN: 0
; COMPUTE_PGM_RSRC2:TIDIG_COMP_CNT: 0
	.section	.text._ZN9rocsparseL19gebsrmvn_4xn_kernelILj128ELj7ELj8E21rocsparse_complex_numIdEEEvi20rocsparse_direction_NS_24const_host_device_scalarIT2_EEPKiS8_PKS5_SA_S6_PS5_21rocsparse_index_base_b,"axG",@progbits,_ZN9rocsparseL19gebsrmvn_4xn_kernelILj128ELj7ELj8E21rocsparse_complex_numIdEEEvi20rocsparse_direction_NS_24const_host_device_scalarIT2_EEPKiS8_PKS5_SA_S6_PS5_21rocsparse_index_base_b,comdat
	.globl	_ZN9rocsparseL19gebsrmvn_4xn_kernelILj128ELj7ELj8E21rocsparse_complex_numIdEEEvi20rocsparse_direction_NS_24const_host_device_scalarIT2_EEPKiS8_PKS5_SA_S6_PS5_21rocsparse_index_base_b ; -- Begin function _ZN9rocsparseL19gebsrmvn_4xn_kernelILj128ELj7ELj8E21rocsparse_complex_numIdEEEvi20rocsparse_direction_NS_24const_host_device_scalarIT2_EEPKiS8_PKS5_SA_S6_PS5_21rocsparse_index_base_b
	.p2align	8
	.type	_ZN9rocsparseL19gebsrmvn_4xn_kernelILj128ELj7ELj8E21rocsparse_complex_numIdEEEvi20rocsparse_direction_NS_24const_host_device_scalarIT2_EEPKiS8_PKS5_SA_S6_PS5_21rocsparse_index_base_b,@function
_ZN9rocsparseL19gebsrmvn_4xn_kernelILj128ELj7ELj8E21rocsparse_complex_numIdEEEvi20rocsparse_direction_NS_24const_host_device_scalarIT2_EEPKiS8_PKS5_SA_S6_PS5_21rocsparse_index_base_b: ; @_ZN9rocsparseL19gebsrmvn_4xn_kernelILj128ELj7ELj8E21rocsparse_complex_numIdEEEvi20rocsparse_direction_NS_24const_host_device_scalarIT2_EEPKiS8_PKS5_SA_S6_PS5_21rocsparse_index_base_b
; %bb.0:
	s_clause 0x1
	s_load_b64 s[12:13], s[0:1], 0x50
	s_load_b64 s[2:3], s[0:1], 0x8
	v_mov_b32_e32 v1, 0
	s_add_nc_u64 s[4:5], s[0:1], 8
	s_load_b64 s[6:7], s[0:1], 0x38
	s_wait_kmcnt 0x0
	s_bitcmp1_b32 s13, 0
	s_cselect_b32 s3, s5, s3
	s_cselect_b32 s2, s4, s2
	flat_load_b128 v[2:5], v1, s[2:3]
	s_wait_xcnt 0x0
	s_add_nc_u64 s[2:3], s[0:1], 56
	s_delay_alu instid0(SALU_CYCLE_1)
	s_cselect_b32 s3, s3, s7
	s_cselect_b32 s2, s2, s6
	flat_load_b128 v[6:9], v1, s[2:3]
	s_wait_loadcnt_dscnt 0x101
	v_cmp_eq_f64_e32 vcc_lo, 0, v[2:3]
	s_wait_xcnt 0x0
	v_cmp_eq_f64_e64 s2, 0, v[4:5]
	s_and_b32 s4, vcc_lo, s2
	s_mov_b32 s2, -1
	s_and_saveexec_b32 s3, s4
	s_cbranch_execz .LBB137_2
; %bb.1:
	s_wait_loadcnt_dscnt 0x0
	v_cmp_neq_f64_e32 vcc_lo, 1.0, v[6:7]
	v_cmp_neq_f64_e64 s2, 0, v[8:9]
	s_or_b32 s2, vcc_lo, s2
	s_delay_alu instid0(SALU_CYCLE_1)
	s_or_not1_b32 s2, s2, exec_lo
.LBB137_2:
	s_or_b32 exec_lo, exec_lo, s3
	s_and_saveexec_b32 s3, s2
	s_cbranch_execz .LBB137_29
; %bb.3:
	s_load_b64 s[2:3], s[0:1], 0x0
	s_bfe_u32 s4, ttmp6, 0x4000c
	s_and_b32 s5, ttmp6, 15
	s_add_co_i32 s4, s4, 1
	s_getreg_b32 s6, hwreg(HW_REG_IB_STS2, 6, 4)
	s_mul_i32 s4, ttmp9, s4
	v_lshrrev_b32_e32 v1, 3, v0
	s_add_co_i32 s5, s5, s4
	s_cmp_eq_u32 s6, 0
	s_cselect_b32 s4, ttmp9, s5
	s_delay_alu instid0(VALU_DEP_1) | instid1(SALU_CYCLE_1)
	v_lshl_or_b32 v10, s4, 4, v1
	s_wait_kmcnt 0x0
	s_delay_alu instid0(VALU_DEP_1)
	v_cmp_gt_i32_e32 vcc_lo, s2, v10
	s_and_b32 exec_lo, exec_lo, vcc_lo
	s_cbranch_execz .LBB137_29
; %bb.4:
	s_load_b256 s[4:11], s[0:1], 0x18
	v_ashrrev_i32_e32 v11, 31, v10
	s_cmp_lg_u32 s3, 0
	s_wait_kmcnt 0x0
	s_delay_alu instid0(VALU_DEP_1)
	v_lshl_add_u64 v[12:13], v[10:11], 2, s[4:5]
	v_and_b32_e32 v11, 7, v0
	global_load_b64 v[26:27], v[12:13], off
	s_wait_loadcnt 0x0
	v_subrev_nc_u32_e32 v0, s12, v26
	v_subrev_nc_u32_e32 v44, s12, v27
	s_delay_alu instid0(VALU_DEP_2) | instskip(NEXT) | instid1(VALU_DEP_1)
	v_add_nc_u32_e32 v45, v0, v11
	v_cmp_lt_i32_e64 s2, v45, v44
	s_cbranch_scc0 .LBB137_12
; %bb.5:
	v_mov_b64_e32 v[0:1], 0
	v_mov_b64_e32 v[12:13], 0
	;; [unrolled: 1-line block ×8, first 2 shown]
	s_and_saveexec_b32 s3, s2
	s_cbranch_execz .LBB137_14
; %bb.6:
	v_mul_lo_u32 v27, v45, 28
	v_mov_b64_e32 v[0:1], 0
	v_mov_b64_e32 v[12:13], 0
	;; [unrolled: 1-line block ×8, first 2 shown]
	v_mov_b32_e32 v46, v45
	s_mov_b32 s4, 0
	s_branch .LBB137_8
.LBB137_7:                              ;   in Loop: Header=BB137_8 Depth=1
	v_add_nc_u32_e32 v46, 8, v46
	v_add_nc_u32_e32 v27, 0xe0, v27
	s_delay_alu instid0(VALU_DEP_2) | instskip(SKIP_1) | instid1(SALU_CYCLE_1)
	v_cmp_ge_i32_e32 vcc_lo, v46, v44
	s_or_b32 s4, vcc_lo, s4
	s_and_not1_b32 exec_lo, exec_lo, s4
	s_cbranch_execz .LBB137_13
.LBB137_8:                              ; =>This Loop Header: Depth=1
                                        ;     Child Loop BB137_10 Depth 2
	global_load_b32 v28, v46, s[6:7] scale_offset
	v_mov_b64_e32 v[38:39], v[12:13]
	v_mov_b64_e32 v[36:37], v[16:17]
	;; [unrolled: 1-line block ×6, first 2 shown]
	v_mov_b32_e32 v48, v27
	s_mov_b32 s5, 0
	s_wait_loadcnt 0x0
	v_subrev_nc_u32_e32 v30, s12, v28
	v_mov_b64_e32 v[28:29], v[0:1]
	s_delay_alu instid0(VALU_DEP_2)
	v_mul_lo_u32 v47, v30, 7
	v_mov_b64_e32 v[30:31], v[24:25]
	s_branch .LBB137_10
.LBB137_9:                              ;   in Loop: Header=BB137_8 Depth=1
                                        ; implicit-def: $vgpr30_vgpr31
                                        ; implicit-def: $vgpr42_vgpr43
                                        ; implicit-def: $vgpr32_vgpr33
                                        ; implicit-def: $vgpr40_vgpr41
                                        ; implicit-def: $vgpr34_vgpr35
                                        ; implicit-def: $vgpr36_vgpr37
                                        ; implicit-def: $vgpr38_vgpr39
                                        ; implicit-def: $vgpr28_vgpr29
                                        ; implicit-def: $sgpr5
                                        ; implicit-def: $vgpr48
	s_branch .LBB137_7
.LBB137_10:                             ;   Parent Loop BB137_8 Depth=1
                                        ; =>  This Inner Loop Header: Depth=2
	s_delay_alu instid0(VALU_DEP_2)
	v_add_nc_u32_e32 v49, s5, v47
	s_cmp_eq_u32 s5, 6
	global_load_b128 v[50:53], v49, s[10:11] scale_offset
	s_clause 0x3
	global_load_b128 v[54:57], v48, s[8:9] scale_offset
	global_load_b128 v[58:61], v48, s[8:9] offset:16 scale_offset
	global_load_b128 v[62:65], v48, s[8:9] offset:32 scale_offset
	;; [unrolled: 1-line block ×3, first 2 shown]
	s_wait_loadcnt 0x3
	v_fmac_f64_e32 v[28:29], v[56:57], v[50:51]
	s_wait_loadcnt 0x2
	v_fmac_f64_e32 v[30:31], v[60:61], v[50:51]
	;; [unrolled: 2-line block ×4, first 2 shown]
	v_fmac_f64_e32 v[38:39], v[54:55], v[50:51]
	v_fmac_f64_e32 v[42:43], v[58:59], v[50:51]
	;; [unrolled: 1-line block ×4, first 2 shown]
	v_mov_b64_e32 v[0:1], v[28:29]
	v_mov_b64_e32 v[24:25], v[30:31]
	;; [unrolled: 1-line block ×4, first 2 shown]
	v_fma_f64 v[12:13], -v[56:57], v[52:53], v[38:39]
	v_fma_f64 v[22:23], -v[60:61], v[52:53], v[42:43]
	;; [unrolled: 1-line block ×4, first 2 shown]
	v_fmac_f64_e32 v[0:1], v[54:55], v[52:53]
	v_fmac_f64_e32 v[24:25], v[58:59], v[52:53]
	;; [unrolled: 1-line block ×4, first 2 shown]
	s_cbranch_scc1 .LBB137_9
; %bb.11:                               ;   in Loop: Header=BB137_10 Depth=2
	v_dual_add_nc_u32 v28, 1, v49 :: v_dual_add_nc_u32 v29, 4, v48
	s_add_co_i32 s5, s5, 2
	global_load_b128 v[50:53], v28, s[10:11] scale_offset
	s_clause 0x3
	global_load_b128 v[36:39], v29, s[8:9] scale_offset
	global_load_b128 v[40:43], v29, s[8:9] offset:16 scale_offset
	global_load_b128 v[54:57], v29, s[8:9] offset:32 scale_offset
	;; [unrolled: 1-line block ×3, first 2 shown]
	s_wait_loadcnt 0x3
	v_dual_fma_f64 v[62:63], v[36:37], v[50:51], v[12:13] :: v_dual_add_nc_u32 v48, 8, v48
	s_wait_xcnt 0x0
	v_fma_f64 v[28:29], v[38:39], v[50:51], v[0:1]
	s_wait_loadcnt 0x2
	v_fma_f64 v[64:65], v[40:41], v[50:51], v[22:23]
	v_fma_f64 v[30:31], v[42:43], v[50:51], v[24:25]
	s_wait_loadcnt 0x1
	v_fma_f64 v[66:67], v[54:55], v[50:51], v[18:19]
	v_fma_f64 v[32:33], v[56:57], v[50:51], v[20:21]
	s_wait_loadcnt 0x0
	v_fma_f64 v[68:69], v[58:59], v[50:51], v[16:17]
	v_fma_f64 v[34:35], v[60:61], v[50:51], v[14:15]
	v_fma_f64 v[38:39], -v[38:39], v[52:53], v[62:63]
	v_fmac_f64_e32 v[28:29], v[36:37], v[52:53]
	v_fma_f64 v[42:43], -v[42:43], v[52:53], v[64:65]
	v_fmac_f64_e32 v[30:31], v[40:41], v[52:53]
	;; [unrolled: 2-line block ×4, first 2 shown]
	s_cbranch_execnz .LBB137_10
	s_branch .LBB137_7
.LBB137_12:
                                        ; implicit-def: $vgpr0_vgpr1
                                        ; implicit-def: $vgpr12_vgpr13
                                        ; implicit-def: $vgpr16_vgpr17
                                        ; implicit-def: $vgpr14_vgpr15
                                        ; implicit-def: $vgpr18_vgpr19
                                        ; implicit-def: $vgpr20_vgpr21
                                        ; implicit-def: $vgpr22_vgpr23
                                        ; implicit-def: $vgpr24_vgpr25
	s_branch .LBB137_15
.LBB137_13:
	s_or_b32 exec_lo, exec_lo, s4
.LBB137_14:
	s_delay_alu instid0(SALU_CYCLE_1)
	s_or_b32 exec_lo, exec_lo, s3
	s_cbranch_execnz .LBB137_24
.LBB137_15:
	v_mov_b64_e32 v[0:1], 0
	v_mov_b64_e32 v[12:13], 0
	;; [unrolled: 1-line block ×8, first 2 shown]
	s_and_saveexec_b32 s3, s2
	s_cbranch_execz .LBB137_23
; %bb.16:
	v_mul_u32_u24_e32 v0, 28, v11
	v_mul_lo_u32 v42, v45, 28
	s_mul_i32 s2, s12, 28
	v_mov_b64_e32 v[12:13], 0
	v_mov_b64_e32 v[16:17], 0
	v_mad_u32 v26, v26, 28, v0
	v_mov_b64_e32 v[0:1], 0
	v_mov_b64_e32 v[14:15], 0
	;; [unrolled: 1-line block ×6, first 2 shown]
	v_subrev_nc_u32_e32 v43, s2, v26
	s_mov_b32 s2, 0
	s_branch .LBB137_18
.LBB137_17:                             ;   in Loop: Header=BB137_18 Depth=1
	v_add_nc_u32_e32 v45, 8, v45
	v_add_nc_u32_e32 v42, 0xe0, v42
	;; [unrolled: 1-line block ×3, first 2 shown]
	s_delay_alu instid0(VALU_DEP_3) | instskip(SKIP_1) | instid1(SALU_CYCLE_1)
	v_cmp_ge_i32_e32 vcc_lo, v45, v44
	s_or_b32 s2, vcc_lo, s2
	s_and_not1_b32 exec_lo, exec_lo, s2
	s_cbranch_execz .LBB137_22
.LBB137_18:                             ; =>This Loop Header: Depth=1
                                        ;     Child Loop BB137_20 Depth 2
	global_load_b32 v26, v45, s[6:7] scale_offset
	v_mov_b64_e32 v[28:29], v[0:1]
	v_mov_b64_e32 v[38:39], v[12:13]
	;; [unrolled: 1-line block ×7, first 2 shown]
	s_mov_b32 s4, 0
	s_wait_loadcnt 0x0
	v_subrev_nc_u32_e32 v26, s12, v26
	s_delay_alu instid0(VALU_DEP_1)
	v_mul_lo_u32 v46, v26, 7
	v_mov_b64_e32 v[26:27], v[24:25]
	s_branch .LBB137_20
.LBB137_19:                             ;   in Loop: Header=BB137_20 Depth=2
	s_and_not1_b32 vcc_lo, exec_lo, s5
	s_cbranch_vccz .LBB137_17
.LBB137_20:                             ;   Parent Loop BB137_18 Depth=1
                                        ; =>  This Inner Loop Header: Depth=2
	s_delay_alu instid0(VALU_DEP_2)
	v_dual_add_nc_u32 v0, s4, v43 :: v_dual_add_nc_u32 v48, s4, v46
	s_cmp_eq_u32 s4, 6
	s_mov_b32 s5, -1
	global_load_b128 v[14:17], v0, s[8:9] scale_offset
	global_load_b128 v[50:53], v48, s[10:11] scale_offset
	s_wait_loadcnt 0x0
	v_fmac_f64_e32 v[38:39], v[14:15], v[50:51]
	v_add_nc_u32_e32 v47, s4, v42
	v_fmac_f64_e32 v[28:29], v[16:17], v[50:51]
	s_delay_alu instid0(VALU_DEP_2)
	v_dual_add_nc_u32 v0, 7, v47 :: v_dual_add_nc_u32 v1, 14, v47
	v_add_nc_u32_e32 v12, 21, v47
	s_clause 0x2
	global_load_b128 v[54:57], v0, s[8:9] scale_offset
	global_load_b128 v[58:61], v1, s[8:9] scale_offset
	global_load_b128 v[62:65], v12, s[8:9] scale_offset
	s_wait_xcnt 0x0
	v_fma_f64 v[12:13], -v[16:17], v[52:53], v[38:39]
                                        ; implicit-def: $vgpr38_vgpr39
	v_mov_b64_e32 v[0:1], v[28:29]
                                        ; implicit-def: $vgpr28_vgpr29
	s_delay_alu instid0(VALU_DEP_1)
	v_fmac_f64_e32 v[0:1], v[14:15], v[52:53]
	s_wait_loadcnt 0x2
	v_fmac_f64_e32 v[26:27], v[56:57], v[50:51]
	s_wait_loadcnt 0x1
	;; [unrolled: 2-line block ×3, first 2 shown]
	v_fmac_f64_e32 v[32:33], v[64:65], v[50:51]
	v_fmac_f64_e32 v[40:41], v[54:55], v[50:51]
	;; [unrolled: 1-line block ×4, first 2 shown]
	v_mov_b64_e32 v[24:25], v[26:27]
	v_mov_b64_e32 v[20:21], v[30:31]
	v_mov_b64_e32 v[14:15], v[32:33]
	v_fma_f64 v[22:23], -v[56:57], v[52:53], v[40:41]
	v_fma_f64 v[18:19], -v[60:61], v[52:53], v[34:35]
	;; [unrolled: 1-line block ×3, first 2 shown]
                                        ; implicit-def: $vgpr26_vgpr27
                                        ; implicit-def: $vgpr40_vgpr41
                                        ; implicit-def: $vgpr30_vgpr31
                                        ; implicit-def: $vgpr34_vgpr35
                                        ; implicit-def: $vgpr32_vgpr33
                                        ; implicit-def: $vgpr36_vgpr37
	v_fmac_f64_e32 v[24:25], v[54:55], v[52:53]
	v_fmac_f64_e32 v[20:21], v[58:59], v[52:53]
	;; [unrolled: 1-line block ×3, first 2 shown]
	s_cbranch_scc1 .LBB137_19
; %bb.21:                               ;   in Loop: Header=BB137_20 Depth=2
	v_dual_add_nc_u32 v26, 1, v47 :: v_dual_add_nc_u32 v27, 1, v48
	v_dual_add_nc_u32 v28, 8, v47 :: v_dual_add_nc_u32 v29, 15, v47
	s_add_co_i32 s4, s4, 2
	global_load_b128 v[34:37], v26, s[8:9] scale_offset
	global_load_b128 v[48:51], v27, s[10:11] scale_offset
	s_wait_xcnt 0x1
	v_add_nc_u32_e32 v26, 22, v47
	s_mov_b32 s5, 0
	s_wait_loadcnt 0x0
	v_fma_f64 v[38:39], v[34:35], v[48:49], v[12:13]
	s_clause 0x2
	global_load_b128 v[52:55], v28, s[8:9] scale_offset
	global_load_b128 v[56:59], v29, s[8:9] scale_offset
	;; [unrolled: 1-line block ×3, first 2 shown]
	s_wait_xcnt 0x1
	v_fma_f64 v[28:29], v[36:37], v[48:49], v[0:1]
	v_fma_f64 v[38:39], -v[36:37], v[50:51], v[38:39]
	s_delay_alu instid0(VALU_DEP_2)
	v_fmac_f64_e32 v[28:29], v[34:35], v[50:51]
	s_wait_loadcnt 0x2
	v_fma_f64 v[40:41], v[52:53], v[48:49], v[22:23]
	s_wait_xcnt 0x0
	v_fma_f64 v[26:27], v[54:55], v[48:49], v[24:25]
	s_wait_loadcnt 0x1
	v_fma_f64 v[64:65], v[56:57], v[48:49], v[18:19]
	v_fma_f64 v[30:31], v[58:59], v[48:49], v[20:21]
	s_wait_loadcnt 0x0
	v_fma_f64 v[66:67], v[60:61], v[48:49], v[16:17]
	v_fma_f64 v[32:33], v[62:63], v[48:49], v[14:15]
	v_fma_f64 v[40:41], -v[54:55], v[50:51], v[40:41]
	v_fmac_f64_e32 v[26:27], v[52:53], v[50:51]
	v_fma_f64 v[34:35], -v[58:59], v[50:51], v[64:65]
	v_fmac_f64_e32 v[30:31], v[56:57], v[50:51]
	;; [unrolled: 2-line block ×3, first 2 shown]
	s_branch .LBB137_19
.LBB137_22:
	s_or_b32 exec_lo, exec_lo, s2
.LBB137_23:
	s_delay_alu instid0(SALU_CYCLE_1)
	s_or_b32 exec_lo, exec_lo, s3
.LBB137_24:
	v_mbcnt_lo_u32_b32 v44, -1, 0
	s_delay_alu instid0(VALU_DEP_1) | instskip(NEXT) | instid1(VALU_DEP_1)
	v_xor_b32_e32 v26, 4, v44
	v_cmp_gt_i32_e32 vcc_lo, 32, v26
	v_cndmask_b32_e32 v26, v44, v26, vcc_lo
	s_delay_alu instid0(VALU_DEP_1)
	v_lshlrev_b32_e32 v41, 2, v26
	ds_bpermute_b32 v26, v41, v12
	ds_bpermute_b32 v27, v41, v13
	;; [unrolled: 1-line block ×4, first 2 shown]
	s_wait_dscnt 0x2
	v_add_f64_e32 v[12:13], v[12:13], v[26:27]
	s_wait_dscnt 0x0
	v_add_f64_e32 v[26:27], v[0:1], v[28:29]
	ds_bpermute_b32 v30, v41, v22
	ds_bpermute_b32 v31, v41, v23
	;; [unrolled: 1-line block ×12, first 2 shown]
	v_xor_b32_e32 v0, 2, v44
	s_delay_alu instid0(VALU_DEP_1)
	v_cmp_gt_i32_e32 vcc_lo, 32, v0
	s_wait_dscnt 0xa
	v_dual_add_f64 v[22:23], v[22:23], v[30:31] :: v_dual_cndmask_b32 v0, v44, v0, vcc_lo
	s_wait_dscnt 0x8
	v_add_f64_e32 v[28:29], v[24:25], v[32:33]
	s_wait_dscnt 0x6
	v_add_f64_e32 v[18:19], v[18:19], v[34:35]
	;; [unrolled: 2-line block ×3, first 2 shown]
	s_wait_dscnt 0x2
	v_dual_add_f64 v[16:17], v[16:17], v[38:39] :: v_dual_lshlrev_b32 v24, 2, v0
	s_wait_dscnt 0x0
	v_add_f64_e32 v[30:31], v[14:15], v[40:41]
	ds_bpermute_b32 v14, v24, v26
	ds_bpermute_b32 v15, v24, v27
	ds_bpermute_b32 v0, v24, v12
	ds_bpermute_b32 v1, v24, v13
	ds_bpermute_b32 v32, v24, v22
	ds_bpermute_b32 v33, v24, v23
	ds_bpermute_b32 v34, v24, v28
	ds_bpermute_b32 v35, v24, v29
	ds_bpermute_b32 v36, v24, v18
	ds_bpermute_b32 v37, v24, v19
	ds_bpermute_b32 v38, v24, v20
	ds_bpermute_b32 v39, v24, v21
	ds_bpermute_b32 v40, v24, v16
	ds_bpermute_b32 v41, v24, v17
	ds_bpermute_b32 v42, v24, v30
	ds_bpermute_b32 v43, v24, v31
	s_wait_dscnt 0xe
	v_dual_add_f64 v[24:25], v[26:27], v[14:15] :: v_dual_bitop2_b32 v26, 1, v44 bitop3:0x14
	s_wait_dscnt 0xc
	v_add_f64_e32 v[0:1], v[12:13], v[0:1]
	s_delay_alu instid0(VALU_DEP_2)
	v_cmp_gt_i32_e32 vcc_lo, 32, v26
	s_wait_dscnt 0xa
	v_dual_add_f64 v[12:13], v[22:23], v[32:33] :: v_dual_cndmask_b32 v26, v44, v26, vcc_lo
	s_wait_dscnt 0x8
	v_add_f64_e32 v[22:23], v[28:29], v[34:35]
	s_wait_dscnt 0x6
	v_add_f64_e32 v[14:15], v[18:19], v[36:37]
	v_cmp_eq_u32_e32 vcc_lo, 7, v11
	v_lshlrev_b32_e32 v29, 2, v26
	s_wait_dscnt 0x4
	v_add_f64_e32 v[20:21], v[20:21], v[38:39]
	s_wait_dscnt 0x2
	v_add_f64_e32 v[16:17], v[16:17], v[40:41]
	;; [unrolled: 2-line block ×3, first 2 shown]
	ds_bpermute_b32 v38, v29, v24
	ds_bpermute_b32 v39, v29, v25
	;; [unrolled: 1-line block ×16, first 2 shown]
	s_and_b32 exec_lo, exec_lo, vcc_lo
	s_cbranch_execz .LBB137_29
; %bb.25:
	v_cmp_eq_f64_e32 vcc_lo, 0, v[6:7]
	v_cmp_eq_f64_e64 s2, 0, v[8:9]
	s_wait_dscnt 0xc
	v_add_f64_e32 v[0:1], v[0:1], v[40:41]
	v_add_f64_e32 v[24:25], v[24:25], v[38:39]
	s_wait_dscnt 0xa
	v_add_f64_e32 v[12:13], v[12:13], v[36:37]
	s_wait_dscnt 0x8
	v_add_f64_e32 v[22:23], v[22:23], v[34:35]
	s_wait_dscnt 0x6
	v_add_f64_e32 v[14:15], v[14:15], v[32:33]
	s_wait_dscnt 0x4
	v_add_f64_e32 v[20:21], v[20:21], v[30:31]
	s_wait_dscnt 0x2
	v_add_f64_e32 v[16:17], v[16:17], v[26:27]
	s_wait_dscnt 0x0
	v_add_f64_e32 v[18:19], v[18:19], v[28:29]
	s_load_b64 s[0:1], s[0:1], 0x48
	s_and_b32 s2, vcc_lo, s2
	s_delay_alu instid0(SALU_CYCLE_1) | instskip(NEXT) | instid1(SALU_CYCLE_1)
	s_and_saveexec_b32 s3, s2
	s_xor_b32 s2, exec_lo, s3
	s_cbranch_execz .LBB137_27
; %bb.26:
	v_mul_f64_e64 v[6:7], v[24:25], -v[4:5]
	v_mul_f64_e32 v[8:9], v[2:3], v[24:25]
	v_mul_f64_e64 v[24:25], v[22:23], -v[4:5]
	v_mul_f64_e32 v[26:27], v[2:3], v[22:23]
	;; [unrolled: 2-line block ×4, first 2 shown]
                                        ; implicit-def: $vgpr18_vgpr19
	v_fmac_f64_e32 v[6:7], v[2:3], v[0:1]
	v_fmac_f64_e32 v[8:9], v[4:5], v[0:1]
	;; [unrolled: 1-line block ×8, first 2 shown]
	v_lshlrev_b32_e32 v0, 2, v10
                                        ; implicit-def: $vgpr10
                                        ; implicit-def: $vgpr12_vgpr13
                                        ; implicit-def: $vgpr14_vgpr15
                                        ; implicit-def: $vgpr16_vgpr17
                                        ; implicit-def: $vgpr4_vgpr5
	s_wait_kmcnt 0x0
	s_clause 0x3
	global_store_b128 v0, v[6:9], s[0:1] scale_offset
	global_store_b128 v0, v[24:27], s[0:1] offset:16 scale_offset
	global_store_b128 v0, v[28:31], s[0:1] offset:32 scale_offset
	;; [unrolled: 1-line block ×3, first 2 shown]
                                        ; implicit-def: $vgpr0_vgpr1
                                        ; implicit-def: $vgpr24_vgpr25
                                        ; implicit-def: $vgpr22_vgpr23
                                        ; implicit-def: $vgpr20_vgpr21
                                        ; implicit-def: $vgpr8_vgpr9
.LBB137_27:
	s_wait_xcnt 0x0
	s_and_not1_saveexec_b32 s2, s2
	s_cbranch_execz .LBB137_29
; %bb.28:
	v_dual_mul_f64 v[42:43], v[24:25], -v[4:5] :: v_dual_lshlrev_b32 v52, 2, v10
	v_mul_f64_e32 v[24:25], v[2:3], v[24:25]
	v_mul_f64_e64 v[46:47], v[22:23], -v[4:5]
	v_mul_f64_e32 v[44:45], v[2:3], v[22:23]
	s_wait_kmcnt 0x0
	s_clause 0x3
	global_load_b128 v[26:29], v52, s[0:1] scale_offset
	global_load_b128 v[30:33], v52, s[0:1] offset:16 scale_offset
	global_load_b128 v[34:37], v52, s[0:1] offset:32 scale_offset
	;; [unrolled: 1-line block ×3, first 2 shown]
	v_mul_f64_e64 v[48:49], v[20:21], -v[4:5]
	v_mul_f64_e32 v[20:21], v[2:3], v[20:21]
	v_mul_f64_e64 v[50:51], v[18:19], -v[4:5]
	v_mul_f64_e32 v[10:11], v[2:3], v[18:19]
	v_fmac_f64_e32 v[42:43], v[2:3], v[0:1]
	v_fmac_f64_e32 v[24:25], v[4:5], v[0:1]
	;; [unrolled: 1-line block ×8, first 2 shown]
	s_wait_loadcnt 0x3
	v_fmac_f64_e32 v[42:43], v[6:7], v[26:27]
	v_fmac_f64_e32 v[24:25], v[8:9], v[26:27]
	s_wait_loadcnt 0x2
	v_fmac_f64_e32 v[46:47], v[6:7], v[30:31]
	v_fmac_f64_e32 v[44:45], v[8:9], v[30:31]
	;; [unrolled: 3-line block ×4, first 2 shown]
	v_fma_f64 v[22:23], -v[8:9], v[28:29], v[42:43]
	v_fmac_f64_e32 v[24:25], v[6:7], v[28:29]
	v_fma_f64 v[42:43], -v[8:9], v[32:33], v[46:47]
	v_fmac_f64_e32 v[44:45], v[6:7], v[32:33]
	;; [unrolled: 2-line block ×4, first 2 shown]
	s_clause 0x3
	global_store_b128 v52, v[22:25], s[0:1] scale_offset
	global_store_b128 v52, v[42:45], s[0:1] offset:16 scale_offset
	global_store_b128 v52, v[18:21], s[0:1] offset:32 scale_offset
	;; [unrolled: 1-line block ×3, first 2 shown]
.LBB137_29:
	s_sendmsg sendmsg(MSG_DEALLOC_VGPRS)
	s_endpgm
	.section	.rodata,"a",@progbits
	.p2align	6, 0x0
	.amdhsa_kernel _ZN9rocsparseL19gebsrmvn_4xn_kernelILj128ELj7ELj8E21rocsparse_complex_numIdEEEvi20rocsparse_direction_NS_24const_host_device_scalarIT2_EEPKiS8_PKS5_SA_S6_PS5_21rocsparse_index_base_b
		.amdhsa_group_segment_fixed_size 0
		.amdhsa_private_segment_fixed_size 0
		.amdhsa_kernarg_size 88
		.amdhsa_user_sgpr_count 2
		.amdhsa_user_sgpr_dispatch_ptr 0
		.amdhsa_user_sgpr_queue_ptr 0
		.amdhsa_user_sgpr_kernarg_segment_ptr 1
		.amdhsa_user_sgpr_dispatch_id 0
		.amdhsa_user_sgpr_kernarg_preload_length 0
		.amdhsa_user_sgpr_kernarg_preload_offset 0
		.amdhsa_user_sgpr_private_segment_size 0
		.amdhsa_wavefront_size32 1
		.amdhsa_uses_dynamic_stack 0
		.amdhsa_enable_private_segment 0
		.amdhsa_system_sgpr_workgroup_id_x 1
		.amdhsa_system_sgpr_workgroup_id_y 0
		.amdhsa_system_sgpr_workgroup_id_z 0
		.amdhsa_system_sgpr_workgroup_info 0
		.amdhsa_system_vgpr_workitem_id 0
		.amdhsa_next_free_vgpr 70
		.amdhsa_next_free_sgpr 14
		.amdhsa_named_barrier_count 0
		.amdhsa_reserve_vcc 1
		.amdhsa_float_round_mode_32 0
		.amdhsa_float_round_mode_16_64 0
		.amdhsa_float_denorm_mode_32 3
		.amdhsa_float_denorm_mode_16_64 3
		.amdhsa_fp16_overflow 0
		.amdhsa_memory_ordered 1
		.amdhsa_forward_progress 1
		.amdhsa_inst_pref_size 23
		.amdhsa_round_robin_scheduling 0
		.amdhsa_exception_fp_ieee_invalid_op 0
		.amdhsa_exception_fp_denorm_src 0
		.amdhsa_exception_fp_ieee_div_zero 0
		.amdhsa_exception_fp_ieee_overflow 0
		.amdhsa_exception_fp_ieee_underflow 0
		.amdhsa_exception_fp_ieee_inexact 0
		.amdhsa_exception_int_div_zero 0
	.end_amdhsa_kernel
	.section	.text._ZN9rocsparseL19gebsrmvn_4xn_kernelILj128ELj7ELj8E21rocsparse_complex_numIdEEEvi20rocsparse_direction_NS_24const_host_device_scalarIT2_EEPKiS8_PKS5_SA_S6_PS5_21rocsparse_index_base_b,"axG",@progbits,_ZN9rocsparseL19gebsrmvn_4xn_kernelILj128ELj7ELj8E21rocsparse_complex_numIdEEEvi20rocsparse_direction_NS_24const_host_device_scalarIT2_EEPKiS8_PKS5_SA_S6_PS5_21rocsparse_index_base_b,comdat
.Lfunc_end137:
	.size	_ZN9rocsparseL19gebsrmvn_4xn_kernelILj128ELj7ELj8E21rocsparse_complex_numIdEEEvi20rocsparse_direction_NS_24const_host_device_scalarIT2_EEPKiS8_PKS5_SA_S6_PS5_21rocsparse_index_base_b, .Lfunc_end137-_ZN9rocsparseL19gebsrmvn_4xn_kernelILj128ELj7ELj8E21rocsparse_complex_numIdEEEvi20rocsparse_direction_NS_24const_host_device_scalarIT2_EEPKiS8_PKS5_SA_S6_PS5_21rocsparse_index_base_b
                                        ; -- End function
	.set _ZN9rocsparseL19gebsrmvn_4xn_kernelILj128ELj7ELj8E21rocsparse_complex_numIdEEEvi20rocsparse_direction_NS_24const_host_device_scalarIT2_EEPKiS8_PKS5_SA_S6_PS5_21rocsparse_index_base_b.num_vgpr, 70
	.set _ZN9rocsparseL19gebsrmvn_4xn_kernelILj128ELj7ELj8E21rocsparse_complex_numIdEEEvi20rocsparse_direction_NS_24const_host_device_scalarIT2_EEPKiS8_PKS5_SA_S6_PS5_21rocsparse_index_base_b.num_agpr, 0
	.set _ZN9rocsparseL19gebsrmvn_4xn_kernelILj128ELj7ELj8E21rocsparse_complex_numIdEEEvi20rocsparse_direction_NS_24const_host_device_scalarIT2_EEPKiS8_PKS5_SA_S6_PS5_21rocsparse_index_base_b.numbered_sgpr, 14
	.set _ZN9rocsparseL19gebsrmvn_4xn_kernelILj128ELj7ELj8E21rocsparse_complex_numIdEEEvi20rocsparse_direction_NS_24const_host_device_scalarIT2_EEPKiS8_PKS5_SA_S6_PS5_21rocsparse_index_base_b.num_named_barrier, 0
	.set _ZN9rocsparseL19gebsrmvn_4xn_kernelILj128ELj7ELj8E21rocsparse_complex_numIdEEEvi20rocsparse_direction_NS_24const_host_device_scalarIT2_EEPKiS8_PKS5_SA_S6_PS5_21rocsparse_index_base_b.private_seg_size, 0
	.set _ZN9rocsparseL19gebsrmvn_4xn_kernelILj128ELj7ELj8E21rocsparse_complex_numIdEEEvi20rocsparse_direction_NS_24const_host_device_scalarIT2_EEPKiS8_PKS5_SA_S6_PS5_21rocsparse_index_base_b.uses_vcc, 1
	.set _ZN9rocsparseL19gebsrmvn_4xn_kernelILj128ELj7ELj8E21rocsparse_complex_numIdEEEvi20rocsparse_direction_NS_24const_host_device_scalarIT2_EEPKiS8_PKS5_SA_S6_PS5_21rocsparse_index_base_b.uses_flat_scratch, 0
	.set _ZN9rocsparseL19gebsrmvn_4xn_kernelILj128ELj7ELj8E21rocsparse_complex_numIdEEEvi20rocsparse_direction_NS_24const_host_device_scalarIT2_EEPKiS8_PKS5_SA_S6_PS5_21rocsparse_index_base_b.has_dyn_sized_stack, 0
	.set _ZN9rocsparseL19gebsrmvn_4xn_kernelILj128ELj7ELj8E21rocsparse_complex_numIdEEEvi20rocsparse_direction_NS_24const_host_device_scalarIT2_EEPKiS8_PKS5_SA_S6_PS5_21rocsparse_index_base_b.has_recursion, 0
	.set _ZN9rocsparseL19gebsrmvn_4xn_kernelILj128ELj7ELj8E21rocsparse_complex_numIdEEEvi20rocsparse_direction_NS_24const_host_device_scalarIT2_EEPKiS8_PKS5_SA_S6_PS5_21rocsparse_index_base_b.has_indirect_call, 0
	.section	.AMDGPU.csdata,"",@progbits
; Kernel info:
; codeLenInByte = 2856
; TotalNumSgprs: 16
; NumVgprs: 70
; ScratchSize: 0
; MemoryBound: 0
; FloatMode: 240
; IeeeMode: 1
; LDSByteSize: 0 bytes/workgroup (compile time only)
; SGPRBlocks: 0
; VGPRBlocks: 4
; NumSGPRsForWavesPerEU: 16
; NumVGPRsForWavesPerEU: 70
; NamedBarCnt: 0
; Occupancy: 12
; WaveLimiterHint : 1
; COMPUTE_PGM_RSRC2:SCRATCH_EN: 0
; COMPUTE_PGM_RSRC2:USER_SGPR: 2
; COMPUTE_PGM_RSRC2:TRAP_HANDLER: 0
; COMPUTE_PGM_RSRC2:TGID_X_EN: 1
; COMPUTE_PGM_RSRC2:TGID_Y_EN: 0
; COMPUTE_PGM_RSRC2:TGID_Z_EN: 0
; COMPUTE_PGM_RSRC2:TIDIG_COMP_CNT: 0
	.section	.text._ZN9rocsparseL19gebsrmvn_4xn_kernelILj128ELj7ELj16E21rocsparse_complex_numIdEEEvi20rocsparse_direction_NS_24const_host_device_scalarIT2_EEPKiS8_PKS5_SA_S6_PS5_21rocsparse_index_base_b,"axG",@progbits,_ZN9rocsparseL19gebsrmvn_4xn_kernelILj128ELj7ELj16E21rocsparse_complex_numIdEEEvi20rocsparse_direction_NS_24const_host_device_scalarIT2_EEPKiS8_PKS5_SA_S6_PS5_21rocsparse_index_base_b,comdat
	.globl	_ZN9rocsparseL19gebsrmvn_4xn_kernelILj128ELj7ELj16E21rocsparse_complex_numIdEEEvi20rocsparse_direction_NS_24const_host_device_scalarIT2_EEPKiS8_PKS5_SA_S6_PS5_21rocsparse_index_base_b ; -- Begin function _ZN9rocsparseL19gebsrmvn_4xn_kernelILj128ELj7ELj16E21rocsparse_complex_numIdEEEvi20rocsparse_direction_NS_24const_host_device_scalarIT2_EEPKiS8_PKS5_SA_S6_PS5_21rocsparse_index_base_b
	.p2align	8
	.type	_ZN9rocsparseL19gebsrmvn_4xn_kernelILj128ELj7ELj16E21rocsparse_complex_numIdEEEvi20rocsparse_direction_NS_24const_host_device_scalarIT2_EEPKiS8_PKS5_SA_S6_PS5_21rocsparse_index_base_b,@function
_ZN9rocsparseL19gebsrmvn_4xn_kernelILj128ELj7ELj16E21rocsparse_complex_numIdEEEvi20rocsparse_direction_NS_24const_host_device_scalarIT2_EEPKiS8_PKS5_SA_S6_PS5_21rocsparse_index_base_b: ; @_ZN9rocsparseL19gebsrmvn_4xn_kernelILj128ELj7ELj16E21rocsparse_complex_numIdEEEvi20rocsparse_direction_NS_24const_host_device_scalarIT2_EEPKiS8_PKS5_SA_S6_PS5_21rocsparse_index_base_b
; %bb.0:
	s_clause 0x1
	s_load_b64 s[12:13], s[0:1], 0x50
	s_load_b64 s[2:3], s[0:1], 0x8
	v_mov_b32_e32 v1, 0
	s_add_nc_u64 s[4:5], s[0:1], 8
	s_load_b64 s[6:7], s[0:1], 0x38
	s_wait_kmcnt 0x0
	s_bitcmp1_b32 s13, 0
	s_cselect_b32 s3, s5, s3
	s_cselect_b32 s2, s4, s2
	flat_load_b128 v[2:5], v1, s[2:3]
	s_wait_xcnt 0x0
	s_add_nc_u64 s[2:3], s[0:1], 56
	s_delay_alu instid0(SALU_CYCLE_1)
	s_cselect_b32 s3, s3, s7
	s_cselect_b32 s2, s2, s6
	flat_load_b128 v[6:9], v1, s[2:3]
	s_wait_loadcnt_dscnt 0x101
	v_cmp_eq_f64_e32 vcc_lo, 0, v[2:3]
	s_wait_xcnt 0x0
	v_cmp_eq_f64_e64 s2, 0, v[4:5]
	s_and_b32 s4, vcc_lo, s2
	s_mov_b32 s2, -1
	s_and_saveexec_b32 s3, s4
	s_cbranch_execz .LBB138_2
; %bb.1:
	s_wait_loadcnt_dscnt 0x0
	v_cmp_neq_f64_e32 vcc_lo, 1.0, v[6:7]
	v_cmp_neq_f64_e64 s2, 0, v[8:9]
	s_or_b32 s2, vcc_lo, s2
	s_delay_alu instid0(SALU_CYCLE_1)
	s_or_not1_b32 s2, s2, exec_lo
.LBB138_2:
	s_or_b32 exec_lo, exec_lo, s3
	s_and_saveexec_b32 s3, s2
	s_cbranch_execz .LBB138_29
; %bb.3:
	s_load_b64 s[2:3], s[0:1], 0x0
	s_bfe_u32 s4, ttmp6, 0x4000c
	s_and_b32 s5, ttmp6, 15
	s_add_co_i32 s4, s4, 1
	s_getreg_b32 s6, hwreg(HW_REG_IB_STS2, 6, 4)
	s_mul_i32 s4, ttmp9, s4
	v_lshrrev_b32_e32 v1, 4, v0
	s_add_co_i32 s5, s5, s4
	s_cmp_eq_u32 s6, 0
	s_cselect_b32 s4, ttmp9, s5
	s_delay_alu instid0(VALU_DEP_1) | instid1(SALU_CYCLE_1)
	v_lshl_or_b32 v10, s4, 3, v1
	s_wait_kmcnt 0x0
	s_delay_alu instid0(VALU_DEP_1)
	v_cmp_gt_i32_e32 vcc_lo, s2, v10
	s_and_b32 exec_lo, exec_lo, vcc_lo
	s_cbranch_execz .LBB138_29
; %bb.4:
	s_load_b256 s[4:11], s[0:1], 0x18
	v_ashrrev_i32_e32 v11, 31, v10
	s_cmp_lg_u32 s3, 0
	s_wait_kmcnt 0x0
	s_delay_alu instid0(VALU_DEP_1)
	v_lshl_add_u64 v[12:13], v[10:11], 2, s[4:5]
	v_and_b32_e32 v11, 15, v0
	global_load_b64 v[26:27], v[12:13], off
	s_wait_loadcnt 0x0
	v_subrev_nc_u32_e32 v0, s12, v26
	v_subrev_nc_u32_e32 v44, s12, v27
	s_delay_alu instid0(VALU_DEP_2) | instskip(NEXT) | instid1(VALU_DEP_1)
	v_add_nc_u32_e32 v45, v0, v11
	v_cmp_lt_i32_e64 s2, v45, v44
	s_cbranch_scc0 .LBB138_12
; %bb.5:
	v_mov_b64_e32 v[0:1], 0
	v_mov_b64_e32 v[12:13], 0
	;; [unrolled: 1-line block ×8, first 2 shown]
	s_and_saveexec_b32 s3, s2
	s_cbranch_execz .LBB138_14
; %bb.6:
	v_mul_lo_u32 v27, v45, 28
	v_mov_b64_e32 v[0:1], 0
	v_mov_b64_e32 v[12:13], 0
	;; [unrolled: 1-line block ×8, first 2 shown]
	v_mov_b32_e32 v46, v45
	s_mov_b32 s4, 0
	s_branch .LBB138_8
.LBB138_7:                              ;   in Loop: Header=BB138_8 Depth=1
	v_add_nc_u32_e32 v46, 16, v46
	v_add_nc_u32_e32 v27, 0x1c0, v27
	s_delay_alu instid0(VALU_DEP_2) | instskip(SKIP_1) | instid1(SALU_CYCLE_1)
	v_cmp_ge_i32_e32 vcc_lo, v46, v44
	s_or_b32 s4, vcc_lo, s4
	s_and_not1_b32 exec_lo, exec_lo, s4
	s_cbranch_execz .LBB138_13
.LBB138_8:                              ; =>This Loop Header: Depth=1
                                        ;     Child Loop BB138_10 Depth 2
	global_load_b32 v28, v46, s[6:7] scale_offset
	v_mov_b64_e32 v[38:39], v[12:13]
	v_mov_b64_e32 v[36:37], v[16:17]
	;; [unrolled: 1-line block ×6, first 2 shown]
	v_mov_b32_e32 v48, v27
	s_mov_b32 s5, 0
	s_wait_loadcnt 0x0
	v_subrev_nc_u32_e32 v30, s12, v28
	v_mov_b64_e32 v[28:29], v[0:1]
	s_delay_alu instid0(VALU_DEP_2)
	v_mul_lo_u32 v47, v30, 7
	v_mov_b64_e32 v[30:31], v[24:25]
	s_branch .LBB138_10
.LBB138_9:                              ;   in Loop: Header=BB138_8 Depth=1
                                        ; implicit-def: $vgpr30_vgpr31
                                        ; implicit-def: $vgpr42_vgpr43
                                        ; implicit-def: $vgpr32_vgpr33
                                        ; implicit-def: $vgpr40_vgpr41
                                        ; implicit-def: $vgpr34_vgpr35
                                        ; implicit-def: $vgpr36_vgpr37
                                        ; implicit-def: $vgpr38_vgpr39
                                        ; implicit-def: $vgpr28_vgpr29
                                        ; implicit-def: $sgpr5
                                        ; implicit-def: $vgpr48
	s_branch .LBB138_7
.LBB138_10:                             ;   Parent Loop BB138_8 Depth=1
                                        ; =>  This Inner Loop Header: Depth=2
	s_delay_alu instid0(VALU_DEP_2)
	v_add_nc_u32_e32 v49, s5, v47
	s_cmp_eq_u32 s5, 6
	global_load_b128 v[50:53], v49, s[10:11] scale_offset
	s_clause 0x3
	global_load_b128 v[54:57], v48, s[8:9] scale_offset
	global_load_b128 v[58:61], v48, s[8:9] offset:16 scale_offset
	global_load_b128 v[62:65], v48, s[8:9] offset:32 scale_offset
	;; [unrolled: 1-line block ×3, first 2 shown]
	s_wait_loadcnt 0x3
	v_fmac_f64_e32 v[28:29], v[56:57], v[50:51]
	s_wait_loadcnt 0x2
	v_fmac_f64_e32 v[30:31], v[60:61], v[50:51]
	;; [unrolled: 2-line block ×4, first 2 shown]
	v_fmac_f64_e32 v[38:39], v[54:55], v[50:51]
	v_fmac_f64_e32 v[42:43], v[58:59], v[50:51]
	;; [unrolled: 1-line block ×4, first 2 shown]
	v_mov_b64_e32 v[0:1], v[28:29]
	v_mov_b64_e32 v[24:25], v[30:31]
	;; [unrolled: 1-line block ×4, first 2 shown]
	v_fma_f64 v[12:13], -v[56:57], v[52:53], v[38:39]
	v_fma_f64 v[22:23], -v[60:61], v[52:53], v[42:43]
	;; [unrolled: 1-line block ×4, first 2 shown]
	v_fmac_f64_e32 v[0:1], v[54:55], v[52:53]
	v_fmac_f64_e32 v[24:25], v[58:59], v[52:53]
	;; [unrolled: 1-line block ×4, first 2 shown]
	s_cbranch_scc1 .LBB138_9
; %bb.11:                               ;   in Loop: Header=BB138_10 Depth=2
	v_dual_add_nc_u32 v28, 1, v49 :: v_dual_add_nc_u32 v29, 4, v48
	s_add_co_i32 s5, s5, 2
	global_load_b128 v[50:53], v28, s[10:11] scale_offset
	s_clause 0x3
	global_load_b128 v[36:39], v29, s[8:9] scale_offset
	global_load_b128 v[40:43], v29, s[8:9] offset:16 scale_offset
	global_load_b128 v[54:57], v29, s[8:9] offset:32 scale_offset
	;; [unrolled: 1-line block ×3, first 2 shown]
	s_wait_loadcnt 0x3
	v_dual_fma_f64 v[62:63], v[36:37], v[50:51], v[12:13] :: v_dual_add_nc_u32 v48, 8, v48
	s_wait_xcnt 0x0
	v_fma_f64 v[28:29], v[38:39], v[50:51], v[0:1]
	s_wait_loadcnt 0x2
	v_fma_f64 v[64:65], v[40:41], v[50:51], v[22:23]
	v_fma_f64 v[30:31], v[42:43], v[50:51], v[24:25]
	s_wait_loadcnt 0x1
	v_fma_f64 v[66:67], v[54:55], v[50:51], v[18:19]
	;; [unrolled: 3-line block ×3, first 2 shown]
	v_fma_f64 v[34:35], v[60:61], v[50:51], v[14:15]
	v_fma_f64 v[38:39], -v[38:39], v[52:53], v[62:63]
	v_fmac_f64_e32 v[28:29], v[36:37], v[52:53]
	v_fma_f64 v[42:43], -v[42:43], v[52:53], v[64:65]
	v_fmac_f64_e32 v[30:31], v[40:41], v[52:53]
	v_fma_f64 v[40:41], -v[56:57], v[52:53], v[66:67]
	v_fmac_f64_e32 v[32:33], v[54:55], v[52:53]
	v_fma_f64 v[36:37], -v[60:61], v[52:53], v[68:69]
	v_fmac_f64_e32 v[34:35], v[58:59], v[52:53]
	s_cbranch_execnz .LBB138_10
	s_branch .LBB138_7
.LBB138_12:
                                        ; implicit-def: $vgpr0_vgpr1
                                        ; implicit-def: $vgpr12_vgpr13
                                        ; implicit-def: $vgpr16_vgpr17
                                        ; implicit-def: $vgpr14_vgpr15
                                        ; implicit-def: $vgpr18_vgpr19
                                        ; implicit-def: $vgpr20_vgpr21
                                        ; implicit-def: $vgpr22_vgpr23
                                        ; implicit-def: $vgpr24_vgpr25
	s_branch .LBB138_15
.LBB138_13:
	s_or_b32 exec_lo, exec_lo, s4
.LBB138_14:
	s_delay_alu instid0(SALU_CYCLE_1)
	s_or_b32 exec_lo, exec_lo, s3
	s_cbranch_execnz .LBB138_24
.LBB138_15:
	v_mov_b64_e32 v[0:1], 0
	v_mov_b64_e32 v[12:13], 0
	;; [unrolled: 1-line block ×8, first 2 shown]
	s_and_saveexec_b32 s3, s2
	s_cbranch_execz .LBB138_23
; %bb.16:
	v_mul_u32_u24_e32 v0, 28, v11
	v_mul_lo_u32 v42, v45, 28
	s_mul_i32 s2, s12, 28
	v_mov_b64_e32 v[12:13], 0
	v_mov_b64_e32 v[16:17], 0
	v_mad_u32 v26, v26, 28, v0
	v_mov_b64_e32 v[0:1], 0
	v_mov_b64_e32 v[14:15], 0
	;; [unrolled: 1-line block ×6, first 2 shown]
	v_subrev_nc_u32_e32 v43, s2, v26
	s_mov_b32 s2, 0
	s_branch .LBB138_18
.LBB138_17:                             ;   in Loop: Header=BB138_18 Depth=1
	v_add_nc_u32_e32 v45, 16, v45
	v_add_nc_u32_e32 v42, 0x1c0, v42
	;; [unrolled: 1-line block ×3, first 2 shown]
	s_delay_alu instid0(VALU_DEP_3) | instskip(SKIP_1) | instid1(SALU_CYCLE_1)
	v_cmp_ge_i32_e32 vcc_lo, v45, v44
	s_or_b32 s2, vcc_lo, s2
	s_and_not1_b32 exec_lo, exec_lo, s2
	s_cbranch_execz .LBB138_22
.LBB138_18:                             ; =>This Loop Header: Depth=1
                                        ;     Child Loop BB138_20 Depth 2
	global_load_b32 v26, v45, s[6:7] scale_offset
	v_mov_b64_e32 v[28:29], v[0:1]
	v_mov_b64_e32 v[38:39], v[12:13]
	;; [unrolled: 1-line block ×7, first 2 shown]
	s_mov_b32 s4, 0
	s_wait_loadcnt 0x0
	v_subrev_nc_u32_e32 v26, s12, v26
	s_delay_alu instid0(VALU_DEP_1)
	v_mul_lo_u32 v46, v26, 7
	v_mov_b64_e32 v[26:27], v[24:25]
	s_branch .LBB138_20
.LBB138_19:                             ;   in Loop: Header=BB138_20 Depth=2
	s_and_not1_b32 vcc_lo, exec_lo, s5
	s_cbranch_vccz .LBB138_17
.LBB138_20:                             ;   Parent Loop BB138_18 Depth=1
                                        ; =>  This Inner Loop Header: Depth=2
	s_delay_alu instid0(VALU_DEP_2)
	v_dual_add_nc_u32 v0, s4, v43 :: v_dual_add_nc_u32 v48, s4, v46
	s_cmp_eq_u32 s4, 6
	s_mov_b32 s5, -1
	global_load_b128 v[14:17], v0, s[8:9] scale_offset
	global_load_b128 v[50:53], v48, s[10:11] scale_offset
	s_wait_loadcnt 0x0
	v_fmac_f64_e32 v[38:39], v[14:15], v[50:51]
	v_add_nc_u32_e32 v47, s4, v42
	v_fmac_f64_e32 v[28:29], v[16:17], v[50:51]
	s_delay_alu instid0(VALU_DEP_2)
	v_dual_add_nc_u32 v0, 7, v47 :: v_dual_add_nc_u32 v1, 14, v47
	v_add_nc_u32_e32 v12, 21, v47
	s_clause 0x2
	global_load_b128 v[54:57], v0, s[8:9] scale_offset
	global_load_b128 v[58:61], v1, s[8:9] scale_offset
	;; [unrolled: 1-line block ×3, first 2 shown]
	s_wait_xcnt 0x0
	v_fma_f64 v[12:13], -v[16:17], v[52:53], v[38:39]
                                        ; implicit-def: $vgpr38_vgpr39
	v_mov_b64_e32 v[0:1], v[28:29]
                                        ; implicit-def: $vgpr28_vgpr29
	s_delay_alu instid0(VALU_DEP_1)
	v_fmac_f64_e32 v[0:1], v[14:15], v[52:53]
	s_wait_loadcnt 0x2
	v_fmac_f64_e32 v[26:27], v[56:57], v[50:51]
	s_wait_loadcnt 0x1
	;; [unrolled: 2-line block ×3, first 2 shown]
	v_fmac_f64_e32 v[32:33], v[64:65], v[50:51]
	v_fmac_f64_e32 v[40:41], v[54:55], v[50:51]
	;; [unrolled: 1-line block ×4, first 2 shown]
	v_mov_b64_e32 v[24:25], v[26:27]
	v_mov_b64_e32 v[20:21], v[30:31]
	v_mov_b64_e32 v[14:15], v[32:33]
	v_fma_f64 v[22:23], -v[56:57], v[52:53], v[40:41]
	v_fma_f64 v[18:19], -v[60:61], v[52:53], v[34:35]
	;; [unrolled: 1-line block ×3, first 2 shown]
                                        ; implicit-def: $vgpr26_vgpr27
                                        ; implicit-def: $vgpr40_vgpr41
                                        ; implicit-def: $vgpr30_vgpr31
                                        ; implicit-def: $vgpr34_vgpr35
                                        ; implicit-def: $vgpr32_vgpr33
                                        ; implicit-def: $vgpr36_vgpr37
	v_fmac_f64_e32 v[24:25], v[54:55], v[52:53]
	v_fmac_f64_e32 v[20:21], v[58:59], v[52:53]
	v_fmac_f64_e32 v[14:15], v[62:63], v[52:53]
	s_cbranch_scc1 .LBB138_19
; %bb.21:                               ;   in Loop: Header=BB138_20 Depth=2
	v_dual_add_nc_u32 v26, 1, v47 :: v_dual_add_nc_u32 v27, 1, v48
	v_dual_add_nc_u32 v28, 8, v47 :: v_dual_add_nc_u32 v29, 15, v47
	s_add_co_i32 s4, s4, 2
	global_load_b128 v[34:37], v26, s[8:9] scale_offset
	global_load_b128 v[48:51], v27, s[10:11] scale_offset
	s_wait_xcnt 0x1
	v_add_nc_u32_e32 v26, 22, v47
	s_mov_b32 s5, 0
	s_wait_loadcnt 0x0
	v_fma_f64 v[38:39], v[34:35], v[48:49], v[12:13]
	s_clause 0x2
	global_load_b128 v[52:55], v28, s[8:9] scale_offset
	global_load_b128 v[56:59], v29, s[8:9] scale_offset
	;; [unrolled: 1-line block ×3, first 2 shown]
	s_wait_xcnt 0x1
	v_fma_f64 v[28:29], v[36:37], v[48:49], v[0:1]
	v_fma_f64 v[38:39], -v[36:37], v[50:51], v[38:39]
	s_delay_alu instid0(VALU_DEP_2)
	v_fmac_f64_e32 v[28:29], v[34:35], v[50:51]
	s_wait_loadcnt 0x2
	v_fma_f64 v[40:41], v[52:53], v[48:49], v[22:23]
	s_wait_xcnt 0x0
	v_fma_f64 v[26:27], v[54:55], v[48:49], v[24:25]
	s_wait_loadcnt 0x1
	v_fma_f64 v[64:65], v[56:57], v[48:49], v[18:19]
	v_fma_f64 v[30:31], v[58:59], v[48:49], v[20:21]
	s_wait_loadcnt 0x0
	v_fma_f64 v[66:67], v[60:61], v[48:49], v[16:17]
	v_fma_f64 v[32:33], v[62:63], v[48:49], v[14:15]
	v_fma_f64 v[40:41], -v[54:55], v[50:51], v[40:41]
	v_fmac_f64_e32 v[26:27], v[52:53], v[50:51]
	v_fma_f64 v[34:35], -v[58:59], v[50:51], v[64:65]
	v_fmac_f64_e32 v[30:31], v[56:57], v[50:51]
	;; [unrolled: 2-line block ×3, first 2 shown]
	s_branch .LBB138_19
.LBB138_22:
	s_or_b32 exec_lo, exec_lo, s2
.LBB138_23:
	s_delay_alu instid0(SALU_CYCLE_1)
	s_or_b32 exec_lo, exec_lo, s3
.LBB138_24:
	v_mbcnt_lo_u32_b32 v44, -1, 0
	s_delay_alu instid0(VALU_DEP_1) | instskip(NEXT) | instid1(VALU_DEP_1)
	v_xor_b32_e32 v26, 8, v44
	v_cmp_gt_i32_e32 vcc_lo, 32, v26
	v_cndmask_b32_e32 v26, v44, v26, vcc_lo
	s_delay_alu instid0(VALU_DEP_1)
	v_lshlrev_b32_e32 v41, 2, v26
	ds_bpermute_b32 v28, v41, v0
	ds_bpermute_b32 v29, v41, v1
	s_wait_dscnt 0x0
	v_add_f64_e32 v[0:1], v[0:1], v[28:29]
	ds_bpermute_b32 v26, v41, v12
	ds_bpermute_b32 v27, v41, v13
	;; [unrolled: 1-line block ×14, first 2 shown]
	s_wait_dscnt 0xc
	v_dual_add_f64 v[12:13], v[12:13], v[26:27] :: v_dual_bitop2_b32 v26, 4, v44 bitop3:0x14
	s_wait_dscnt 0xa
	v_add_f64_e32 v[22:23], v[22:23], v[30:31]
	s_delay_alu instid0(VALU_DEP_2)
	v_cmp_gt_i32_e32 vcc_lo, 32, v26
	s_wait_dscnt 0x6
	v_add_f64_e32 v[18:19], v[18:19], v[34:35]
	s_wait_dscnt 0x4
	v_add_f64_e32 v[20:21], v[20:21], v[36:37]
	s_wait_dscnt 0x0
	v_dual_add_f64 v[14:15], v[14:15], v[40:41] :: v_dual_cndmask_b32 v26, v44, v26, vcc_lo
	s_delay_alu instid0(VALU_DEP_1)
	v_dual_add_f64 v[24:25], v[24:25], v[32:33] :: v_dual_lshlrev_b32 v41, 2, v26
	ds_bpermute_b32 v28, v41, v0
	ds_bpermute_b32 v29, v41, v1
	;; [unrolled: 1-line block ×11, first 2 shown]
	s_wait_dscnt 0x7
	v_add_f64_e32 v[12:13], v[12:13], v[26:27]
	v_add_f64_e32 v[26:27], v[0:1], v[28:29]
	v_xor_b32_e32 v0, 2, v44
	ds_bpermute_b32 v34, v41, v18
	ds_bpermute_b32 v35, v41, v19
	v_cmp_gt_i32_e32 vcc_lo, 32, v0
	s_wait_dscnt 0x7
	v_add_f64_e32 v[22:23], v[22:23], v[30:31]
	s_wait_dscnt 0x5
	v_add_f64_e32 v[20:21], v[20:21], v[36:37]
	v_cndmask_b32_e32 v0, v44, v0, vcc_lo
	v_add_f64_e32 v[16:17], v[16:17], v[38:39]
	s_wait_dscnt 0x2
	v_add_f64_e32 v[28:29], v[24:25], v[32:33]
	s_wait_dscnt 0x0
	v_dual_add_f64 v[18:19], v[18:19], v[34:35] :: v_dual_lshlrev_b32 v24, 2, v0
	ds_bpermute_b32 v0, v24, v12
	ds_bpermute_b32 v1, v24, v13
	;; [unrolled: 1-line block ×11, first 2 shown]
	s_wait_dscnt 0x5
	v_add_f64_e32 v[16:17], v[16:17], v[38:39]
	s_wait_dscnt 0x4
	v_add_f64_e32 v[30:31], v[14:15], v[40:41]
	ds_bpermute_b32 v14, v24, v26
	ds_bpermute_b32 v15, v24, v27
	ds_bpermute_b32 v38, v24, v20
	ds_bpermute_b32 v39, v24, v21
	s_wait_dscnt 0x0
	v_add_f64_e32 v[20:21], v[20:21], v[38:39]
	ds_bpermute_b32 v40, v24, v16
	ds_bpermute_b32 v41, v24, v17
	;; [unrolled: 1-line block ×4, first 2 shown]
	v_dual_add_f64 v[24:25], v[26:27], v[14:15] :: v_dual_bitop2_b32 v26, 1, v44 bitop3:0x14
	v_add_f64_e32 v[0:1], v[12:13], v[0:1]
	v_add_f64_e32 v[14:15], v[18:19], v[36:37]
	s_delay_alu instid0(VALU_DEP_3)
	v_cmp_gt_i32_e32 vcc_lo, 32, v26
	v_add_f64_e32 v[12:13], v[22:23], v[32:33]
	v_add_f64_e32 v[22:23], v[28:29], v[34:35]
	v_cndmask_b32_e32 v26, v44, v26, vcc_lo
	v_cmp_eq_u32_e32 vcc_lo, 15, v11
	s_wait_dscnt 0x2
	s_delay_alu instid0(VALU_DEP_2)
	v_dual_add_f64 v[16:17], v[16:17], v[40:41] :: v_dual_lshlrev_b32 v29, 2, v26
	s_wait_dscnt 0x0
	v_add_f64_e32 v[18:19], v[30:31], v[42:43]
	ds_bpermute_b32 v30, v29, v20
	ds_bpermute_b32 v31, v29, v21
	;; [unrolled: 1-line block ×16, first 2 shown]
	s_and_b32 exec_lo, exec_lo, vcc_lo
	s_cbranch_execz .LBB138_29
; %bb.25:
	v_cmp_eq_f64_e32 vcc_lo, 0, v[6:7]
	v_cmp_eq_f64_e64 s2, 0, v[8:9]
	s_wait_dscnt 0xa
	v_add_f64_e32 v[0:1], v[0:1], v[40:41]
	v_add_f64_e32 v[24:25], v[24:25], v[38:39]
	s_wait_dscnt 0x6
	v_add_f64_e32 v[12:13], v[12:13], v[36:37]
	s_wait_dscnt 0x4
	v_add_f64_e32 v[22:23], v[22:23], v[34:35]
	v_add_f64_e32 v[14:15], v[14:15], v[32:33]
	;; [unrolled: 1-line block ×3, first 2 shown]
	s_wait_dscnt 0x2
	v_add_f64_e32 v[16:17], v[16:17], v[26:27]
	s_wait_dscnt 0x0
	v_add_f64_e32 v[18:19], v[18:19], v[28:29]
	s_load_b64 s[0:1], s[0:1], 0x48
	s_and_b32 s2, vcc_lo, s2
	s_delay_alu instid0(SALU_CYCLE_1) | instskip(NEXT) | instid1(SALU_CYCLE_1)
	s_and_saveexec_b32 s3, s2
	s_xor_b32 s2, exec_lo, s3
	s_cbranch_execz .LBB138_27
; %bb.26:
	v_mul_f64_e64 v[6:7], v[24:25], -v[4:5]
	v_mul_f64_e32 v[8:9], v[2:3], v[24:25]
	v_mul_f64_e64 v[24:25], v[22:23], -v[4:5]
	v_mul_f64_e32 v[26:27], v[2:3], v[22:23]
	;; [unrolled: 2-line block ×4, first 2 shown]
                                        ; implicit-def: $vgpr18_vgpr19
	v_fmac_f64_e32 v[6:7], v[2:3], v[0:1]
	v_fmac_f64_e32 v[8:9], v[4:5], v[0:1]
	;; [unrolled: 1-line block ×8, first 2 shown]
	v_lshlrev_b32_e32 v0, 2, v10
                                        ; implicit-def: $vgpr10
                                        ; implicit-def: $vgpr12_vgpr13
                                        ; implicit-def: $vgpr14_vgpr15
                                        ; implicit-def: $vgpr16_vgpr17
                                        ; implicit-def: $vgpr4_vgpr5
	s_wait_kmcnt 0x0
	s_clause 0x3
	global_store_b128 v0, v[6:9], s[0:1] scale_offset
	global_store_b128 v0, v[24:27], s[0:1] offset:16 scale_offset
	global_store_b128 v0, v[28:31], s[0:1] offset:32 scale_offset
	;; [unrolled: 1-line block ×3, first 2 shown]
                                        ; implicit-def: $vgpr0_vgpr1
                                        ; implicit-def: $vgpr24_vgpr25
                                        ; implicit-def: $vgpr22_vgpr23
                                        ; implicit-def: $vgpr20_vgpr21
                                        ; implicit-def: $vgpr8_vgpr9
.LBB138_27:
	s_wait_xcnt 0x0
	s_and_not1_saveexec_b32 s2, s2
	s_cbranch_execz .LBB138_29
; %bb.28:
	v_dual_mul_f64 v[42:43], v[24:25], -v[4:5] :: v_dual_lshlrev_b32 v52, 2, v10
	v_mul_f64_e32 v[24:25], v[2:3], v[24:25]
	v_mul_f64_e64 v[46:47], v[22:23], -v[4:5]
	v_mul_f64_e32 v[44:45], v[2:3], v[22:23]
	s_wait_kmcnt 0x0
	s_clause 0x3
	global_load_b128 v[26:29], v52, s[0:1] scale_offset
	global_load_b128 v[30:33], v52, s[0:1] offset:16 scale_offset
	global_load_b128 v[34:37], v52, s[0:1] offset:32 scale_offset
	;; [unrolled: 1-line block ×3, first 2 shown]
	v_mul_f64_e64 v[48:49], v[20:21], -v[4:5]
	v_mul_f64_e32 v[20:21], v[2:3], v[20:21]
	v_mul_f64_e64 v[50:51], v[18:19], -v[4:5]
	v_mul_f64_e32 v[10:11], v[2:3], v[18:19]
	v_fmac_f64_e32 v[42:43], v[2:3], v[0:1]
	v_fmac_f64_e32 v[24:25], v[4:5], v[0:1]
	v_fmac_f64_e32 v[46:47], v[2:3], v[12:13]
	v_fmac_f64_e32 v[44:45], v[4:5], v[12:13]
	v_fmac_f64_e32 v[48:49], v[2:3], v[14:15]
	v_fmac_f64_e32 v[20:21], v[4:5], v[14:15]
	v_fmac_f64_e32 v[50:51], v[2:3], v[16:17]
	v_fmac_f64_e32 v[10:11], v[4:5], v[16:17]
	s_wait_loadcnt 0x3
	v_fmac_f64_e32 v[42:43], v[6:7], v[26:27]
	v_fmac_f64_e32 v[24:25], v[8:9], v[26:27]
	s_wait_loadcnt 0x2
	v_fmac_f64_e32 v[46:47], v[6:7], v[30:31]
	v_fmac_f64_e32 v[44:45], v[8:9], v[30:31]
	s_wait_loadcnt 0x1
	v_fmac_f64_e32 v[48:49], v[6:7], v[34:35]
	v_fmac_f64_e32 v[20:21], v[8:9], v[34:35]
	s_wait_loadcnt 0x0
	v_fmac_f64_e32 v[50:51], v[6:7], v[38:39]
	v_fmac_f64_e32 v[10:11], v[8:9], v[38:39]
	v_fma_f64 v[22:23], -v[8:9], v[28:29], v[42:43]
	v_fmac_f64_e32 v[24:25], v[6:7], v[28:29]
	v_fma_f64 v[42:43], -v[8:9], v[32:33], v[46:47]
	v_fmac_f64_e32 v[44:45], v[6:7], v[32:33]
	;; [unrolled: 2-line block ×4, first 2 shown]
	s_clause 0x3
	global_store_b128 v52, v[22:25], s[0:1] scale_offset
	global_store_b128 v52, v[42:45], s[0:1] offset:16 scale_offset
	global_store_b128 v52, v[18:21], s[0:1] offset:32 scale_offset
	;; [unrolled: 1-line block ×3, first 2 shown]
.LBB138_29:
	s_sendmsg sendmsg(MSG_DEALLOC_VGPRS)
	s_endpgm
	.section	.rodata,"a",@progbits
	.p2align	6, 0x0
	.amdhsa_kernel _ZN9rocsparseL19gebsrmvn_4xn_kernelILj128ELj7ELj16E21rocsparse_complex_numIdEEEvi20rocsparse_direction_NS_24const_host_device_scalarIT2_EEPKiS8_PKS5_SA_S6_PS5_21rocsparse_index_base_b
		.amdhsa_group_segment_fixed_size 0
		.amdhsa_private_segment_fixed_size 0
		.amdhsa_kernarg_size 88
		.amdhsa_user_sgpr_count 2
		.amdhsa_user_sgpr_dispatch_ptr 0
		.amdhsa_user_sgpr_queue_ptr 0
		.amdhsa_user_sgpr_kernarg_segment_ptr 1
		.amdhsa_user_sgpr_dispatch_id 0
		.amdhsa_user_sgpr_kernarg_preload_length 0
		.amdhsa_user_sgpr_kernarg_preload_offset 0
		.amdhsa_user_sgpr_private_segment_size 0
		.amdhsa_wavefront_size32 1
		.amdhsa_uses_dynamic_stack 0
		.amdhsa_enable_private_segment 0
		.amdhsa_system_sgpr_workgroup_id_x 1
		.amdhsa_system_sgpr_workgroup_id_y 0
		.amdhsa_system_sgpr_workgroup_id_z 0
		.amdhsa_system_sgpr_workgroup_info 0
		.amdhsa_system_vgpr_workitem_id 0
		.amdhsa_next_free_vgpr 70
		.amdhsa_next_free_sgpr 14
		.amdhsa_named_barrier_count 0
		.amdhsa_reserve_vcc 1
		.amdhsa_float_round_mode_32 0
		.amdhsa_float_round_mode_16_64 0
		.amdhsa_float_denorm_mode_32 3
		.amdhsa_float_denorm_mode_16_64 3
		.amdhsa_fp16_overflow 0
		.amdhsa_memory_ordered 1
		.amdhsa_forward_progress 1
		.amdhsa_inst_pref_size 24
		.amdhsa_round_robin_scheduling 0
		.amdhsa_exception_fp_ieee_invalid_op 0
		.amdhsa_exception_fp_denorm_src 0
		.amdhsa_exception_fp_ieee_div_zero 0
		.amdhsa_exception_fp_ieee_overflow 0
		.amdhsa_exception_fp_ieee_underflow 0
		.amdhsa_exception_fp_ieee_inexact 0
		.amdhsa_exception_int_div_zero 0
	.end_amdhsa_kernel
	.section	.text._ZN9rocsparseL19gebsrmvn_4xn_kernelILj128ELj7ELj16E21rocsparse_complex_numIdEEEvi20rocsparse_direction_NS_24const_host_device_scalarIT2_EEPKiS8_PKS5_SA_S6_PS5_21rocsparse_index_base_b,"axG",@progbits,_ZN9rocsparseL19gebsrmvn_4xn_kernelILj128ELj7ELj16E21rocsparse_complex_numIdEEEvi20rocsparse_direction_NS_24const_host_device_scalarIT2_EEPKiS8_PKS5_SA_S6_PS5_21rocsparse_index_base_b,comdat
.Lfunc_end138:
	.size	_ZN9rocsparseL19gebsrmvn_4xn_kernelILj128ELj7ELj16E21rocsparse_complex_numIdEEEvi20rocsparse_direction_NS_24const_host_device_scalarIT2_EEPKiS8_PKS5_SA_S6_PS5_21rocsparse_index_base_b, .Lfunc_end138-_ZN9rocsparseL19gebsrmvn_4xn_kernelILj128ELj7ELj16E21rocsparse_complex_numIdEEEvi20rocsparse_direction_NS_24const_host_device_scalarIT2_EEPKiS8_PKS5_SA_S6_PS5_21rocsparse_index_base_b
                                        ; -- End function
	.set _ZN9rocsparseL19gebsrmvn_4xn_kernelILj128ELj7ELj16E21rocsparse_complex_numIdEEEvi20rocsparse_direction_NS_24const_host_device_scalarIT2_EEPKiS8_PKS5_SA_S6_PS5_21rocsparse_index_base_b.num_vgpr, 70
	.set _ZN9rocsparseL19gebsrmvn_4xn_kernelILj128ELj7ELj16E21rocsparse_complex_numIdEEEvi20rocsparse_direction_NS_24const_host_device_scalarIT2_EEPKiS8_PKS5_SA_S6_PS5_21rocsparse_index_base_b.num_agpr, 0
	.set _ZN9rocsparseL19gebsrmvn_4xn_kernelILj128ELj7ELj16E21rocsparse_complex_numIdEEEvi20rocsparse_direction_NS_24const_host_device_scalarIT2_EEPKiS8_PKS5_SA_S6_PS5_21rocsparse_index_base_b.numbered_sgpr, 14
	.set _ZN9rocsparseL19gebsrmvn_4xn_kernelILj128ELj7ELj16E21rocsparse_complex_numIdEEEvi20rocsparse_direction_NS_24const_host_device_scalarIT2_EEPKiS8_PKS5_SA_S6_PS5_21rocsparse_index_base_b.num_named_barrier, 0
	.set _ZN9rocsparseL19gebsrmvn_4xn_kernelILj128ELj7ELj16E21rocsparse_complex_numIdEEEvi20rocsparse_direction_NS_24const_host_device_scalarIT2_EEPKiS8_PKS5_SA_S6_PS5_21rocsparse_index_base_b.private_seg_size, 0
	.set _ZN9rocsparseL19gebsrmvn_4xn_kernelILj128ELj7ELj16E21rocsparse_complex_numIdEEEvi20rocsparse_direction_NS_24const_host_device_scalarIT2_EEPKiS8_PKS5_SA_S6_PS5_21rocsparse_index_base_b.uses_vcc, 1
	.set _ZN9rocsparseL19gebsrmvn_4xn_kernelILj128ELj7ELj16E21rocsparse_complex_numIdEEEvi20rocsparse_direction_NS_24const_host_device_scalarIT2_EEPKiS8_PKS5_SA_S6_PS5_21rocsparse_index_base_b.uses_flat_scratch, 0
	.set _ZN9rocsparseL19gebsrmvn_4xn_kernelILj128ELj7ELj16E21rocsparse_complex_numIdEEEvi20rocsparse_direction_NS_24const_host_device_scalarIT2_EEPKiS8_PKS5_SA_S6_PS5_21rocsparse_index_base_b.has_dyn_sized_stack, 0
	.set _ZN9rocsparseL19gebsrmvn_4xn_kernelILj128ELj7ELj16E21rocsparse_complex_numIdEEEvi20rocsparse_direction_NS_24const_host_device_scalarIT2_EEPKiS8_PKS5_SA_S6_PS5_21rocsparse_index_base_b.has_recursion, 0
	.set _ZN9rocsparseL19gebsrmvn_4xn_kernelILj128ELj7ELj16E21rocsparse_complex_numIdEEEvi20rocsparse_direction_NS_24const_host_device_scalarIT2_EEPKiS8_PKS5_SA_S6_PS5_21rocsparse_index_base_b.has_indirect_call, 0
	.section	.AMDGPU.csdata,"",@progbits
; Kernel info:
; codeLenInByte = 3040
; TotalNumSgprs: 16
; NumVgprs: 70
; ScratchSize: 0
; MemoryBound: 0
; FloatMode: 240
; IeeeMode: 1
; LDSByteSize: 0 bytes/workgroup (compile time only)
; SGPRBlocks: 0
; VGPRBlocks: 4
; NumSGPRsForWavesPerEU: 16
; NumVGPRsForWavesPerEU: 70
; NamedBarCnt: 0
; Occupancy: 12
; WaveLimiterHint : 1
; COMPUTE_PGM_RSRC2:SCRATCH_EN: 0
; COMPUTE_PGM_RSRC2:USER_SGPR: 2
; COMPUTE_PGM_RSRC2:TRAP_HANDLER: 0
; COMPUTE_PGM_RSRC2:TGID_X_EN: 1
; COMPUTE_PGM_RSRC2:TGID_Y_EN: 0
; COMPUTE_PGM_RSRC2:TGID_Z_EN: 0
; COMPUTE_PGM_RSRC2:TIDIG_COMP_CNT: 0
	.section	.text._ZN9rocsparseL19gebsrmvn_4xn_kernelILj128ELj7ELj32E21rocsparse_complex_numIdEEEvi20rocsparse_direction_NS_24const_host_device_scalarIT2_EEPKiS8_PKS5_SA_S6_PS5_21rocsparse_index_base_b,"axG",@progbits,_ZN9rocsparseL19gebsrmvn_4xn_kernelILj128ELj7ELj32E21rocsparse_complex_numIdEEEvi20rocsparse_direction_NS_24const_host_device_scalarIT2_EEPKiS8_PKS5_SA_S6_PS5_21rocsparse_index_base_b,comdat
	.globl	_ZN9rocsparseL19gebsrmvn_4xn_kernelILj128ELj7ELj32E21rocsparse_complex_numIdEEEvi20rocsparse_direction_NS_24const_host_device_scalarIT2_EEPKiS8_PKS5_SA_S6_PS5_21rocsparse_index_base_b ; -- Begin function _ZN9rocsparseL19gebsrmvn_4xn_kernelILj128ELj7ELj32E21rocsparse_complex_numIdEEEvi20rocsparse_direction_NS_24const_host_device_scalarIT2_EEPKiS8_PKS5_SA_S6_PS5_21rocsparse_index_base_b
	.p2align	8
	.type	_ZN9rocsparseL19gebsrmvn_4xn_kernelILj128ELj7ELj32E21rocsparse_complex_numIdEEEvi20rocsparse_direction_NS_24const_host_device_scalarIT2_EEPKiS8_PKS5_SA_S6_PS5_21rocsparse_index_base_b,@function
_ZN9rocsparseL19gebsrmvn_4xn_kernelILj128ELj7ELj32E21rocsparse_complex_numIdEEEvi20rocsparse_direction_NS_24const_host_device_scalarIT2_EEPKiS8_PKS5_SA_S6_PS5_21rocsparse_index_base_b: ; @_ZN9rocsparseL19gebsrmvn_4xn_kernelILj128ELj7ELj32E21rocsparse_complex_numIdEEEvi20rocsparse_direction_NS_24const_host_device_scalarIT2_EEPKiS8_PKS5_SA_S6_PS5_21rocsparse_index_base_b
; %bb.0:
	s_clause 0x1
	s_load_b64 s[12:13], s[0:1], 0x50
	s_load_b64 s[2:3], s[0:1], 0x8
	v_mov_b32_e32 v1, 0
	s_add_nc_u64 s[4:5], s[0:1], 8
	s_load_b64 s[6:7], s[0:1], 0x38
	s_wait_kmcnt 0x0
	s_bitcmp1_b32 s13, 0
	s_cselect_b32 s3, s5, s3
	s_cselect_b32 s2, s4, s2
	flat_load_b128 v[2:5], v1, s[2:3]
	s_wait_xcnt 0x0
	s_add_nc_u64 s[2:3], s[0:1], 56
	s_delay_alu instid0(SALU_CYCLE_1)
	s_cselect_b32 s3, s3, s7
	s_cselect_b32 s2, s2, s6
	flat_load_b128 v[6:9], v1, s[2:3]
	s_wait_loadcnt_dscnt 0x101
	v_cmp_eq_f64_e32 vcc_lo, 0, v[2:3]
	s_wait_xcnt 0x0
	v_cmp_eq_f64_e64 s2, 0, v[4:5]
	s_and_b32 s4, vcc_lo, s2
	s_mov_b32 s2, -1
	s_and_saveexec_b32 s3, s4
	s_cbranch_execz .LBB139_2
; %bb.1:
	s_wait_loadcnt_dscnt 0x0
	v_cmp_neq_f64_e32 vcc_lo, 1.0, v[6:7]
	v_cmp_neq_f64_e64 s2, 0, v[8:9]
	s_or_b32 s2, vcc_lo, s2
	s_delay_alu instid0(SALU_CYCLE_1)
	s_or_not1_b32 s2, s2, exec_lo
.LBB139_2:
	s_or_b32 exec_lo, exec_lo, s3
	s_and_saveexec_b32 s3, s2
	s_cbranch_execz .LBB139_29
; %bb.3:
	s_load_b64 s[2:3], s[0:1], 0x0
	s_bfe_u32 s4, ttmp6, 0x4000c
	s_and_b32 s5, ttmp6, 15
	s_add_co_i32 s4, s4, 1
	s_getreg_b32 s6, hwreg(HW_REG_IB_STS2, 6, 4)
	s_mul_i32 s4, ttmp9, s4
	v_lshrrev_b32_e32 v1, 5, v0
	s_add_co_i32 s5, s5, s4
	s_cmp_eq_u32 s6, 0
	s_cselect_b32 s4, ttmp9, s5
	s_delay_alu instid0(VALU_DEP_1) | instid1(SALU_CYCLE_1)
	v_lshl_or_b32 v10, s4, 2, v1
	s_wait_kmcnt 0x0
	s_delay_alu instid0(VALU_DEP_1)
	v_cmp_gt_i32_e32 vcc_lo, s2, v10
	s_and_b32 exec_lo, exec_lo, vcc_lo
	s_cbranch_execz .LBB139_29
; %bb.4:
	s_load_b256 s[4:11], s[0:1], 0x18
	v_ashrrev_i32_e32 v11, 31, v10
	s_cmp_lg_u32 s3, 0
	s_wait_kmcnt 0x0
	s_delay_alu instid0(VALU_DEP_1)
	v_lshl_add_u64 v[12:13], v[10:11], 2, s[4:5]
	v_and_b32_e32 v11, 31, v0
	global_load_b64 v[26:27], v[12:13], off
	s_wait_loadcnt 0x0
	v_subrev_nc_u32_e32 v0, s12, v26
	v_subrev_nc_u32_e32 v44, s12, v27
	s_delay_alu instid0(VALU_DEP_2) | instskip(NEXT) | instid1(VALU_DEP_1)
	v_add_nc_u32_e32 v45, v0, v11
	v_cmp_lt_i32_e64 s2, v45, v44
	s_cbranch_scc0 .LBB139_12
; %bb.5:
	v_mov_b64_e32 v[0:1], 0
	v_mov_b64_e32 v[12:13], 0
	;; [unrolled: 1-line block ×8, first 2 shown]
	s_and_saveexec_b32 s3, s2
	s_cbranch_execz .LBB139_14
; %bb.6:
	v_mul_lo_u32 v27, v45, 28
	v_mov_b64_e32 v[0:1], 0
	v_mov_b64_e32 v[12:13], 0
	;; [unrolled: 1-line block ×8, first 2 shown]
	v_mov_b32_e32 v46, v45
	s_mov_b32 s4, 0
	s_branch .LBB139_8
.LBB139_7:                              ;   in Loop: Header=BB139_8 Depth=1
	v_add_nc_u32_e32 v46, 32, v46
	v_add_nc_u32_e32 v27, 0x380, v27
	s_delay_alu instid0(VALU_DEP_2) | instskip(SKIP_1) | instid1(SALU_CYCLE_1)
	v_cmp_ge_i32_e32 vcc_lo, v46, v44
	s_or_b32 s4, vcc_lo, s4
	s_and_not1_b32 exec_lo, exec_lo, s4
	s_cbranch_execz .LBB139_13
.LBB139_8:                              ; =>This Loop Header: Depth=1
                                        ;     Child Loop BB139_10 Depth 2
	global_load_b32 v28, v46, s[6:7] scale_offset
	v_mov_b64_e32 v[38:39], v[12:13]
	v_mov_b64_e32 v[36:37], v[16:17]
	;; [unrolled: 1-line block ×6, first 2 shown]
	v_mov_b32_e32 v48, v27
	s_mov_b32 s5, 0
	s_wait_loadcnt 0x0
	v_subrev_nc_u32_e32 v30, s12, v28
	v_mov_b64_e32 v[28:29], v[0:1]
	s_delay_alu instid0(VALU_DEP_2)
	v_mul_lo_u32 v47, v30, 7
	v_mov_b64_e32 v[30:31], v[24:25]
	s_branch .LBB139_10
.LBB139_9:                              ;   in Loop: Header=BB139_8 Depth=1
                                        ; implicit-def: $vgpr30_vgpr31
                                        ; implicit-def: $vgpr42_vgpr43
                                        ; implicit-def: $vgpr32_vgpr33
                                        ; implicit-def: $vgpr40_vgpr41
                                        ; implicit-def: $vgpr34_vgpr35
                                        ; implicit-def: $vgpr36_vgpr37
                                        ; implicit-def: $vgpr38_vgpr39
                                        ; implicit-def: $vgpr28_vgpr29
                                        ; implicit-def: $sgpr5
                                        ; implicit-def: $vgpr48
	s_branch .LBB139_7
.LBB139_10:                             ;   Parent Loop BB139_8 Depth=1
                                        ; =>  This Inner Loop Header: Depth=2
	s_delay_alu instid0(VALU_DEP_2)
	v_add_nc_u32_e32 v49, s5, v47
	s_cmp_eq_u32 s5, 6
	global_load_b128 v[50:53], v49, s[10:11] scale_offset
	s_clause 0x3
	global_load_b128 v[54:57], v48, s[8:9] scale_offset
	global_load_b128 v[58:61], v48, s[8:9] offset:16 scale_offset
	global_load_b128 v[62:65], v48, s[8:9] offset:32 scale_offset
	global_load_b128 v[66:69], v48, s[8:9] offset:48 scale_offset
	s_wait_loadcnt 0x3
	v_fmac_f64_e32 v[28:29], v[56:57], v[50:51]
	s_wait_loadcnt 0x2
	v_fmac_f64_e32 v[30:31], v[60:61], v[50:51]
	;; [unrolled: 2-line block ×4, first 2 shown]
	v_fmac_f64_e32 v[38:39], v[54:55], v[50:51]
	v_fmac_f64_e32 v[42:43], v[58:59], v[50:51]
	;; [unrolled: 1-line block ×4, first 2 shown]
	v_mov_b64_e32 v[0:1], v[28:29]
	v_mov_b64_e32 v[24:25], v[30:31]
	;; [unrolled: 1-line block ×4, first 2 shown]
	v_fma_f64 v[12:13], -v[56:57], v[52:53], v[38:39]
	v_fma_f64 v[22:23], -v[60:61], v[52:53], v[42:43]
	;; [unrolled: 1-line block ×4, first 2 shown]
	v_fmac_f64_e32 v[0:1], v[54:55], v[52:53]
	v_fmac_f64_e32 v[24:25], v[58:59], v[52:53]
	;; [unrolled: 1-line block ×4, first 2 shown]
	s_cbranch_scc1 .LBB139_9
; %bb.11:                               ;   in Loop: Header=BB139_10 Depth=2
	v_dual_add_nc_u32 v28, 1, v49 :: v_dual_add_nc_u32 v29, 4, v48
	s_add_co_i32 s5, s5, 2
	global_load_b128 v[50:53], v28, s[10:11] scale_offset
	s_clause 0x3
	global_load_b128 v[36:39], v29, s[8:9] scale_offset
	global_load_b128 v[40:43], v29, s[8:9] offset:16 scale_offset
	global_load_b128 v[54:57], v29, s[8:9] offset:32 scale_offset
	;; [unrolled: 1-line block ×3, first 2 shown]
	s_wait_loadcnt 0x3
	v_dual_fma_f64 v[62:63], v[36:37], v[50:51], v[12:13] :: v_dual_add_nc_u32 v48, 8, v48
	s_wait_xcnt 0x0
	v_fma_f64 v[28:29], v[38:39], v[50:51], v[0:1]
	s_wait_loadcnt 0x2
	v_fma_f64 v[64:65], v[40:41], v[50:51], v[22:23]
	v_fma_f64 v[30:31], v[42:43], v[50:51], v[24:25]
	s_wait_loadcnt 0x1
	v_fma_f64 v[66:67], v[54:55], v[50:51], v[18:19]
	;; [unrolled: 3-line block ×3, first 2 shown]
	v_fma_f64 v[34:35], v[60:61], v[50:51], v[14:15]
	v_fma_f64 v[38:39], -v[38:39], v[52:53], v[62:63]
	v_fmac_f64_e32 v[28:29], v[36:37], v[52:53]
	v_fma_f64 v[42:43], -v[42:43], v[52:53], v[64:65]
	v_fmac_f64_e32 v[30:31], v[40:41], v[52:53]
	;; [unrolled: 2-line block ×4, first 2 shown]
	s_cbranch_execnz .LBB139_10
	s_branch .LBB139_7
.LBB139_12:
                                        ; implicit-def: $vgpr0_vgpr1
                                        ; implicit-def: $vgpr12_vgpr13
                                        ; implicit-def: $vgpr16_vgpr17
                                        ; implicit-def: $vgpr14_vgpr15
                                        ; implicit-def: $vgpr18_vgpr19
                                        ; implicit-def: $vgpr20_vgpr21
                                        ; implicit-def: $vgpr22_vgpr23
                                        ; implicit-def: $vgpr24_vgpr25
	s_branch .LBB139_15
.LBB139_13:
	s_or_b32 exec_lo, exec_lo, s4
.LBB139_14:
	s_delay_alu instid0(SALU_CYCLE_1)
	s_or_b32 exec_lo, exec_lo, s3
	s_cbranch_execnz .LBB139_24
.LBB139_15:
	v_mov_b64_e32 v[0:1], 0
	v_mov_b64_e32 v[12:13], 0
	;; [unrolled: 1-line block ×8, first 2 shown]
	s_and_saveexec_b32 s3, s2
	s_cbranch_execz .LBB139_23
; %bb.16:
	v_mul_u32_u24_e32 v0, 28, v11
	v_mul_lo_u32 v42, v45, 28
	s_mul_i32 s2, s12, 28
	v_mov_b64_e32 v[12:13], 0
	v_mov_b64_e32 v[16:17], 0
	v_mad_u32 v26, v26, 28, v0
	v_mov_b64_e32 v[0:1], 0
	v_mov_b64_e32 v[14:15], 0
	;; [unrolled: 1-line block ×6, first 2 shown]
	v_subrev_nc_u32_e32 v43, s2, v26
	s_mov_b32 s2, 0
	s_branch .LBB139_18
.LBB139_17:                             ;   in Loop: Header=BB139_18 Depth=1
	v_add_nc_u32_e32 v45, 32, v45
	v_add_nc_u32_e32 v42, 0x380, v42
	v_add_nc_u32_e32 v43, 0x380, v43
	s_delay_alu instid0(VALU_DEP_3) | instskip(SKIP_1) | instid1(SALU_CYCLE_1)
	v_cmp_ge_i32_e32 vcc_lo, v45, v44
	s_or_b32 s2, vcc_lo, s2
	s_and_not1_b32 exec_lo, exec_lo, s2
	s_cbranch_execz .LBB139_22
.LBB139_18:                             ; =>This Loop Header: Depth=1
                                        ;     Child Loop BB139_20 Depth 2
	global_load_b32 v26, v45, s[6:7] scale_offset
	v_mov_b64_e32 v[28:29], v[0:1]
	v_mov_b64_e32 v[38:39], v[12:13]
	;; [unrolled: 1-line block ×7, first 2 shown]
	s_mov_b32 s4, 0
	s_wait_loadcnt 0x0
	v_subrev_nc_u32_e32 v26, s12, v26
	s_delay_alu instid0(VALU_DEP_1)
	v_mul_lo_u32 v46, v26, 7
	v_mov_b64_e32 v[26:27], v[24:25]
	s_branch .LBB139_20
.LBB139_19:                             ;   in Loop: Header=BB139_20 Depth=2
	s_and_not1_b32 vcc_lo, exec_lo, s5
	s_cbranch_vccz .LBB139_17
.LBB139_20:                             ;   Parent Loop BB139_18 Depth=1
                                        ; =>  This Inner Loop Header: Depth=2
	s_delay_alu instid0(VALU_DEP_2)
	v_dual_add_nc_u32 v0, s4, v43 :: v_dual_add_nc_u32 v48, s4, v46
	s_cmp_eq_u32 s4, 6
	s_mov_b32 s5, -1
	global_load_b128 v[14:17], v0, s[8:9] scale_offset
	global_load_b128 v[50:53], v48, s[10:11] scale_offset
	s_wait_loadcnt 0x0
	v_fmac_f64_e32 v[38:39], v[14:15], v[50:51]
	v_add_nc_u32_e32 v47, s4, v42
	v_fmac_f64_e32 v[28:29], v[16:17], v[50:51]
	s_delay_alu instid0(VALU_DEP_2)
	v_dual_add_nc_u32 v0, 7, v47 :: v_dual_add_nc_u32 v1, 14, v47
	v_add_nc_u32_e32 v12, 21, v47
	s_clause 0x2
	global_load_b128 v[54:57], v0, s[8:9] scale_offset
	global_load_b128 v[58:61], v1, s[8:9] scale_offset
	;; [unrolled: 1-line block ×3, first 2 shown]
	s_wait_xcnt 0x0
	v_fma_f64 v[12:13], -v[16:17], v[52:53], v[38:39]
                                        ; implicit-def: $vgpr38_vgpr39
	v_mov_b64_e32 v[0:1], v[28:29]
                                        ; implicit-def: $vgpr28_vgpr29
	s_delay_alu instid0(VALU_DEP_1)
	v_fmac_f64_e32 v[0:1], v[14:15], v[52:53]
	s_wait_loadcnt 0x2
	v_fmac_f64_e32 v[26:27], v[56:57], v[50:51]
	s_wait_loadcnt 0x1
	;; [unrolled: 2-line block ×3, first 2 shown]
	v_fmac_f64_e32 v[32:33], v[64:65], v[50:51]
	v_fmac_f64_e32 v[40:41], v[54:55], v[50:51]
	;; [unrolled: 1-line block ×4, first 2 shown]
	v_mov_b64_e32 v[24:25], v[26:27]
	v_mov_b64_e32 v[20:21], v[30:31]
	;; [unrolled: 1-line block ×3, first 2 shown]
	v_fma_f64 v[22:23], -v[56:57], v[52:53], v[40:41]
	v_fma_f64 v[18:19], -v[60:61], v[52:53], v[34:35]
	;; [unrolled: 1-line block ×3, first 2 shown]
                                        ; implicit-def: $vgpr26_vgpr27
                                        ; implicit-def: $vgpr40_vgpr41
                                        ; implicit-def: $vgpr30_vgpr31
                                        ; implicit-def: $vgpr34_vgpr35
                                        ; implicit-def: $vgpr32_vgpr33
                                        ; implicit-def: $vgpr36_vgpr37
	v_fmac_f64_e32 v[24:25], v[54:55], v[52:53]
	v_fmac_f64_e32 v[20:21], v[58:59], v[52:53]
	;; [unrolled: 1-line block ×3, first 2 shown]
	s_cbranch_scc1 .LBB139_19
; %bb.21:                               ;   in Loop: Header=BB139_20 Depth=2
	v_dual_add_nc_u32 v26, 1, v47 :: v_dual_add_nc_u32 v27, 1, v48
	v_dual_add_nc_u32 v28, 8, v47 :: v_dual_add_nc_u32 v29, 15, v47
	s_add_co_i32 s4, s4, 2
	global_load_b128 v[34:37], v26, s[8:9] scale_offset
	global_load_b128 v[48:51], v27, s[10:11] scale_offset
	s_wait_xcnt 0x1
	v_add_nc_u32_e32 v26, 22, v47
	s_mov_b32 s5, 0
	s_wait_loadcnt 0x0
	v_fma_f64 v[38:39], v[34:35], v[48:49], v[12:13]
	s_clause 0x2
	global_load_b128 v[52:55], v28, s[8:9] scale_offset
	global_load_b128 v[56:59], v29, s[8:9] scale_offset
	;; [unrolled: 1-line block ×3, first 2 shown]
	s_wait_xcnt 0x1
	v_fma_f64 v[28:29], v[36:37], v[48:49], v[0:1]
	v_fma_f64 v[38:39], -v[36:37], v[50:51], v[38:39]
	s_delay_alu instid0(VALU_DEP_2)
	v_fmac_f64_e32 v[28:29], v[34:35], v[50:51]
	s_wait_loadcnt 0x2
	v_fma_f64 v[40:41], v[52:53], v[48:49], v[22:23]
	s_wait_xcnt 0x0
	v_fma_f64 v[26:27], v[54:55], v[48:49], v[24:25]
	s_wait_loadcnt 0x1
	v_fma_f64 v[64:65], v[56:57], v[48:49], v[18:19]
	v_fma_f64 v[30:31], v[58:59], v[48:49], v[20:21]
	s_wait_loadcnt 0x0
	v_fma_f64 v[66:67], v[60:61], v[48:49], v[16:17]
	v_fma_f64 v[32:33], v[62:63], v[48:49], v[14:15]
	v_fma_f64 v[40:41], -v[54:55], v[50:51], v[40:41]
	v_fmac_f64_e32 v[26:27], v[52:53], v[50:51]
	v_fma_f64 v[34:35], -v[58:59], v[50:51], v[64:65]
	v_fmac_f64_e32 v[30:31], v[56:57], v[50:51]
	;; [unrolled: 2-line block ×3, first 2 shown]
	s_branch .LBB139_19
.LBB139_22:
	s_or_b32 exec_lo, exec_lo, s2
.LBB139_23:
	s_delay_alu instid0(SALU_CYCLE_1)
	s_or_b32 exec_lo, exec_lo, s3
.LBB139_24:
	v_mbcnt_lo_u32_b32 v44, -1, 0
	s_delay_alu instid0(VALU_DEP_1) | instskip(NEXT) | instid1(VALU_DEP_1)
	v_xor_b32_e32 v26, 16, v44
	v_cmp_gt_i32_e32 vcc_lo, 32, v26
	v_cndmask_b32_e32 v26, v44, v26, vcc_lo
	s_delay_alu instid0(VALU_DEP_1)
	v_lshlrev_b32_e32 v41, 2, v26
	ds_bpermute_b32 v28, v41, v0
	ds_bpermute_b32 v29, v41, v1
	s_wait_dscnt 0x0
	v_add_f64_e32 v[0:1], v[0:1], v[28:29]
	ds_bpermute_b32 v26, v41, v12
	ds_bpermute_b32 v27, v41, v13
	;; [unrolled: 1-line block ×14, first 2 shown]
	s_wait_dscnt 0xc
	v_dual_add_f64 v[12:13], v[12:13], v[26:27] :: v_dual_bitop2_b32 v26, 8, v44 bitop3:0x14
	s_wait_dscnt 0xa
	v_add_f64_e32 v[22:23], v[22:23], v[30:31]
	s_delay_alu instid0(VALU_DEP_2)
	v_cmp_gt_i32_e32 vcc_lo, 32, v26
	s_wait_dscnt 0x6
	v_add_f64_e32 v[18:19], v[18:19], v[34:35]
	s_wait_dscnt 0x2
	v_add_f64_e32 v[16:17], v[16:17], v[38:39]
	s_wait_dscnt 0x0
	v_dual_add_f64 v[14:15], v[14:15], v[40:41] :: v_dual_cndmask_b32 v26, v44, v26, vcc_lo
	s_delay_alu instid0(VALU_DEP_1)
	v_dual_add_f64 v[24:25], v[24:25], v[32:33] :: v_dual_lshlrev_b32 v41, 2, v26
	ds_bpermute_b32 v28, v41, v0
	ds_bpermute_b32 v29, v41, v1
	;; [unrolled: 1-line block ×8, first 2 shown]
	s_wait_dscnt 0x6
	v_add_f64_e32 v[0:1], v[0:1], v[28:29]
	ds_bpermute_b32 v40, v41, v14
	ds_bpermute_b32 v32, v41, v24
	;; [unrolled: 1-line block ×3, first 2 shown]
	s_wait_dscnt 0x7
	v_dual_add_f64 v[12:13], v[12:13], v[26:27] :: v_dual_bitop2_b32 v26, 4, v44 bitop3:0x14
	ds_bpermute_b32 v34, v41, v18
	ds_bpermute_b32 v35, v41, v19
	v_cmp_gt_i32_e32 vcc_lo, 32, v26
	v_cndmask_b32_e32 v26, v44, v26, vcc_lo
	v_add_f64_e32 v[20:21], v[20:21], v[36:37]
	s_wait_dscnt 0x2
	v_add_f64_e32 v[24:25], v[24:25], v[32:33]
	s_wait_dscnt 0x0
	v_add_f64_e32 v[18:19], v[18:19], v[34:35]
	ds_bpermute_b32 v36, v41, v20
	ds_bpermute_b32 v37, v41, v21
	;; [unrolled: 1-line block ×3, first 2 shown]
	s_wait_dscnt 0x0
	v_dual_add_f64 v[14:15], v[14:15], v[40:41] :: v_dual_lshlrev_b32 v41, 2, v26
	v_add_f64_e32 v[20:21], v[20:21], v[36:37]
	ds_bpermute_b32 v26, v41, v12
	ds_bpermute_b32 v27, v41, v13
	;; [unrolled: 1-line block ×8, first 2 shown]
	s_wait_dscnt 0x6
	v_add_f64_e32 v[12:13], v[12:13], v[26:27]
	s_wait_dscnt 0x4
	v_add_f64_e32 v[26:27], v[0:1], v[28:29]
	v_dual_add_f64 v[16:17], v[16:17], v[38:39] :: v_dual_bitop2_b32 v0, 2, v44 bitop3:0x14
	ds_bpermute_b32 v40, v41, v14
	s_wait_dscnt 0x3
	v_add_f64_e32 v[28:29], v[24:25], v[32:33]
	ds_bpermute_b32 v36, v41, v20
	v_cmp_gt_i32_e32 vcc_lo, 32, v0
	v_add_f64_e32 v[22:23], v[22:23], v[30:31]
	ds_bpermute_b32 v37, v41, v21
	s_wait_dscnt 0x3
	v_dual_add_f64 v[18:19], v[18:19], v[34:35] :: v_dual_cndmask_b32 v0, v44, v0, vcc_lo
	s_delay_alu instid0(VALU_DEP_1)
	v_lshlrev_b32_e32 v24, 2, v0
	s_wait_dscnt 0x0
	v_add_f64_e32 v[20:21], v[20:21], v[36:37]
	ds_bpermute_b32 v0, v24, v12
	ds_bpermute_b32 v1, v24, v13
	;; [unrolled: 1-line block ×11, first 2 shown]
	s_wait_dscnt 0x9
	v_add_f64_e32 v[0:1], v[12:13], v[0:1]
	s_wait_dscnt 0x7
	v_add_f64_e32 v[16:17], v[16:17], v[38:39]
	;; [unrolled: 2-line block ×4, first 2 shown]
	ds_bpermute_b32 v14, v24, v26
	ds_bpermute_b32 v15, v24, v27
	;; [unrolled: 1-line block ×4, first 2 shown]
	s_wait_dscnt 0x0
	v_add_f64_e32 v[20:21], v[20:21], v[38:39]
	ds_bpermute_b32 v40, v24, v16
	ds_bpermute_b32 v41, v24, v17
	;; [unrolled: 1-line block ×6, first 2 shown]
	v_dual_add_f64 v[24:25], v[26:27], v[14:15] :: v_dual_bitop2_b32 v26, 1, v44 bitop3:0x14
	v_add_f64_e32 v[14:15], v[18:19], v[36:37]
	s_delay_alu instid0(VALU_DEP_2)
	v_cmp_gt_i32_e32 vcc_lo, 32, v26
	v_cndmask_b32_e32 v26, v44, v26, vcc_lo
	s_wait_dscnt 0x4
	v_add_f64_e32 v[16:17], v[16:17], v[40:41]
	v_cmp_eq_u32_e32 vcc_lo, 31, v11
	s_wait_dscnt 0x2
	v_add_f64_e32 v[12:13], v[22:23], v[32:33]
	v_add_f64_e32 v[22:23], v[28:29], v[34:35]
	s_wait_dscnt 0x0
	v_add_f64_e32 v[18:19], v[30:31], v[42:43]
	v_lshlrev_b32_e32 v29, 2, v26
	ds_bpermute_b32 v40, v29, v0
	ds_bpermute_b32 v41, v29, v1
	;; [unrolled: 1-line block ×16, first 2 shown]
	s_and_b32 exec_lo, exec_lo, vcc_lo
	s_cbranch_execz .LBB139_29
; %bb.25:
	v_cmp_eq_f64_e32 vcc_lo, 0, v[6:7]
	v_cmp_eq_f64_e64 s2, 0, v[8:9]
	s_wait_dscnt 0xe
	v_add_f64_e32 v[0:1], v[0:1], v[40:41]
	s_wait_dscnt 0xa
	v_add_f64_e32 v[24:25], v[24:25], v[38:39]
	;; [unrolled: 2-line block ×4, first 2 shown]
	v_add_f64_e32 v[14:15], v[14:15], v[32:33]
	v_add_f64_e32 v[20:21], v[20:21], v[30:31]
	;; [unrolled: 1-line block ×3, first 2 shown]
	s_wait_dscnt 0x0
	v_add_f64_e32 v[18:19], v[18:19], v[28:29]
	s_load_b64 s[0:1], s[0:1], 0x48
	s_and_b32 s2, vcc_lo, s2
	s_delay_alu instid0(SALU_CYCLE_1) | instskip(NEXT) | instid1(SALU_CYCLE_1)
	s_and_saveexec_b32 s3, s2
	s_xor_b32 s2, exec_lo, s3
	s_cbranch_execz .LBB139_27
; %bb.26:
	v_mul_f64_e64 v[6:7], v[24:25], -v[4:5]
	v_mul_f64_e32 v[8:9], v[2:3], v[24:25]
	v_mul_f64_e64 v[24:25], v[22:23], -v[4:5]
	v_mul_f64_e32 v[26:27], v[2:3], v[22:23]
	;; [unrolled: 2-line block ×4, first 2 shown]
                                        ; implicit-def: $vgpr18_vgpr19
	v_fmac_f64_e32 v[6:7], v[2:3], v[0:1]
	v_fmac_f64_e32 v[8:9], v[4:5], v[0:1]
	;; [unrolled: 1-line block ×8, first 2 shown]
	v_lshlrev_b32_e32 v0, 2, v10
                                        ; implicit-def: $vgpr10
                                        ; implicit-def: $vgpr12_vgpr13
                                        ; implicit-def: $vgpr14_vgpr15
                                        ; implicit-def: $vgpr16_vgpr17
                                        ; implicit-def: $vgpr4_vgpr5
	s_wait_kmcnt 0x0
	s_clause 0x3
	global_store_b128 v0, v[6:9], s[0:1] scale_offset
	global_store_b128 v0, v[24:27], s[0:1] offset:16 scale_offset
	global_store_b128 v0, v[28:31], s[0:1] offset:32 scale_offset
	;; [unrolled: 1-line block ×3, first 2 shown]
                                        ; implicit-def: $vgpr0_vgpr1
                                        ; implicit-def: $vgpr24_vgpr25
                                        ; implicit-def: $vgpr22_vgpr23
                                        ; implicit-def: $vgpr20_vgpr21
                                        ; implicit-def: $vgpr8_vgpr9
.LBB139_27:
	s_wait_xcnt 0x0
	s_and_not1_saveexec_b32 s2, s2
	s_cbranch_execz .LBB139_29
; %bb.28:
	v_dual_mul_f64 v[42:43], v[24:25], -v[4:5] :: v_dual_lshlrev_b32 v52, 2, v10
	v_mul_f64_e32 v[24:25], v[2:3], v[24:25]
	v_mul_f64_e64 v[46:47], v[22:23], -v[4:5]
	v_mul_f64_e32 v[44:45], v[2:3], v[22:23]
	s_wait_kmcnt 0x0
	s_clause 0x3
	global_load_b128 v[26:29], v52, s[0:1] scale_offset
	global_load_b128 v[30:33], v52, s[0:1] offset:16 scale_offset
	global_load_b128 v[34:37], v52, s[0:1] offset:32 scale_offset
	;; [unrolled: 1-line block ×3, first 2 shown]
	v_mul_f64_e64 v[48:49], v[20:21], -v[4:5]
	v_mul_f64_e32 v[20:21], v[2:3], v[20:21]
	v_mul_f64_e64 v[50:51], v[18:19], -v[4:5]
	v_mul_f64_e32 v[10:11], v[2:3], v[18:19]
	v_fmac_f64_e32 v[42:43], v[2:3], v[0:1]
	v_fmac_f64_e32 v[24:25], v[4:5], v[0:1]
	;; [unrolled: 1-line block ×8, first 2 shown]
	s_wait_loadcnt 0x3
	v_fmac_f64_e32 v[42:43], v[6:7], v[26:27]
	v_fmac_f64_e32 v[24:25], v[8:9], v[26:27]
	s_wait_loadcnt 0x2
	v_fmac_f64_e32 v[46:47], v[6:7], v[30:31]
	v_fmac_f64_e32 v[44:45], v[8:9], v[30:31]
	;; [unrolled: 3-line block ×4, first 2 shown]
	v_fma_f64 v[22:23], -v[8:9], v[28:29], v[42:43]
	v_fmac_f64_e32 v[24:25], v[6:7], v[28:29]
	v_fma_f64 v[42:43], -v[8:9], v[32:33], v[46:47]
	v_fmac_f64_e32 v[44:45], v[6:7], v[32:33]
	;; [unrolled: 2-line block ×4, first 2 shown]
	s_clause 0x3
	global_store_b128 v52, v[22:25], s[0:1] scale_offset
	global_store_b128 v52, v[42:45], s[0:1] offset:16 scale_offset
	global_store_b128 v52, v[18:21], s[0:1] offset:32 scale_offset
	;; [unrolled: 1-line block ×3, first 2 shown]
.LBB139_29:
	s_sendmsg sendmsg(MSG_DEALLOC_VGPRS)
	s_endpgm
	.section	.rodata,"a",@progbits
	.p2align	6, 0x0
	.amdhsa_kernel _ZN9rocsparseL19gebsrmvn_4xn_kernelILj128ELj7ELj32E21rocsparse_complex_numIdEEEvi20rocsparse_direction_NS_24const_host_device_scalarIT2_EEPKiS8_PKS5_SA_S6_PS5_21rocsparse_index_base_b
		.amdhsa_group_segment_fixed_size 0
		.amdhsa_private_segment_fixed_size 0
		.amdhsa_kernarg_size 88
		.amdhsa_user_sgpr_count 2
		.amdhsa_user_sgpr_dispatch_ptr 0
		.amdhsa_user_sgpr_queue_ptr 0
		.amdhsa_user_sgpr_kernarg_segment_ptr 1
		.amdhsa_user_sgpr_dispatch_id 0
		.amdhsa_user_sgpr_kernarg_preload_length 0
		.amdhsa_user_sgpr_kernarg_preload_offset 0
		.amdhsa_user_sgpr_private_segment_size 0
		.amdhsa_wavefront_size32 1
		.amdhsa_uses_dynamic_stack 0
		.amdhsa_enable_private_segment 0
		.amdhsa_system_sgpr_workgroup_id_x 1
		.amdhsa_system_sgpr_workgroup_id_y 0
		.amdhsa_system_sgpr_workgroup_id_z 0
		.amdhsa_system_sgpr_workgroup_info 0
		.amdhsa_system_vgpr_workitem_id 0
		.amdhsa_next_free_vgpr 70
		.amdhsa_next_free_sgpr 14
		.amdhsa_named_barrier_count 0
		.amdhsa_reserve_vcc 1
		.amdhsa_float_round_mode_32 0
		.amdhsa_float_round_mode_16_64 0
		.amdhsa_float_denorm_mode_32 3
		.amdhsa_float_denorm_mode_16_64 3
		.amdhsa_fp16_overflow 0
		.amdhsa_memory_ordered 1
		.amdhsa_forward_progress 1
		.amdhsa_inst_pref_size 26
		.amdhsa_round_robin_scheduling 0
		.amdhsa_exception_fp_ieee_invalid_op 0
		.amdhsa_exception_fp_denorm_src 0
		.amdhsa_exception_fp_ieee_div_zero 0
		.amdhsa_exception_fp_ieee_overflow 0
		.amdhsa_exception_fp_ieee_underflow 0
		.amdhsa_exception_fp_ieee_inexact 0
		.amdhsa_exception_int_div_zero 0
	.end_amdhsa_kernel
	.section	.text._ZN9rocsparseL19gebsrmvn_4xn_kernelILj128ELj7ELj32E21rocsparse_complex_numIdEEEvi20rocsparse_direction_NS_24const_host_device_scalarIT2_EEPKiS8_PKS5_SA_S6_PS5_21rocsparse_index_base_b,"axG",@progbits,_ZN9rocsparseL19gebsrmvn_4xn_kernelILj128ELj7ELj32E21rocsparse_complex_numIdEEEvi20rocsparse_direction_NS_24const_host_device_scalarIT2_EEPKiS8_PKS5_SA_S6_PS5_21rocsparse_index_base_b,comdat
.Lfunc_end139:
	.size	_ZN9rocsparseL19gebsrmvn_4xn_kernelILj128ELj7ELj32E21rocsparse_complex_numIdEEEvi20rocsparse_direction_NS_24const_host_device_scalarIT2_EEPKiS8_PKS5_SA_S6_PS5_21rocsparse_index_base_b, .Lfunc_end139-_ZN9rocsparseL19gebsrmvn_4xn_kernelILj128ELj7ELj32E21rocsparse_complex_numIdEEEvi20rocsparse_direction_NS_24const_host_device_scalarIT2_EEPKiS8_PKS5_SA_S6_PS5_21rocsparse_index_base_b
                                        ; -- End function
	.set _ZN9rocsparseL19gebsrmvn_4xn_kernelILj128ELj7ELj32E21rocsparse_complex_numIdEEEvi20rocsparse_direction_NS_24const_host_device_scalarIT2_EEPKiS8_PKS5_SA_S6_PS5_21rocsparse_index_base_b.num_vgpr, 70
	.set _ZN9rocsparseL19gebsrmvn_4xn_kernelILj128ELj7ELj32E21rocsparse_complex_numIdEEEvi20rocsparse_direction_NS_24const_host_device_scalarIT2_EEPKiS8_PKS5_SA_S6_PS5_21rocsparse_index_base_b.num_agpr, 0
	.set _ZN9rocsparseL19gebsrmvn_4xn_kernelILj128ELj7ELj32E21rocsparse_complex_numIdEEEvi20rocsparse_direction_NS_24const_host_device_scalarIT2_EEPKiS8_PKS5_SA_S6_PS5_21rocsparse_index_base_b.numbered_sgpr, 14
	.set _ZN9rocsparseL19gebsrmvn_4xn_kernelILj128ELj7ELj32E21rocsparse_complex_numIdEEEvi20rocsparse_direction_NS_24const_host_device_scalarIT2_EEPKiS8_PKS5_SA_S6_PS5_21rocsparse_index_base_b.num_named_barrier, 0
	.set _ZN9rocsparseL19gebsrmvn_4xn_kernelILj128ELj7ELj32E21rocsparse_complex_numIdEEEvi20rocsparse_direction_NS_24const_host_device_scalarIT2_EEPKiS8_PKS5_SA_S6_PS5_21rocsparse_index_base_b.private_seg_size, 0
	.set _ZN9rocsparseL19gebsrmvn_4xn_kernelILj128ELj7ELj32E21rocsparse_complex_numIdEEEvi20rocsparse_direction_NS_24const_host_device_scalarIT2_EEPKiS8_PKS5_SA_S6_PS5_21rocsparse_index_base_b.uses_vcc, 1
	.set _ZN9rocsparseL19gebsrmvn_4xn_kernelILj128ELj7ELj32E21rocsparse_complex_numIdEEEvi20rocsparse_direction_NS_24const_host_device_scalarIT2_EEPKiS8_PKS5_SA_S6_PS5_21rocsparse_index_base_b.uses_flat_scratch, 0
	.set _ZN9rocsparseL19gebsrmvn_4xn_kernelILj128ELj7ELj32E21rocsparse_complex_numIdEEEvi20rocsparse_direction_NS_24const_host_device_scalarIT2_EEPKiS8_PKS5_SA_S6_PS5_21rocsparse_index_base_b.has_dyn_sized_stack, 0
	.set _ZN9rocsparseL19gebsrmvn_4xn_kernelILj128ELj7ELj32E21rocsparse_complex_numIdEEEvi20rocsparse_direction_NS_24const_host_device_scalarIT2_EEPKiS8_PKS5_SA_S6_PS5_21rocsparse_index_base_b.has_recursion, 0
	.set _ZN9rocsparseL19gebsrmvn_4xn_kernelILj128ELj7ELj32E21rocsparse_complex_numIdEEEvi20rocsparse_direction_NS_24const_host_device_scalarIT2_EEPKiS8_PKS5_SA_S6_PS5_21rocsparse_index_base_b.has_indirect_call, 0
	.section	.AMDGPU.csdata,"",@progbits
; Kernel info:
; codeLenInByte = 3256
; TotalNumSgprs: 16
; NumVgprs: 70
; ScratchSize: 0
; MemoryBound: 0
; FloatMode: 240
; IeeeMode: 1
; LDSByteSize: 0 bytes/workgroup (compile time only)
; SGPRBlocks: 0
; VGPRBlocks: 4
; NumSGPRsForWavesPerEU: 16
; NumVGPRsForWavesPerEU: 70
; NamedBarCnt: 0
; Occupancy: 12
; WaveLimiterHint : 1
; COMPUTE_PGM_RSRC2:SCRATCH_EN: 0
; COMPUTE_PGM_RSRC2:USER_SGPR: 2
; COMPUTE_PGM_RSRC2:TRAP_HANDLER: 0
; COMPUTE_PGM_RSRC2:TGID_X_EN: 1
; COMPUTE_PGM_RSRC2:TGID_Y_EN: 0
; COMPUTE_PGM_RSRC2:TGID_Z_EN: 0
; COMPUTE_PGM_RSRC2:TIDIG_COMP_CNT: 0
	.section	.text._ZN9rocsparseL19gebsrmvn_4xn_kernelILj128ELj7ELj64E21rocsparse_complex_numIdEEEvi20rocsparse_direction_NS_24const_host_device_scalarIT2_EEPKiS8_PKS5_SA_S6_PS5_21rocsparse_index_base_b,"axG",@progbits,_ZN9rocsparseL19gebsrmvn_4xn_kernelILj128ELj7ELj64E21rocsparse_complex_numIdEEEvi20rocsparse_direction_NS_24const_host_device_scalarIT2_EEPKiS8_PKS5_SA_S6_PS5_21rocsparse_index_base_b,comdat
	.globl	_ZN9rocsparseL19gebsrmvn_4xn_kernelILj128ELj7ELj64E21rocsparse_complex_numIdEEEvi20rocsparse_direction_NS_24const_host_device_scalarIT2_EEPKiS8_PKS5_SA_S6_PS5_21rocsparse_index_base_b ; -- Begin function _ZN9rocsparseL19gebsrmvn_4xn_kernelILj128ELj7ELj64E21rocsparse_complex_numIdEEEvi20rocsparse_direction_NS_24const_host_device_scalarIT2_EEPKiS8_PKS5_SA_S6_PS5_21rocsparse_index_base_b
	.p2align	8
	.type	_ZN9rocsparseL19gebsrmvn_4xn_kernelILj128ELj7ELj64E21rocsparse_complex_numIdEEEvi20rocsparse_direction_NS_24const_host_device_scalarIT2_EEPKiS8_PKS5_SA_S6_PS5_21rocsparse_index_base_b,@function
_ZN9rocsparseL19gebsrmvn_4xn_kernelILj128ELj7ELj64E21rocsparse_complex_numIdEEEvi20rocsparse_direction_NS_24const_host_device_scalarIT2_EEPKiS8_PKS5_SA_S6_PS5_21rocsparse_index_base_b: ; @_ZN9rocsparseL19gebsrmvn_4xn_kernelILj128ELj7ELj64E21rocsparse_complex_numIdEEEvi20rocsparse_direction_NS_24const_host_device_scalarIT2_EEPKiS8_PKS5_SA_S6_PS5_21rocsparse_index_base_b
; %bb.0:
	s_clause 0x1
	s_load_b64 s[12:13], s[0:1], 0x50
	s_load_b64 s[2:3], s[0:1], 0x8
	v_mov_b32_e32 v1, 0
	s_add_nc_u64 s[4:5], s[0:1], 8
	s_load_b64 s[6:7], s[0:1], 0x38
	s_wait_kmcnt 0x0
	s_bitcmp1_b32 s13, 0
	s_cselect_b32 s3, s5, s3
	s_cselect_b32 s2, s4, s2
	flat_load_b128 v[2:5], v1, s[2:3]
	s_wait_xcnt 0x0
	s_add_nc_u64 s[2:3], s[0:1], 56
	s_delay_alu instid0(SALU_CYCLE_1)
	s_cselect_b32 s3, s3, s7
	s_cselect_b32 s2, s2, s6
	flat_load_b128 v[6:9], v1, s[2:3]
	s_wait_loadcnt_dscnt 0x101
	v_cmp_eq_f64_e32 vcc_lo, 0, v[2:3]
	s_wait_xcnt 0x0
	v_cmp_eq_f64_e64 s2, 0, v[4:5]
	s_and_b32 s4, vcc_lo, s2
	s_mov_b32 s2, -1
	s_and_saveexec_b32 s3, s4
	s_cbranch_execz .LBB140_2
; %bb.1:
	s_wait_loadcnt_dscnt 0x0
	v_cmp_neq_f64_e32 vcc_lo, 1.0, v[6:7]
	v_cmp_neq_f64_e64 s2, 0, v[8:9]
	s_or_b32 s2, vcc_lo, s2
	s_delay_alu instid0(SALU_CYCLE_1)
	s_or_not1_b32 s2, s2, exec_lo
.LBB140_2:
	s_or_b32 exec_lo, exec_lo, s3
	s_and_saveexec_b32 s3, s2
	s_cbranch_execz .LBB140_29
; %bb.3:
	s_load_b64 s[2:3], s[0:1], 0x0
	s_bfe_u32 s4, ttmp6, 0x4000c
	s_and_b32 s5, ttmp6, 15
	s_add_co_i32 s4, s4, 1
	s_getreg_b32 s6, hwreg(HW_REG_IB_STS2, 6, 4)
	s_mul_i32 s4, ttmp9, s4
	v_lshrrev_b32_e32 v1, 6, v0
	s_add_co_i32 s5, s5, s4
	s_cmp_eq_u32 s6, 0
	s_cselect_b32 s4, ttmp9, s5
	s_delay_alu instid0(VALU_DEP_1) | instid1(SALU_CYCLE_1)
	v_lshl_or_b32 v10, s4, 1, v1
	s_wait_kmcnt 0x0
	s_delay_alu instid0(VALU_DEP_1)
	v_cmp_gt_i32_e32 vcc_lo, s2, v10
	s_and_b32 exec_lo, exec_lo, vcc_lo
	s_cbranch_execz .LBB140_29
; %bb.4:
	s_load_b256 s[4:11], s[0:1], 0x18
	v_ashrrev_i32_e32 v11, 31, v10
	s_cmp_lg_u32 s3, 0
	s_wait_kmcnt 0x0
	s_delay_alu instid0(VALU_DEP_1)
	v_lshl_add_u64 v[12:13], v[10:11], 2, s[4:5]
	v_and_b32_e32 v11, 63, v0
	global_load_b64 v[26:27], v[12:13], off
	s_wait_loadcnt 0x0
	v_subrev_nc_u32_e32 v0, s12, v26
	v_subrev_nc_u32_e32 v44, s12, v27
	s_delay_alu instid0(VALU_DEP_2) | instskip(NEXT) | instid1(VALU_DEP_1)
	v_add_nc_u32_e32 v45, v0, v11
	v_cmp_lt_i32_e64 s2, v45, v44
	s_cbranch_scc0 .LBB140_12
; %bb.5:
	v_mov_b64_e32 v[0:1], 0
	v_mov_b64_e32 v[12:13], 0
	;; [unrolled: 1-line block ×8, first 2 shown]
	s_and_saveexec_b32 s3, s2
	s_cbranch_execz .LBB140_14
; %bb.6:
	v_mul_lo_u32 v27, v45, 28
	v_mov_b64_e32 v[0:1], 0
	v_mov_b64_e32 v[12:13], 0
	;; [unrolled: 1-line block ×8, first 2 shown]
	v_mov_b32_e32 v46, v45
	s_mov_b32 s4, 0
	s_branch .LBB140_8
.LBB140_7:                              ;   in Loop: Header=BB140_8 Depth=1
	v_add_nc_u32_e32 v46, 64, v46
	v_add_nc_u32_e32 v27, 0x700, v27
	s_delay_alu instid0(VALU_DEP_2) | instskip(SKIP_1) | instid1(SALU_CYCLE_1)
	v_cmp_ge_i32_e32 vcc_lo, v46, v44
	s_or_b32 s4, vcc_lo, s4
	s_and_not1_b32 exec_lo, exec_lo, s4
	s_cbranch_execz .LBB140_13
.LBB140_8:                              ; =>This Loop Header: Depth=1
                                        ;     Child Loop BB140_10 Depth 2
	global_load_b32 v28, v46, s[6:7] scale_offset
	v_mov_b64_e32 v[38:39], v[12:13]
	v_mov_b64_e32 v[36:37], v[16:17]
	;; [unrolled: 1-line block ×6, first 2 shown]
	v_mov_b32_e32 v48, v27
	s_mov_b32 s5, 0
	s_wait_loadcnt 0x0
	v_subrev_nc_u32_e32 v30, s12, v28
	v_mov_b64_e32 v[28:29], v[0:1]
	s_delay_alu instid0(VALU_DEP_2)
	v_mul_lo_u32 v47, v30, 7
	v_mov_b64_e32 v[30:31], v[24:25]
	s_branch .LBB140_10
.LBB140_9:                              ;   in Loop: Header=BB140_8 Depth=1
                                        ; implicit-def: $vgpr30_vgpr31
                                        ; implicit-def: $vgpr42_vgpr43
                                        ; implicit-def: $vgpr32_vgpr33
                                        ; implicit-def: $vgpr40_vgpr41
                                        ; implicit-def: $vgpr34_vgpr35
                                        ; implicit-def: $vgpr36_vgpr37
                                        ; implicit-def: $vgpr38_vgpr39
                                        ; implicit-def: $vgpr28_vgpr29
                                        ; implicit-def: $sgpr5
                                        ; implicit-def: $vgpr48
	s_branch .LBB140_7
.LBB140_10:                             ;   Parent Loop BB140_8 Depth=1
                                        ; =>  This Inner Loop Header: Depth=2
	s_delay_alu instid0(VALU_DEP_2)
	v_add_nc_u32_e32 v49, s5, v47
	s_cmp_eq_u32 s5, 6
	global_load_b128 v[50:53], v49, s[10:11] scale_offset
	s_clause 0x3
	global_load_b128 v[54:57], v48, s[8:9] scale_offset
	global_load_b128 v[58:61], v48, s[8:9] offset:16 scale_offset
	global_load_b128 v[62:65], v48, s[8:9] offset:32 scale_offset
	;; [unrolled: 1-line block ×3, first 2 shown]
	s_wait_loadcnt 0x3
	v_fmac_f64_e32 v[28:29], v[56:57], v[50:51]
	s_wait_loadcnt 0x2
	v_fmac_f64_e32 v[30:31], v[60:61], v[50:51]
	s_wait_loadcnt 0x1
	v_fmac_f64_e32 v[32:33], v[64:65], v[50:51]
	s_wait_loadcnt 0x0
	v_fmac_f64_e32 v[34:35], v[68:69], v[50:51]
	v_fmac_f64_e32 v[38:39], v[54:55], v[50:51]
	v_fmac_f64_e32 v[42:43], v[58:59], v[50:51]
	;; [unrolled: 1-line block ×4, first 2 shown]
	v_mov_b64_e32 v[0:1], v[28:29]
	v_mov_b64_e32 v[24:25], v[30:31]
	v_mov_b64_e32 v[20:21], v[32:33]
	v_mov_b64_e32 v[14:15], v[34:35]
	v_fma_f64 v[12:13], -v[56:57], v[52:53], v[38:39]
	v_fma_f64 v[22:23], -v[60:61], v[52:53], v[42:43]
	;; [unrolled: 1-line block ×4, first 2 shown]
	v_fmac_f64_e32 v[0:1], v[54:55], v[52:53]
	v_fmac_f64_e32 v[24:25], v[58:59], v[52:53]
	;; [unrolled: 1-line block ×4, first 2 shown]
	s_cbranch_scc1 .LBB140_9
; %bb.11:                               ;   in Loop: Header=BB140_10 Depth=2
	v_dual_add_nc_u32 v28, 1, v49 :: v_dual_add_nc_u32 v29, 4, v48
	s_add_co_i32 s5, s5, 2
	global_load_b128 v[50:53], v28, s[10:11] scale_offset
	s_clause 0x3
	global_load_b128 v[36:39], v29, s[8:9] scale_offset
	global_load_b128 v[40:43], v29, s[8:9] offset:16 scale_offset
	global_load_b128 v[54:57], v29, s[8:9] offset:32 scale_offset
	;; [unrolled: 1-line block ×3, first 2 shown]
	s_wait_loadcnt 0x3
	v_dual_fma_f64 v[62:63], v[36:37], v[50:51], v[12:13] :: v_dual_add_nc_u32 v48, 8, v48
	s_wait_xcnt 0x0
	v_fma_f64 v[28:29], v[38:39], v[50:51], v[0:1]
	s_wait_loadcnt 0x2
	v_fma_f64 v[64:65], v[40:41], v[50:51], v[22:23]
	v_fma_f64 v[30:31], v[42:43], v[50:51], v[24:25]
	s_wait_loadcnt 0x1
	v_fma_f64 v[66:67], v[54:55], v[50:51], v[18:19]
	;; [unrolled: 3-line block ×3, first 2 shown]
	v_fma_f64 v[34:35], v[60:61], v[50:51], v[14:15]
	v_fma_f64 v[38:39], -v[38:39], v[52:53], v[62:63]
	v_fmac_f64_e32 v[28:29], v[36:37], v[52:53]
	v_fma_f64 v[42:43], -v[42:43], v[52:53], v[64:65]
	v_fmac_f64_e32 v[30:31], v[40:41], v[52:53]
	;; [unrolled: 2-line block ×4, first 2 shown]
	s_cbranch_execnz .LBB140_10
	s_branch .LBB140_7
.LBB140_12:
                                        ; implicit-def: $vgpr0_vgpr1
                                        ; implicit-def: $vgpr12_vgpr13
                                        ; implicit-def: $vgpr16_vgpr17
                                        ; implicit-def: $vgpr14_vgpr15
                                        ; implicit-def: $vgpr18_vgpr19
                                        ; implicit-def: $vgpr20_vgpr21
                                        ; implicit-def: $vgpr22_vgpr23
                                        ; implicit-def: $vgpr24_vgpr25
	s_branch .LBB140_15
.LBB140_13:
	s_or_b32 exec_lo, exec_lo, s4
.LBB140_14:
	s_delay_alu instid0(SALU_CYCLE_1)
	s_or_b32 exec_lo, exec_lo, s3
	s_cbranch_execnz .LBB140_24
.LBB140_15:
	v_mov_b64_e32 v[0:1], 0
	v_mov_b64_e32 v[12:13], 0
	;; [unrolled: 1-line block ×8, first 2 shown]
	s_and_saveexec_b32 s3, s2
	s_cbranch_execz .LBB140_23
; %bb.16:
	v_mul_u32_u24_e32 v0, 28, v11
	v_mul_lo_u32 v42, v45, 28
	s_mul_i32 s2, s12, 28
	v_mov_b64_e32 v[12:13], 0
	v_mov_b64_e32 v[16:17], 0
	v_mad_u32 v26, v26, 28, v0
	v_mov_b64_e32 v[0:1], 0
	v_mov_b64_e32 v[14:15], 0
	;; [unrolled: 1-line block ×6, first 2 shown]
	v_subrev_nc_u32_e32 v43, s2, v26
	s_mov_b32 s2, 0
	s_branch .LBB140_18
.LBB140_17:                             ;   in Loop: Header=BB140_18 Depth=1
	v_add_nc_u32_e32 v45, 64, v45
	v_add_nc_u32_e32 v42, 0x700, v42
	;; [unrolled: 1-line block ×3, first 2 shown]
	s_delay_alu instid0(VALU_DEP_3) | instskip(SKIP_1) | instid1(SALU_CYCLE_1)
	v_cmp_ge_i32_e32 vcc_lo, v45, v44
	s_or_b32 s2, vcc_lo, s2
	s_and_not1_b32 exec_lo, exec_lo, s2
	s_cbranch_execz .LBB140_22
.LBB140_18:                             ; =>This Loop Header: Depth=1
                                        ;     Child Loop BB140_20 Depth 2
	global_load_b32 v26, v45, s[6:7] scale_offset
	v_mov_b64_e32 v[28:29], v[0:1]
	v_mov_b64_e32 v[38:39], v[12:13]
	;; [unrolled: 1-line block ×7, first 2 shown]
	s_mov_b32 s4, 0
	s_wait_loadcnt 0x0
	v_subrev_nc_u32_e32 v26, s12, v26
	s_delay_alu instid0(VALU_DEP_1)
	v_mul_lo_u32 v46, v26, 7
	v_mov_b64_e32 v[26:27], v[24:25]
	s_branch .LBB140_20
.LBB140_19:                             ;   in Loop: Header=BB140_20 Depth=2
	s_and_not1_b32 vcc_lo, exec_lo, s5
	s_cbranch_vccz .LBB140_17
.LBB140_20:                             ;   Parent Loop BB140_18 Depth=1
                                        ; =>  This Inner Loop Header: Depth=2
	s_delay_alu instid0(VALU_DEP_2)
	v_dual_add_nc_u32 v0, s4, v43 :: v_dual_add_nc_u32 v48, s4, v46
	s_cmp_eq_u32 s4, 6
	s_mov_b32 s5, -1
	global_load_b128 v[14:17], v0, s[8:9] scale_offset
	global_load_b128 v[50:53], v48, s[10:11] scale_offset
	s_wait_loadcnt 0x0
	v_fmac_f64_e32 v[38:39], v[14:15], v[50:51]
	v_add_nc_u32_e32 v47, s4, v42
	v_fmac_f64_e32 v[28:29], v[16:17], v[50:51]
	s_delay_alu instid0(VALU_DEP_2)
	v_dual_add_nc_u32 v0, 7, v47 :: v_dual_add_nc_u32 v1, 14, v47
	v_add_nc_u32_e32 v12, 21, v47
	s_clause 0x2
	global_load_b128 v[54:57], v0, s[8:9] scale_offset
	global_load_b128 v[58:61], v1, s[8:9] scale_offset
	;; [unrolled: 1-line block ×3, first 2 shown]
	s_wait_xcnt 0x0
	v_fma_f64 v[12:13], -v[16:17], v[52:53], v[38:39]
                                        ; implicit-def: $vgpr38_vgpr39
	v_mov_b64_e32 v[0:1], v[28:29]
                                        ; implicit-def: $vgpr28_vgpr29
	s_delay_alu instid0(VALU_DEP_1)
	v_fmac_f64_e32 v[0:1], v[14:15], v[52:53]
	s_wait_loadcnt 0x2
	v_fmac_f64_e32 v[26:27], v[56:57], v[50:51]
	s_wait_loadcnt 0x1
	;; [unrolled: 2-line block ×3, first 2 shown]
	v_fmac_f64_e32 v[32:33], v[64:65], v[50:51]
	v_fmac_f64_e32 v[40:41], v[54:55], v[50:51]
	;; [unrolled: 1-line block ×4, first 2 shown]
	v_mov_b64_e32 v[24:25], v[26:27]
	v_mov_b64_e32 v[20:21], v[30:31]
	;; [unrolled: 1-line block ×3, first 2 shown]
	v_fma_f64 v[22:23], -v[56:57], v[52:53], v[40:41]
	v_fma_f64 v[18:19], -v[60:61], v[52:53], v[34:35]
	;; [unrolled: 1-line block ×3, first 2 shown]
                                        ; implicit-def: $vgpr26_vgpr27
                                        ; implicit-def: $vgpr40_vgpr41
                                        ; implicit-def: $vgpr30_vgpr31
                                        ; implicit-def: $vgpr34_vgpr35
                                        ; implicit-def: $vgpr32_vgpr33
                                        ; implicit-def: $vgpr36_vgpr37
	v_fmac_f64_e32 v[24:25], v[54:55], v[52:53]
	v_fmac_f64_e32 v[20:21], v[58:59], v[52:53]
	;; [unrolled: 1-line block ×3, first 2 shown]
	s_cbranch_scc1 .LBB140_19
; %bb.21:                               ;   in Loop: Header=BB140_20 Depth=2
	v_dual_add_nc_u32 v26, 1, v47 :: v_dual_add_nc_u32 v27, 1, v48
	v_dual_add_nc_u32 v28, 8, v47 :: v_dual_add_nc_u32 v29, 15, v47
	s_add_co_i32 s4, s4, 2
	global_load_b128 v[34:37], v26, s[8:9] scale_offset
	global_load_b128 v[48:51], v27, s[10:11] scale_offset
	s_wait_xcnt 0x1
	v_add_nc_u32_e32 v26, 22, v47
	s_mov_b32 s5, 0
	s_wait_loadcnt 0x0
	v_fma_f64 v[38:39], v[34:35], v[48:49], v[12:13]
	s_clause 0x2
	global_load_b128 v[52:55], v28, s[8:9] scale_offset
	global_load_b128 v[56:59], v29, s[8:9] scale_offset
	;; [unrolled: 1-line block ×3, first 2 shown]
	s_wait_xcnt 0x1
	v_fma_f64 v[28:29], v[36:37], v[48:49], v[0:1]
	v_fma_f64 v[38:39], -v[36:37], v[50:51], v[38:39]
	s_delay_alu instid0(VALU_DEP_2)
	v_fmac_f64_e32 v[28:29], v[34:35], v[50:51]
	s_wait_loadcnt 0x2
	v_fma_f64 v[40:41], v[52:53], v[48:49], v[22:23]
	s_wait_xcnt 0x0
	v_fma_f64 v[26:27], v[54:55], v[48:49], v[24:25]
	s_wait_loadcnt 0x1
	v_fma_f64 v[64:65], v[56:57], v[48:49], v[18:19]
	v_fma_f64 v[30:31], v[58:59], v[48:49], v[20:21]
	s_wait_loadcnt 0x0
	v_fma_f64 v[66:67], v[60:61], v[48:49], v[16:17]
	v_fma_f64 v[32:33], v[62:63], v[48:49], v[14:15]
	v_fma_f64 v[40:41], -v[54:55], v[50:51], v[40:41]
	v_fmac_f64_e32 v[26:27], v[52:53], v[50:51]
	v_fma_f64 v[34:35], -v[58:59], v[50:51], v[64:65]
	v_fmac_f64_e32 v[30:31], v[56:57], v[50:51]
	;; [unrolled: 2-line block ×3, first 2 shown]
	s_branch .LBB140_19
.LBB140_22:
	s_or_b32 exec_lo, exec_lo, s2
.LBB140_23:
	s_delay_alu instid0(SALU_CYCLE_1)
	s_or_b32 exec_lo, exec_lo, s3
.LBB140_24:
	v_mbcnt_lo_u32_b32 v44, -1, 0
	s_delay_alu instid0(VALU_DEP_1) | instskip(NEXT) | instid1(VALU_DEP_1)
	v_or_b32_e32 v26, 32, v44
	v_cmp_gt_i32_e32 vcc_lo, 32, v26
	v_cndmask_b32_e32 v26, v44, v26, vcc_lo
	s_delay_alu instid0(VALU_DEP_1)
	v_lshlrev_b32_e32 v41, 2, v26
	ds_bpermute_b32 v28, v41, v0
	ds_bpermute_b32 v29, v41, v1
	s_wait_dscnt 0x0
	v_add_f64_e32 v[0:1], v[0:1], v[28:29]
	ds_bpermute_b32 v26, v41, v12
	ds_bpermute_b32 v27, v41, v13
	;; [unrolled: 1-line block ×14, first 2 shown]
	s_wait_dscnt 0xc
	v_dual_add_f64 v[12:13], v[12:13], v[26:27] :: v_dual_bitop2_b32 v26, 16, v44 bitop3:0x14
	s_wait_dscnt 0xa
	v_add_f64_e32 v[22:23], v[22:23], v[30:31]
	s_delay_alu instid0(VALU_DEP_2)
	v_cmp_gt_i32_e32 vcc_lo, 32, v26
	s_wait_dscnt 0x6
	v_add_f64_e32 v[18:19], v[18:19], v[34:35]
	s_wait_dscnt 0x2
	v_add_f64_e32 v[16:17], v[16:17], v[38:39]
	s_wait_dscnt 0x0
	v_dual_add_f64 v[14:15], v[14:15], v[40:41] :: v_dual_cndmask_b32 v26, v44, v26, vcc_lo
	s_delay_alu instid0(VALU_DEP_1)
	v_dual_add_f64 v[24:25], v[24:25], v[32:33] :: v_dual_lshlrev_b32 v41, 2, v26
	ds_bpermute_b32 v28, v41, v0
	ds_bpermute_b32 v29, v41, v1
	ds_bpermute_b32 v26, v41, v12
	ds_bpermute_b32 v27, v41, v13
	ds_bpermute_b32 v30, v41, v22
	ds_bpermute_b32 v31, v41, v23
	ds_bpermute_b32 v38, v41, v16
	ds_bpermute_b32 v39, v41, v17
	ds_bpermute_b32 v40, v41, v14
	ds_bpermute_b32 v32, v41, v24
	ds_bpermute_b32 v33, v41, v25
	s_wait_dscnt 0x7
	v_dual_add_f64 v[12:13], v[12:13], v[26:27] :: v_dual_bitop2_b32 v26, 8, v44 bitop3:0x14
	ds_bpermute_b32 v34, v41, v18
	ds_bpermute_b32 v35, v41, v19
	s_wait_dscnt 0x7
	v_add_f64_e32 v[22:23], v[22:23], v[30:31]
	v_cmp_gt_i32_e32 vcc_lo, 32, v26
	v_cndmask_b32_e32 v26, v44, v26, vcc_lo
	v_add_f64_e32 v[20:21], v[20:21], v[36:37]
	s_wait_dscnt 0x2
	v_add_f64_e32 v[24:25], v[24:25], v[32:33]
	s_wait_dscnt 0x0
	v_add_f64_e32 v[18:19], v[18:19], v[34:35]
	ds_bpermute_b32 v36, v41, v20
	ds_bpermute_b32 v37, v41, v21
	;; [unrolled: 1-line block ×3, first 2 shown]
	s_wait_dscnt 0x0
	v_dual_add_f64 v[14:15], v[14:15], v[40:41] :: v_dual_lshlrev_b32 v41, 2, v26
	v_add_f64_e32 v[20:21], v[20:21], v[36:37]
	ds_bpermute_b32 v26, v41, v12
	ds_bpermute_b32 v27, v41, v13
	;; [unrolled: 1-line block ×8, first 2 shown]
	s_wait_dscnt 0x6
	v_dual_add_f64 v[12:13], v[12:13], v[26:27] :: v_dual_bitop2_b32 v26, 4, v44 bitop3:0x14
	v_add_f64_e32 v[16:17], v[16:17], v[38:39]
	s_wait_dscnt 0x2
	v_add_f64_e32 v[24:25], v[24:25], v[32:33]
	ds_bpermute_b32 v40, v41, v14
	v_cmp_gt_i32_e32 vcc_lo, 32, v26
	ds_bpermute_b32 v36, v41, v20
	ds_bpermute_b32 v37, v41, v21
	v_cndmask_b32_e32 v26, v44, v26, vcc_lo
	v_add_f64_e32 v[0:1], v[0:1], v[28:29]
	s_wait_dscnt 0x0
	v_add_f64_e32 v[20:21], v[20:21], v[36:37]
	ds_bpermute_b32 v38, v41, v16
	ds_bpermute_b32 v39, v41, v17
	;; [unrolled: 1-line block ×5, first 2 shown]
	s_wait_dscnt 0x3
	v_add_f64_e32 v[16:17], v[16:17], v[38:39]
	s_wait_dscnt 0x0
	v_dual_add_f64 v[14:15], v[14:15], v[40:41] :: v_dual_lshlrev_b32 v41, 2, v26
	v_add_f64_e32 v[0:1], v[0:1], v[28:29]
	ds_bpermute_b32 v26, v41, v12
	ds_bpermute_b32 v27, v41, v13
	;; [unrolled: 1-line block ×8, first 2 shown]
	s_wait_dscnt 0x6
	v_add_f64_e32 v[12:13], v[12:13], v[26:27]
	s_wait_dscnt 0x2
	v_add_f64_e32 v[20:21], v[20:21], v[36:37]
	ds_bpermute_b32 v40, v41, v14
	ds_bpermute_b32 v28, v41, v0
	;; [unrolled: 1-line block ×3, first 2 shown]
	s_wait_dscnt 0x3
	v_add_f64_e32 v[16:17], v[16:17], v[38:39]
	s_wait_dscnt 0x0
	v_add_f64_e32 v[26:27], v[0:1], v[28:29]
	v_xor_b32_e32 v0, 2, v44
	v_add_f64_e32 v[28:29], v[24:25], v[32:33]
	s_delay_alu instid0(VALU_DEP_2) | instskip(SKIP_1) | instid1(VALU_DEP_1)
	v_cmp_gt_i32_e32 vcc_lo, 32, v0
	v_dual_add_f64 v[22:23], v[22:23], v[30:31] :: v_dual_cndmask_b32 v0, v44, v0, vcc_lo
	v_dual_add_f64 v[18:19], v[18:19], v[34:35] :: v_dual_lshlrev_b32 v24, 2, v0
	ds_bpermute_b32 v0, v24, v12
	ds_bpermute_b32 v1, v24, v13
	;; [unrolled: 1-line block ×4, first 2 shown]
	s_wait_dscnt 0x2
	v_add_f64_e32 v[0:1], v[12:13], v[0:1]
	ds_bpermute_b32 v30, v41, v22
	ds_bpermute_b32 v31, v41, v23
	s_wait_dscnt 0x2
	v_add_f64_e32 v[20:21], v[20:21], v[38:39]
	ds_bpermute_b32 v34, v41, v18
	ds_bpermute_b32 v35, v41, v19
	;; [unrolled: 1-line block ×3, first 2 shown]
	s_wait_dscnt 0x3
	v_add_f64_e32 v[22:23], v[22:23], v[30:31]
	s_wait_dscnt 0x1
	v_add_f64_e32 v[18:19], v[18:19], v[34:35]
	;; [unrolled: 2-line block ×3, first 2 shown]
	ds_bpermute_b32 v14, v24, v26
	ds_bpermute_b32 v15, v24, v27
	;; [unrolled: 1-line block ×8, first 2 shown]
	s_wait_dscnt 0x2
	v_add_f64_e32 v[16:17], v[16:17], v[40:41]
	ds_bpermute_b32 v36, v24, v18
	ds_bpermute_b32 v37, v24, v19
	;; [unrolled: 1-line block ×4, first 2 shown]
	v_dual_add_f64 v[24:25], v[26:27], v[14:15] :: v_dual_bitop2_b32 v26, 1, v44 bitop3:0x14
	s_delay_alu instid0(VALU_DEP_1)
	v_cmp_gt_i32_e32 vcc_lo, 32, v26
	s_wait_dscnt 0x4
	v_dual_add_f64 v[12:13], v[22:23], v[32:33] :: v_dual_cndmask_b32 v26, v44, v26, vcc_lo
	v_add_f64_e32 v[22:23], v[28:29], v[34:35]
	v_cmp_eq_u32_e32 vcc_lo, 63, v11
	s_wait_dscnt 0x2
	s_delay_alu instid0(VALU_DEP_3)
	v_dual_add_f64 v[14:15], v[18:19], v[36:37] :: v_dual_lshlrev_b32 v29, 2, v26
	s_wait_dscnt 0x0
	v_add_f64_e32 v[18:19], v[30:31], v[42:43]
	ds_bpermute_b32 v40, v29, v0
	ds_bpermute_b32 v41, v29, v1
	;; [unrolled: 1-line block ×16, first 2 shown]
	s_and_b32 exec_lo, exec_lo, vcc_lo
	s_cbranch_execz .LBB140_29
; %bb.25:
	v_cmp_eq_f64_e32 vcc_lo, 0, v[6:7]
	v_cmp_eq_f64_e64 s2, 0, v[8:9]
	s_wait_dscnt 0xe
	v_add_f64_e32 v[0:1], v[0:1], v[40:41]
	s_wait_dscnt 0x8
	v_add_f64_e32 v[24:25], v[24:25], v[38:39]
	;; [unrolled: 2-line block ×5, first 2 shown]
	v_add_f64_e32 v[20:21], v[20:21], v[30:31]
	v_add_f64_e32 v[16:17], v[16:17], v[26:27]
	s_wait_dscnt 0x0
	v_add_f64_e32 v[18:19], v[18:19], v[28:29]
	s_load_b64 s[0:1], s[0:1], 0x48
	s_and_b32 s2, vcc_lo, s2
	s_delay_alu instid0(SALU_CYCLE_1) | instskip(NEXT) | instid1(SALU_CYCLE_1)
	s_and_saveexec_b32 s3, s2
	s_xor_b32 s2, exec_lo, s3
	s_cbranch_execz .LBB140_27
; %bb.26:
	v_mul_f64_e64 v[6:7], v[24:25], -v[4:5]
	v_mul_f64_e32 v[8:9], v[2:3], v[24:25]
	v_mul_f64_e64 v[24:25], v[22:23], -v[4:5]
	v_mul_f64_e32 v[26:27], v[2:3], v[22:23]
	v_mul_f64_e64 v[28:29], v[20:21], -v[4:5]
	v_mul_f64_e32 v[30:31], v[2:3], v[20:21]
	v_mul_f64_e64 v[20:21], v[18:19], -v[4:5]
	v_mul_f64_e32 v[22:23], v[2:3], v[18:19]
                                        ; implicit-def: $vgpr18_vgpr19
	v_fmac_f64_e32 v[6:7], v[2:3], v[0:1]
	v_fmac_f64_e32 v[8:9], v[4:5], v[0:1]
	;; [unrolled: 1-line block ×8, first 2 shown]
	v_lshlrev_b32_e32 v0, 2, v10
                                        ; implicit-def: $vgpr10
                                        ; implicit-def: $vgpr12_vgpr13
                                        ; implicit-def: $vgpr14_vgpr15
                                        ; implicit-def: $vgpr16_vgpr17
                                        ; implicit-def: $vgpr4_vgpr5
	s_wait_kmcnt 0x0
	s_clause 0x3
	global_store_b128 v0, v[6:9], s[0:1] scale_offset
	global_store_b128 v0, v[24:27], s[0:1] offset:16 scale_offset
	global_store_b128 v0, v[28:31], s[0:1] offset:32 scale_offset
	;; [unrolled: 1-line block ×3, first 2 shown]
                                        ; implicit-def: $vgpr0_vgpr1
                                        ; implicit-def: $vgpr24_vgpr25
                                        ; implicit-def: $vgpr22_vgpr23
                                        ; implicit-def: $vgpr20_vgpr21
                                        ; implicit-def: $vgpr8_vgpr9
.LBB140_27:
	s_wait_xcnt 0x0
	s_and_not1_saveexec_b32 s2, s2
	s_cbranch_execz .LBB140_29
; %bb.28:
	v_dual_mul_f64 v[42:43], v[24:25], -v[4:5] :: v_dual_lshlrev_b32 v52, 2, v10
	v_mul_f64_e32 v[24:25], v[2:3], v[24:25]
	v_mul_f64_e64 v[46:47], v[22:23], -v[4:5]
	v_mul_f64_e32 v[44:45], v[2:3], v[22:23]
	s_wait_kmcnt 0x0
	s_clause 0x3
	global_load_b128 v[26:29], v52, s[0:1] scale_offset
	global_load_b128 v[30:33], v52, s[0:1] offset:16 scale_offset
	global_load_b128 v[34:37], v52, s[0:1] offset:32 scale_offset
	;; [unrolled: 1-line block ×3, first 2 shown]
	v_mul_f64_e64 v[48:49], v[20:21], -v[4:5]
	v_mul_f64_e32 v[20:21], v[2:3], v[20:21]
	v_mul_f64_e64 v[50:51], v[18:19], -v[4:5]
	v_mul_f64_e32 v[10:11], v[2:3], v[18:19]
	v_fmac_f64_e32 v[42:43], v[2:3], v[0:1]
	v_fmac_f64_e32 v[24:25], v[4:5], v[0:1]
	;; [unrolled: 1-line block ×8, first 2 shown]
	s_wait_loadcnt 0x3
	v_fmac_f64_e32 v[42:43], v[6:7], v[26:27]
	v_fmac_f64_e32 v[24:25], v[8:9], v[26:27]
	s_wait_loadcnt 0x2
	v_fmac_f64_e32 v[46:47], v[6:7], v[30:31]
	v_fmac_f64_e32 v[44:45], v[8:9], v[30:31]
	;; [unrolled: 3-line block ×4, first 2 shown]
	v_fma_f64 v[22:23], -v[8:9], v[28:29], v[42:43]
	v_fmac_f64_e32 v[24:25], v[6:7], v[28:29]
	v_fma_f64 v[42:43], -v[8:9], v[32:33], v[46:47]
	v_fmac_f64_e32 v[44:45], v[6:7], v[32:33]
	;; [unrolled: 2-line block ×4, first 2 shown]
	s_clause 0x3
	global_store_b128 v52, v[22:25], s[0:1] scale_offset
	global_store_b128 v52, v[42:45], s[0:1] offset:16 scale_offset
	global_store_b128 v52, v[18:21], s[0:1] offset:32 scale_offset
	;; [unrolled: 1-line block ×3, first 2 shown]
.LBB140_29:
	s_sendmsg sendmsg(MSG_DEALLOC_VGPRS)
	s_endpgm
	.section	.rodata,"a",@progbits
	.p2align	6, 0x0
	.amdhsa_kernel _ZN9rocsparseL19gebsrmvn_4xn_kernelILj128ELj7ELj64E21rocsparse_complex_numIdEEEvi20rocsparse_direction_NS_24const_host_device_scalarIT2_EEPKiS8_PKS5_SA_S6_PS5_21rocsparse_index_base_b
		.amdhsa_group_segment_fixed_size 0
		.amdhsa_private_segment_fixed_size 0
		.amdhsa_kernarg_size 88
		.amdhsa_user_sgpr_count 2
		.amdhsa_user_sgpr_dispatch_ptr 0
		.amdhsa_user_sgpr_queue_ptr 0
		.amdhsa_user_sgpr_kernarg_segment_ptr 1
		.amdhsa_user_sgpr_dispatch_id 0
		.amdhsa_user_sgpr_kernarg_preload_length 0
		.amdhsa_user_sgpr_kernarg_preload_offset 0
		.amdhsa_user_sgpr_private_segment_size 0
		.amdhsa_wavefront_size32 1
		.amdhsa_uses_dynamic_stack 0
		.amdhsa_enable_private_segment 0
		.amdhsa_system_sgpr_workgroup_id_x 1
		.amdhsa_system_sgpr_workgroup_id_y 0
		.amdhsa_system_sgpr_workgroup_id_z 0
		.amdhsa_system_sgpr_workgroup_info 0
		.amdhsa_system_vgpr_workitem_id 0
		.amdhsa_next_free_vgpr 70
		.amdhsa_next_free_sgpr 14
		.amdhsa_named_barrier_count 0
		.amdhsa_reserve_vcc 1
		.amdhsa_float_round_mode_32 0
		.amdhsa_float_round_mode_16_64 0
		.amdhsa_float_denorm_mode_32 3
		.amdhsa_float_denorm_mode_16_64 3
		.amdhsa_fp16_overflow 0
		.amdhsa_memory_ordered 1
		.amdhsa_forward_progress 1
		.amdhsa_inst_pref_size 28
		.amdhsa_round_robin_scheduling 0
		.amdhsa_exception_fp_ieee_invalid_op 0
		.amdhsa_exception_fp_denorm_src 0
		.amdhsa_exception_fp_ieee_div_zero 0
		.amdhsa_exception_fp_ieee_overflow 0
		.amdhsa_exception_fp_ieee_underflow 0
		.amdhsa_exception_fp_ieee_inexact 0
		.amdhsa_exception_int_div_zero 0
	.end_amdhsa_kernel
	.section	.text._ZN9rocsparseL19gebsrmvn_4xn_kernelILj128ELj7ELj64E21rocsparse_complex_numIdEEEvi20rocsparse_direction_NS_24const_host_device_scalarIT2_EEPKiS8_PKS5_SA_S6_PS5_21rocsparse_index_base_b,"axG",@progbits,_ZN9rocsparseL19gebsrmvn_4xn_kernelILj128ELj7ELj64E21rocsparse_complex_numIdEEEvi20rocsparse_direction_NS_24const_host_device_scalarIT2_EEPKiS8_PKS5_SA_S6_PS5_21rocsparse_index_base_b,comdat
.Lfunc_end140:
	.size	_ZN9rocsparseL19gebsrmvn_4xn_kernelILj128ELj7ELj64E21rocsparse_complex_numIdEEEvi20rocsparse_direction_NS_24const_host_device_scalarIT2_EEPKiS8_PKS5_SA_S6_PS5_21rocsparse_index_base_b, .Lfunc_end140-_ZN9rocsparseL19gebsrmvn_4xn_kernelILj128ELj7ELj64E21rocsparse_complex_numIdEEEvi20rocsparse_direction_NS_24const_host_device_scalarIT2_EEPKiS8_PKS5_SA_S6_PS5_21rocsparse_index_base_b
                                        ; -- End function
	.set _ZN9rocsparseL19gebsrmvn_4xn_kernelILj128ELj7ELj64E21rocsparse_complex_numIdEEEvi20rocsparse_direction_NS_24const_host_device_scalarIT2_EEPKiS8_PKS5_SA_S6_PS5_21rocsparse_index_base_b.num_vgpr, 70
	.set _ZN9rocsparseL19gebsrmvn_4xn_kernelILj128ELj7ELj64E21rocsparse_complex_numIdEEEvi20rocsparse_direction_NS_24const_host_device_scalarIT2_EEPKiS8_PKS5_SA_S6_PS5_21rocsparse_index_base_b.num_agpr, 0
	.set _ZN9rocsparseL19gebsrmvn_4xn_kernelILj128ELj7ELj64E21rocsparse_complex_numIdEEEvi20rocsparse_direction_NS_24const_host_device_scalarIT2_EEPKiS8_PKS5_SA_S6_PS5_21rocsparse_index_base_b.numbered_sgpr, 14
	.set _ZN9rocsparseL19gebsrmvn_4xn_kernelILj128ELj7ELj64E21rocsparse_complex_numIdEEEvi20rocsparse_direction_NS_24const_host_device_scalarIT2_EEPKiS8_PKS5_SA_S6_PS5_21rocsparse_index_base_b.num_named_barrier, 0
	.set _ZN9rocsparseL19gebsrmvn_4xn_kernelILj128ELj7ELj64E21rocsparse_complex_numIdEEEvi20rocsparse_direction_NS_24const_host_device_scalarIT2_EEPKiS8_PKS5_SA_S6_PS5_21rocsparse_index_base_b.private_seg_size, 0
	.set _ZN9rocsparseL19gebsrmvn_4xn_kernelILj128ELj7ELj64E21rocsparse_complex_numIdEEEvi20rocsparse_direction_NS_24const_host_device_scalarIT2_EEPKiS8_PKS5_SA_S6_PS5_21rocsparse_index_base_b.uses_vcc, 1
	.set _ZN9rocsparseL19gebsrmvn_4xn_kernelILj128ELj7ELj64E21rocsparse_complex_numIdEEEvi20rocsparse_direction_NS_24const_host_device_scalarIT2_EEPKiS8_PKS5_SA_S6_PS5_21rocsparse_index_base_b.uses_flat_scratch, 0
	.set _ZN9rocsparseL19gebsrmvn_4xn_kernelILj128ELj7ELj64E21rocsparse_complex_numIdEEEvi20rocsparse_direction_NS_24const_host_device_scalarIT2_EEPKiS8_PKS5_SA_S6_PS5_21rocsparse_index_base_b.has_dyn_sized_stack, 0
	.set _ZN9rocsparseL19gebsrmvn_4xn_kernelILj128ELj7ELj64E21rocsparse_complex_numIdEEEvi20rocsparse_direction_NS_24const_host_device_scalarIT2_EEPKiS8_PKS5_SA_S6_PS5_21rocsparse_index_base_b.has_recursion, 0
	.set _ZN9rocsparseL19gebsrmvn_4xn_kernelILj128ELj7ELj64E21rocsparse_complex_numIdEEEvi20rocsparse_direction_NS_24const_host_device_scalarIT2_EEPKiS8_PKS5_SA_S6_PS5_21rocsparse_index_base_b.has_indirect_call, 0
	.section	.AMDGPU.csdata,"",@progbits
; Kernel info:
; codeLenInByte = 3476
; TotalNumSgprs: 16
; NumVgprs: 70
; ScratchSize: 0
; MemoryBound: 0
; FloatMode: 240
; IeeeMode: 1
; LDSByteSize: 0 bytes/workgroup (compile time only)
; SGPRBlocks: 0
; VGPRBlocks: 4
; NumSGPRsForWavesPerEU: 16
; NumVGPRsForWavesPerEU: 70
; NamedBarCnt: 0
; Occupancy: 12
; WaveLimiterHint : 1
; COMPUTE_PGM_RSRC2:SCRATCH_EN: 0
; COMPUTE_PGM_RSRC2:USER_SGPR: 2
; COMPUTE_PGM_RSRC2:TRAP_HANDLER: 0
; COMPUTE_PGM_RSRC2:TGID_X_EN: 1
; COMPUTE_PGM_RSRC2:TGID_Y_EN: 0
; COMPUTE_PGM_RSRC2:TGID_Z_EN: 0
; COMPUTE_PGM_RSRC2:TIDIG_COMP_CNT: 0
	.section	.text._ZN9rocsparseL19gebsrmvn_4xn_kernelILj128ELj8ELj4E21rocsparse_complex_numIdEEEvi20rocsparse_direction_NS_24const_host_device_scalarIT2_EEPKiS8_PKS5_SA_S6_PS5_21rocsparse_index_base_b,"axG",@progbits,_ZN9rocsparseL19gebsrmvn_4xn_kernelILj128ELj8ELj4E21rocsparse_complex_numIdEEEvi20rocsparse_direction_NS_24const_host_device_scalarIT2_EEPKiS8_PKS5_SA_S6_PS5_21rocsparse_index_base_b,comdat
	.globl	_ZN9rocsparseL19gebsrmvn_4xn_kernelILj128ELj8ELj4E21rocsparse_complex_numIdEEEvi20rocsparse_direction_NS_24const_host_device_scalarIT2_EEPKiS8_PKS5_SA_S6_PS5_21rocsparse_index_base_b ; -- Begin function _ZN9rocsparseL19gebsrmvn_4xn_kernelILj128ELj8ELj4E21rocsparse_complex_numIdEEEvi20rocsparse_direction_NS_24const_host_device_scalarIT2_EEPKiS8_PKS5_SA_S6_PS5_21rocsparse_index_base_b
	.p2align	8
	.type	_ZN9rocsparseL19gebsrmvn_4xn_kernelILj128ELj8ELj4E21rocsparse_complex_numIdEEEvi20rocsparse_direction_NS_24const_host_device_scalarIT2_EEPKiS8_PKS5_SA_S6_PS5_21rocsparse_index_base_b,@function
_ZN9rocsparseL19gebsrmvn_4xn_kernelILj128ELj8ELj4E21rocsparse_complex_numIdEEEvi20rocsparse_direction_NS_24const_host_device_scalarIT2_EEPKiS8_PKS5_SA_S6_PS5_21rocsparse_index_base_b: ; @_ZN9rocsparseL19gebsrmvn_4xn_kernelILj128ELj8ELj4E21rocsparse_complex_numIdEEEvi20rocsparse_direction_NS_24const_host_device_scalarIT2_EEPKiS8_PKS5_SA_S6_PS5_21rocsparse_index_base_b
; %bb.0:
	s_clause 0x1
	s_load_b64 s[12:13], s[0:1], 0x50
	s_load_b64 s[2:3], s[0:1], 0x8
	v_mov_b32_e32 v1, 0
	s_add_nc_u64 s[4:5], s[0:1], 8
	s_load_b64 s[6:7], s[0:1], 0x38
	s_wait_kmcnt 0x0
	s_bitcmp1_b32 s13, 0
	s_cselect_b32 s3, s5, s3
	s_cselect_b32 s2, s4, s2
	flat_load_b128 v[2:5], v1, s[2:3]
	s_wait_xcnt 0x0
	s_add_nc_u64 s[2:3], s[0:1], 56
	s_delay_alu instid0(SALU_CYCLE_1)
	s_cselect_b32 s3, s3, s7
	s_cselect_b32 s2, s2, s6
	flat_load_b128 v[6:9], v1, s[2:3]
	s_wait_loadcnt_dscnt 0x101
	v_cmp_eq_f64_e32 vcc_lo, 0, v[2:3]
	s_wait_xcnt 0x0
	v_cmp_eq_f64_e64 s2, 0, v[4:5]
	s_and_b32 s4, vcc_lo, s2
	s_mov_b32 s2, -1
	s_and_saveexec_b32 s3, s4
	s_cbranch_execz .LBB141_2
; %bb.1:
	s_wait_loadcnt_dscnt 0x0
	v_cmp_neq_f64_e32 vcc_lo, 1.0, v[6:7]
	v_cmp_neq_f64_e64 s2, 0, v[8:9]
	s_or_b32 s2, vcc_lo, s2
	s_delay_alu instid0(SALU_CYCLE_1)
	s_or_not1_b32 s2, s2, exec_lo
.LBB141_2:
	s_or_b32 exec_lo, exec_lo, s3
	s_and_saveexec_b32 s3, s2
	s_cbranch_execz .LBB141_25
; %bb.3:
	s_load_b64 s[2:3], s[0:1], 0x0
	s_bfe_u32 s4, ttmp6, 0x4000c
	s_and_b32 s5, ttmp6, 15
	s_add_co_i32 s4, s4, 1
	s_getreg_b32 s6, hwreg(HW_REG_IB_STS2, 6, 4)
	s_mul_i32 s4, ttmp9, s4
	v_lshrrev_b32_e32 v1, 2, v0
	s_add_co_i32 s5, s5, s4
	s_cmp_eq_u32 s6, 0
	s_cselect_b32 s4, ttmp9, s5
	s_delay_alu instid0(VALU_DEP_1) | instid1(SALU_CYCLE_1)
	v_lshl_or_b32 v10, s4, 5, v1
	s_wait_kmcnt 0x0
	s_delay_alu instid0(VALU_DEP_1)
	v_cmp_gt_i32_e32 vcc_lo, s2, v10
	s_and_b32 exec_lo, exec_lo, vcc_lo
	s_cbranch_execz .LBB141_25
; %bb.4:
	s_load_b256 s[4:11], s[0:1], 0x18
	v_ashrrev_i32_e32 v11, 31, v10
	s_cmp_lg_u32 s3, 0
	s_wait_kmcnt 0x0
	s_delay_alu instid0(VALU_DEP_1)
	v_lshl_add_u64 v[12:13], v[10:11], 2, s[4:5]
	v_and_b32_e32 v11, 3, v0
	global_load_b64 v[12:13], v[12:13], off
	s_wait_loadcnt 0x0
	v_subrev_nc_u32_e32 v0, s12, v12
	v_subrev_nc_u32_e32 v32, s12, v13
	s_delay_alu instid0(VALU_DEP_2) | instskip(NEXT) | instid1(VALU_DEP_1)
	v_add_nc_u32_e32 v33, v0, v11
	v_cmp_lt_i32_e64 s2, v33, v32
	s_cbranch_scc0 .LBB141_12
; %bb.5:
	v_mov_b64_e32 v[0:1], 0
	v_mov_b64_e32 v[20:21], 0
	v_mov_b64_e32 v[18:19], 0
	v_mov_b64_e32 v[12:13], 0
	v_mov_b64_e32 v[22:23], 0
	v_mov_b64_e32 v[14:15], 0
	v_mov_b64_e32 v[24:25], 0
	v_mov_b64_e32 v[16:17], 0
	s_and_saveexec_b32 s3, s2
	s_cbranch_execz .LBB141_11
; %bb.6:
	v_dual_mov_b32 v27, 0 :: v_dual_lshlrev_b32 v26, 5, v33
	v_mov_b64_e32 v[0:1], 0
	v_mov_b64_e32 v[20:21], 0
	;; [unrolled: 1-line block ×8, first 2 shown]
	v_dual_mov_b32 v35, v33 :: v_dual_bitop2_b32 v34, 4, v26 bitop3:0x54
	s_add_nc_u64 s[4:5], s[10:11], 16
	s_mov_b32 s13, 0
.LBB141_7:                              ; =>This Loop Header: Depth=1
                                        ;     Child Loop BB141_8 Depth 2
	global_load_b32 v28, v35, s[6:7] scale_offset
	v_mov_b32_e32 v36, v34
	s_mov_b64 s[14:15], 0
	s_wait_loadcnt 0x0
	v_subrev_nc_u32_e32 v28, s12, v28
	s_delay_alu instid0(VALU_DEP_1) | instskip(SKIP_1) | instid1(VALU_DEP_2)
	v_dual_mov_b32 v31, v27 :: v_dual_lshlrev_b32 v30, 3, v28
	v_lshl_add_u64 v[28:29], v[26:27], 4, s[8:9]
	v_lshl_add_u64 v[30:31], v[30:31], 4, s[4:5]
.LBB141_8:                              ;   Parent Loop BB141_7 Depth=1
                                        ; =>  This Inner Loop Header: Depth=2
	s_delay_alu instid0(VALU_DEP_2)
	v_add_nc_u64_e32 v[78:79], s[14:15], v[28:29]
	s_add_nc_u64 s[14:15], s[14:15], 0x80
	s_clause 0x1
	global_load_b128 v[38:41], v[30:31], off
	global_load_b128 v[42:45], v[30:31], off offset:-16
	s_clause 0x7
	global_load_b128 v[46:49], v[78:79], off
	global_load_b128 v[50:53], v[78:79], off offset:16
	global_load_b128 v[54:57], v[78:79], off offset:32
	;; [unrolled: 1-line block ×3, first 2 shown]
	global_load_b128 v[62:65], v36, s[8:9] scale_offset
	global_load_b128 v[66:69], v36, s[8:9] offset:16 scale_offset
	global_load_b128 v[70:73], v36, s[8:9] offset:32 scale_offset
	;; [unrolled: 1-line block ×3, first 2 shown]
	s_wait_xcnt 0x8
	v_add_nc_u64_e32 v[30:31], 32, v[30:31]
	s_wait_xcnt 0x0
	v_add_nc_u32_e32 v36, 8, v36
	s_cmp_eq_u32 s14, 0x200
	s_wait_loadcnt 0x7
	v_fmac_f64_e32 v[20:21], v[46:47], v[42:43]
	v_fmac_f64_e32 v[0:1], v[48:49], v[42:43]
	s_wait_loadcnt 0x6
	v_fmac_f64_e32 v[24:25], v[50:51], v[42:43]
	v_fmac_f64_e32 v[16:17], v[52:53], v[42:43]
	;; [unrolled: 3-line block ×4, first 2 shown]
	v_fma_f64 v[20:21], -v[48:49], v[44:45], v[20:21]
	v_fmac_f64_e32 v[0:1], v[46:47], v[44:45]
	v_fma_f64 v[24:25], -v[52:53], v[44:45], v[24:25]
	v_fmac_f64_e32 v[16:17], v[50:51], v[44:45]
	;; [unrolled: 2-line block ×4, first 2 shown]
	s_wait_loadcnt 0x3
	v_fmac_f64_e32 v[20:21], v[62:63], v[38:39]
	v_fmac_f64_e32 v[0:1], v[64:65], v[38:39]
	s_wait_loadcnt 0x2
	v_fmac_f64_e32 v[24:25], v[66:67], v[38:39]
	v_fmac_f64_e32 v[16:17], v[68:69], v[38:39]
	;; [unrolled: 3-line block ×4, first 2 shown]
	v_fma_f64 v[20:21], -v[64:65], v[40:41], v[20:21]
	v_fmac_f64_e32 v[0:1], v[62:63], v[40:41]
	v_fma_f64 v[24:25], -v[68:69], v[40:41], v[24:25]
	v_fmac_f64_e32 v[16:17], v[66:67], v[40:41]
	v_fma_f64 v[22:23], -v[72:73], v[40:41], v[22:23]
	v_fmac_f64_e32 v[14:15], v[70:71], v[40:41]
	v_fma_f64 v[18:19], -v[76:77], v[40:41], v[18:19]
	v_fmac_f64_e32 v[12:13], v[74:75], v[40:41]
	s_cbranch_scc0 .LBB141_8
; %bb.9:                                ;   in Loop: Header=BB141_7 Depth=1
	v_add_nc_u32_e32 v35, 4, v35
	v_add_nc_u32_e32 v34, 0x80, v34
	;; [unrolled: 1-line block ×3, first 2 shown]
	s_delay_alu instid0(VALU_DEP_3) | instskip(SKIP_1) | instid1(SALU_CYCLE_1)
	v_cmp_ge_i32_e32 vcc_lo, v35, v32
	s_or_b32 s13, vcc_lo, s13
	s_and_not1_b32 exec_lo, exec_lo, s13
	s_cbranch_execnz .LBB141_7
; %bb.10:
	s_or_b32 exec_lo, exec_lo, s13
.LBB141_11:
	s_delay_alu instid0(SALU_CYCLE_1)
	s_or_b32 exec_lo, exec_lo, s3
	s_cbranch_execz .LBB141_13
	s_branch .LBB141_20
.LBB141_12:
                                        ; implicit-def: $vgpr0_vgpr1
                                        ; implicit-def: $vgpr20_vgpr21
                                        ; implicit-def: $vgpr18_vgpr19
                                        ; implicit-def: $vgpr12_vgpr13
                                        ; implicit-def: $vgpr22_vgpr23
                                        ; implicit-def: $vgpr14_vgpr15
                                        ; implicit-def: $vgpr24_vgpr25
                                        ; implicit-def: $vgpr16_vgpr17
.LBB141_13:
	v_mov_b64_e32 v[0:1], 0
	v_mov_b64_e32 v[20:21], 0
	;; [unrolled: 1-line block ×8, first 2 shown]
	s_and_saveexec_b32 s4, s2
	s_cbranch_execz .LBB141_19
; %bb.14:
	v_mov_b64_e32 v[0:1], 0
	v_mov_b64_e32 v[20:21], 0
	;; [unrolled: 1-line block ×8, first 2 shown]
	v_dual_mov_b32 v27, 0 :: v_dual_lshlrev_b32 v26, 5, v33
	s_mov_b32 s5, 0
.LBB141_15:                             ; =>This Loop Header: Depth=1
                                        ;     Child Loop BB141_16 Depth 2
	global_load_b32 v28, v33, s[6:7] scale_offset
	s_mov_b64 s[2:3], 0
	v_mov_b32_e32 v31, v27
	s_wait_loadcnt 0x0
	v_subrev_nc_u32_e32 v28, s12, v28
	s_delay_alu instid0(VALU_DEP_1) | instskip(SKIP_1) | instid1(VALU_DEP_2)
	v_lshlrev_b32_e32 v30, 3, v28
	v_lshl_add_u64 v[28:29], v[26:27], 4, s[8:9]
	v_lshl_add_u64 v[30:31], v[30:31], 4, s[10:11]
.LBB141_16:                             ;   Parent Loop BB141_15 Depth=1
                                        ; =>  This Inner Loop Header: Depth=2
	s_delay_alu instid0(VALU_DEP_2) | instskip(NEXT) | instid1(VALU_DEP_2)
	v_add_nc_u64_e32 v[74:75], s[2:3], v[28:29]
	v_add_nc_u64_e32 v[76:77], s[2:3], v[30:31]
	s_add_nc_u64 s[2:3], s[2:3], 32
	global_load_b128 v[34:37], v[74:75], off
	global_load_b128 v[38:41], v[76:77], off
	s_clause 0x3
	global_load_b128 v[42:45], v[74:75], off offset:128
	global_load_b128 v[46:49], v[74:75], off offset:256
	;; [unrolled: 1-line block ×5, first 2 shown]
	s_clause 0x2
	global_load_b128 v[62:65], v[74:75], off offset:144
	global_load_b128 v[66:69], v[74:75], off offset:272
	global_load_b128 v[70:73], v[74:75], off offset:400
	s_cmp_eq_u32 s2, 0x80
	s_wait_loadcnt 0x8
	v_fmac_f64_e32 v[20:21], v[34:35], v[38:39]
	v_fmac_f64_e32 v[0:1], v[36:37], v[38:39]
	s_wait_loadcnt 0x7
	v_fmac_f64_e32 v[24:25], v[42:43], v[38:39]
	v_fmac_f64_e32 v[16:17], v[44:45], v[38:39]
	;; [unrolled: 3-line block ×4, first 2 shown]
	v_fma_f64 v[20:21], -v[36:37], v[40:41], v[20:21]
	v_fmac_f64_e32 v[0:1], v[34:35], v[40:41]
	v_fma_f64 v[24:25], -v[44:45], v[40:41], v[24:25]
	v_fmac_f64_e32 v[16:17], v[42:43], v[40:41]
	;; [unrolled: 2-line block ×4, first 2 shown]
	s_wait_loadcnt 0x3
	v_fmac_f64_e32 v[20:21], v[54:55], v[58:59]
	v_fmac_f64_e32 v[0:1], v[56:57], v[58:59]
	s_wait_loadcnt 0x2
	v_fmac_f64_e32 v[24:25], v[62:63], v[58:59]
	v_fmac_f64_e32 v[16:17], v[64:65], v[58:59]
	s_wait_loadcnt 0x1
	v_fmac_f64_e32 v[22:23], v[66:67], v[58:59]
	v_fmac_f64_e32 v[14:15], v[68:69], v[58:59]
	s_wait_loadcnt 0x0
	v_fmac_f64_e32 v[18:19], v[70:71], v[58:59]
	v_fmac_f64_e32 v[12:13], v[72:73], v[58:59]
	v_fma_f64 v[20:21], -v[56:57], v[60:61], v[20:21]
	v_fmac_f64_e32 v[0:1], v[54:55], v[60:61]
	v_fma_f64 v[24:25], -v[64:65], v[60:61], v[24:25]
	v_fmac_f64_e32 v[16:17], v[62:63], v[60:61]
	;; [unrolled: 2-line block ×4, first 2 shown]
	s_cbranch_scc0 .LBB141_16
; %bb.17:                               ;   in Loop: Header=BB141_15 Depth=1
	v_add_nc_u32_e32 v33, 4, v33
	v_add_nc_u32_e32 v26, 0x80, v26
	s_delay_alu instid0(VALU_DEP_2) | instskip(SKIP_1) | instid1(SALU_CYCLE_1)
	v_cmp_ge_i32_e32 vcc_lo, v33, v32
	s_or_b32 s5, vcc_lo, s5
	s_and_not1_b32 exec_lo, exec_lo, s5
	s_cbranch_execnz .LBB141_15
; %bb.18:
	s_or_b32 exec_lo, exec_lo, s5
.LBB141_19:
	s_delay_alu instid0(SALU_CYCLE_1)
	s_or_b32 exec_lo, exec_lo, s4
.LBB141_20:
	v_mbcnt_lo_u32_b32 v46, -1, 0
	s_delay_alu instid0(VALU_DEP_1) | instskip(NEXT) | instid1(VALU_DEP_1)
	v_xor_b32_e32 v26, 2, v46
	v_cmp_gt_i32_e32 vcc_lo, 32, v26
	v_cndmask_b32_e32 v26, v46, v26, vcc_lo
	s_delay_alu instid0(VALU_DEP_1)
	v_lshlrev_b32_e32 v32, 2, v26
	ds_bpermute_b32 v26, v32, v20
	ds_bpermute_b32 v27, v32, v21
	;; [unrolled: 1-line block ×4, first 2 shown]
	s_wait_dscnt 0x2
	v_add_f64_e32 v[34:35], v[20:21], v[26:27]
	s_wait_dscnt 0x0
	v_add_f64_e32 v[20:21], v[14:15], v[40:41]
	ds_bpermute_b32 v28, v32, v0
	ds_bpermute_b32 v29, v32, v1
	;; [unrolled: 1-line block ×12, first 2 shown]
	s_wait_dscnt 0xa
	v_dual_add_f64 v[32:33], v[0:1], v[28:29] :: v_dual_bitop2_b32 v0, 1, v46 bitop3:0x14
	s_wait_dscnt 0x8
	v_add_f64_e32 v[28:29], v[16:17], v[36:37]
	s_wait_dscnt 0x6
	v_add_f64_e32 v[16:17], v[18:19], v[42:43]
	;; [unrolled: 2-line block ×3, first 2 shown]
	v_cmp_gt_i32_e32 vcc_lo, 32, v0
	s_wait_dscnt 0x0
	v_add_f64_e32 v[26:27], v[22:23], v[38:39]
	v_dual_add_f64 v[30:31], v[24:25], v[30:31] :: v_dual_cndmask_b32 v0, v46, v0, vcc_lo
	v_cmp_eq_u32_e32 vcc_lo, 3, v11
	s_delay_alu instid0(VALU_DEP_2)
	v_lshlrev_b32_e32 v39, 2, v0
	ds_bpermute_b32 v0, v39, v34
	ds_bpermute_b32 v1, v39, v35
	;; [unrolled: 1-line block ×16, first 2 shown]
	s_and_b32 exec_lo, exec_lo, vcc_lo
	s_cbranch_execz .LBB141_25
; %bb.21:
	v_cmp_eq_f64_e32 vcc_lo, 0, v[6:7]
	v_cmp_eq_f64_e64 s2, 0, v[8:9]
	s_wait_dscnt 0xe
	v_add_f64_e32 v[0:1], v[34:35], v[0:1]
	s_wait_dscnt 0xa
	v_add_f64_e32 v[24:25], v[32:33], v[24:25]
	;; [unrolled: 2-line block ×3, first 2 shown]
	v_add_f64_e32 v[22:23], v[28:29], v[22:23]
	v_add_f64_e32 v[14:15], v[26:27], v[14:15]
	;; [unrolled: 1-line block ×4, first 2 shown]
	s_wait_dscnt 0x0
	v_add_f64_e32 v[18:19], v[18:19], v[38:39]
	s_load_b64 s[0:1], s[0:1], 0x48
	s_and_b32 s2, vcc_lo, s2
	s_delay_alu instid0(SALU_CYCLE_1) | instskip(NEXT) | instid1(SALU_CYCLE_1)
	s_and_saveexec_b32 s3, s2
	s_xor_b32 s2, exec_lo, s3
	s_cbranch_execz .LBB141_23
; %bb.22:
	v_mul_f64_e64 v[6:7], v[24:25], -v[4:5]
	v_mul_f64_e32 v[8:9], v[2:3], v[24:25]
	v_mul_f64_e64 v[24:25], v[22:23], -v[4:5]
	v_mul_f64_e32 v[26:27], v[2:3], v[22:23]
	;; [unrolled: 2-line block ×4, first 2 shown]
                                        ; implicit-def: $vgpr18_vgpr19
	v_fmac_f64_e32 v[6:7], v[2:3], v[0:1]
	v_fmac_f64_e32 v[8:9], v[4:5], v[0:1]
	;; [unrolled: 1-line block ×8, first 2 shown]
	v_lshlrev_b32_e32 v0, 2, v10
                                        ; implicit-def: $vgpr10
                                        ; implicit-def: $vgpr12_vgpr13
                                        ; implicit-def: $vgpr14_vgpr15
                                        ; implicit-def: $vgpr16_vgpr17
                                        ; implicit-def: $vgpr4_vgpr5
	s_wait_kmcnt 0x0
	s_clause 0x3
	global_store_b128 v0, v[6:9], s[0:1] scale_offset
	global_store_b128 v0, v[24:27], s[0:1] offset:16 scale_offset
	global_store_b128 v0, v[28:31], s[0:1] offset:32 scale_offset
	;; [unrolled: 1-line block ×3, first 2 shown]
                                        ; implicit-def: $vgpr0_vgpr1
                                        ; implicit-def: $vgpr24_vgpr25
                                        ; implicit-def: $vgpr22_vgpr23
                                        ; implicit-def: $vgpr20_vgpr21
                                        ; implicit-def: $vgpr8_vgpr9
.LBB141_23:
	s_wait_xcnt 0x0
	s_and_not1_saveexec_b32 s2, s2
	s_cbranch_execz .LBB141_25
; %bb.24:
	v_dual_mul_f64 v[42:43], v[24:25], -v[4:5] :: v_dual_lshlrev_b32 v52, 2, v10
	v_mul_f64_e32 v[24:25], v[2:3], v[24:25]
	v_mul_f64_e64 v[46:47], v[22:23], -v[4:5]
	v_mul_f64_e32 v[44:45], v[2:3], v[22:23]
	s_wait_kmcnt 0x0
	s_clause 0x3
	global_load_b128 v[26:29], v52, s[0:1] scale_offset
	global_load_b128 v[30:33], v52, s[0:1] offset:16 scale_offset
	global_load_b128 v[34:37], v52, s[0:1] offset:32 scale_offset
	;; [unrolled: 1-line block ×3, first 2 shown]
	v_mul_f64_e64 v[48:49], v[20:21], -v[4:5]
	v_mul_f64_e32 v[20:21], v[2:3], v[20:21]
	v_mul_f64_e64 v[50:51], v[18:19], -v[4:5]
	v_mul_f64_e32 v[10:11], v[2:3], v[18:19]
	v_fmac_f64_e32 v[42:43], v[2:3], v[0:1]
	v_fmac_f64_e32 v[24:25], v[4:5], v[0:1]
	;; [unrolled: 1-line block ×8, first 2 shown]
	s_wait_loadcnt 0x3
	v_fmac_f64_e32 v[42:43], v[6:7], v[26:27]
	v_fmac_f64_e32 v[24:25], v[8:9], v[26:27]
	s_wait_loadcnt 0x2
	v_fmac_f64_e32 v[46:47], v[6:7], v[30:31]
	v_fmac_f64_e32 v[44:45], v[8:9], v[30:31]
	;; [unrolled: 3-line block ×4, first 2 shown]
	v_fma_f64 v[22:23], -v[8:9], v[28:29], v[42:43]
	v_fmac_f64_e32 v[24:25], v[6:7], v[28:29]
	v_fma_f64 v[42:43], -v[8:9], v[32:33], v[46:47]
	v_fmac_f64_e32 v[44:45], v[6:7], v[32:33]
	;; [unrolled: 2-line block ×4, first 2 shown]
	s_clause 0x3
	global_store_b128 v52, v[22:25], s[0:1] scale_offset
	global_store_b128 v52, v[42:45], s[0:1] offset:16 scale_offset
	global_store_b128 v52, v[18:21], s[0:1] offset:32 scale_offset
	;; [unrolled: 1-line block ×3, first 2 shown]
.LBB141_25:
	s_sendmsg sendmsg(MSG_DEALLOC_VGPRS)
	s_endpgm
	.section	.rodata,"a",@progbits
	.p2align	6, 0x0
	.amdhsa_kernel _ZN9rocsparseL19gebsrmvn_4xn_kernelILj128ELj8ELj4E21rocsparse_complex_numIdEEEvi20rocsparse_direction_NS_24const_host_device_scalarIT2_EEPKiS8_PKS5_SA_S6_PS5_21rocsparse_index_base_b
		.amdhsa_group_segment_fixed_size 0
		.amdhsa_private_segment_fixed_size 0
		.amdhsa_kernarg_size 88
		.amdhsa_user_sgpr_count 2
		.amdhsa_user_sgpr_dispatch_ptr 0
		.amdhsa_user_sgpr_queue_ptr 0
		.amdhsa_user_sgpr_kernarg_segment_ptr 1
		.amdhsa_user_sgpr_dispatch_id 0
		.amdhsa_user_sgpr_kernarg_preload_length 0
		.amdhsa_user_sgpr_kernarg_preload_offset 0
		.amdhsa_user_sgpr_private_segment_size 0
		.amdhsa_wavefront_size32 1
		.amdhsa_uses_dynamic_stack 0
		.amdhsa_enable_private_segment 0
		.amdhsa_system_sgpr_workgroup_id_x 1
		.amdhsa_system_sgpr_workgroup_id_y 0
		.amdhsa_system_sgpr_workgroup_id_z 0
		.amdhsa_system_sgpr_workgroup_info 0
		.amdhsa_system_vgpr_workitem_id 0
		.amdhsa_next_free_vgpr 80
		.amdhsa_next_free_sgpr 16
		.amdhsa_named_barrier_count 0
		.amdhsa_reserve_vcc 1
		.amdhsa_float_round_mode_32 0
		.amdhsa_float_round_mode_16_64 0
		.amdhsa_float_denorm_mode_32 3
		.amdhsa_float_denorm_mode_16_64 3
		.amdhsa_fp16_overflow 0
		.amdhsa_memory_ordered 1
		.amdhsa_forward_progress 1
		.amdhsa_inst_pref_size 19
		.amdhsa_round_robin_scheduling 0
		.amdhsa_exception_fp_ieee_invalid_op 0
		.amdhsa_exception_fp_denorm_src 0
		.amdhsa_exception_fp_ieee_div_zero 0
		.amdhsa_exception_fp_ieee_overflow 0
		.amdhsa_exception_fp_ieee_underflow 0
		.amdhsa_exception_fp_ieee_inexact 0
		.amdhsa_exception_int_div_zero 0
	.end_amdhsa_kernel
	.section	.text._ZN9rocsparseL19gebsrmvn_4xn_kernelILj128ELj8ELj4E21rocsparse_complex_numIdEEEvi20rocsparse_direction_NS_24const_host_device_scalarIT2_EEPKiS8_PKS5_SA_S6_PS5_21rocsparse_index_base_b,"axG",@progbits,_ZN9rocsparseL19gebsrmvn_4xn_kernelILj128ELj8ELj4E21rocsparse_complex_numIdEEEvi20rocsparse_direction_NS_24const_host_device_scalarIT2_EEPKiS8_PKS5_SA_S6_PS5_21rocsparse_index_base_b,comdat
.Lfunc_end141:
	.size	_ZN9rocsparseL19gebsrmvn_4xn_kernelILj128ELj8ELj4E21rocsparse_complex_numIdEEEvi20rocsparse_direction_NS_24const_host_device_scalarIT2_EEPKiS8_PKS5_SA_S6_PS5_21rocsparse_index_base_b, .Lfunc_end141-_ZN9rocsparseL19gebsrmvn_4xn_kernelILj128ELj8ELj4E21rocsparse_complex_numIdEEEvi20rocsparse_direction_NS_24const_host_device_scalarIT2_EEPKiS8_PKS5_SA_S6_PS5_21rocsparse_index_base_b
                                        ; -- End function
	.set _ZN9rocsparseL19gebsrmvn_4xn_kernelILj128ELj8ELj4E21rocsparse_complex_numIdEEEvi20rocsparse_direction_NS_24const_host_device_scalarIT2_EEPKiS8_PKS5_SA_S6_PS5_21rocsparse_index_base_b.num_vgpr, 80
	.set _ZN9rocsparseL19gebsrmvn_4xn_kernelILj128ELj8ELj4E21rocsparse_complex_numIdEEEvi20rocsparse_direction_NS_24const_host_device_scalarIT2_EEPKiS8_PKS5_SA_S6_PS5_21rocsparse_index_base_b.num_agpr, 0
	.set _ZN9rocsparseL19gebsrmvn_4xn_kernelILj128ELj8ELj4E21rocsparse_complex_numIdEEEvi20rocsparse_direction_NS_24const_host_device_scalarIT2_EEPKiS8_PKS5_SA_S6_PS5_21rocsparse_index_base_b.numbered_sgpr, 16
	.set _ZN9rocsparseL19gebsrmvn_4xn_kernelILj128ELj8ELj4E21rocsparse_complex_numIdEEEvi20rocsparse_direction_NS_24const_host_device_scalarIT2_EEPKiS8_PKS5_SA_S6_PS5_21rocsparse_index_base_b.num_named_barrier, 0
	.set _ZN9rocsparseL19gebsrmvn_4xn_kernelILj128ELj8ELj4E21rocsparse_complex_numIdEEEvi20rocsparse_direction_NS_24const_host_device_scalarIT2_EEPKiS8_PKS5_SA_S6_PS5_21rocsparse_index_base_b.private_seg_size, 0
	.set _ZN9rocsparseL19gebsrmvn_4xn_kernelILj128ELj8ELj4E21rocsparse_complex_numIdEEEvi20rocsparse_direction_NS_24const_host_device_scalarIT2_EEPKiS8_PKS5_SA_S6_PS5_21rocsparse_index_base_b.uses_vcc, 1
	.set _ZN9rocsparseL19gebsrmvn_4xn_kernelILj128ELj8ELj4E21rocsparse_complex_numIdEEEvi20rocsparse_direction_NS_24const_host_device_scalarIT2_EEPKiS8_PKS5_SA_S6_PS5_21rocsparse_index_base_b.uses_flat_scratch, 0
	.set _ZN9rocsparseL19gebsrmvn_4xn_kernelILj128ELj8ELj4E21rocsparse_complex_numIdEEEvi20rocsparse_direction_NS_24const_host_device_scalarIT2_EEPKiS8_PKS5_SA_S6_PS5_21rocsparse_index_base_b.has_dyn_sized_stack, 0
	.set _ZN9rocsparseL19gebsrmvn_4xn_kernelILj128ELj8ELj4E21rocsparse_complex_numIdEEEvi20rocsparse_direction_NS_24const_host_device_scalarIT2_EEPKiS8_PKS5_SA_S6_PS5_21rocsparse_index_base_b.has_recursion, 0
	.set _ZN9rocsparseL19gebsrmvn_4xn_kernelILj128ELj8ELj4E21rocsparse_complex_numIdEEEvi20rocsparse_direction_NS_24const_host_device_scalarIT2_EEPKiS8_PKS5_SA_S6_PS5_21rocsparse_index_base_b.has_indirect_call, 0
	.section	.AMDGPU.csdata,"",@progbits
; Kernel info:
; codeLenInByte = 2364
; TotalNumSgprs: 18
; NumVgprs: 80
; ScratchSize: 0
; MemoryBound: 0
; FloatMode: 240
; IeeeMode: 1
; LDSByteSize: 0 bytes/workgroup (compile time only)
; SGPRBlocks: 0
; VGPRBlocks: 4
; NumSGPRsForWavesPerEU: 18
; NumVGPRsForWavesPerEU: 80
; NamedBarCnt: 0
; Occupancy: 12
; WaveLimiterHint : 1
; COMPUTE_PGM_RSRC2:SCRATCH_EN: 0
; COMPUTE_PGM_RSRC2:USER_SGPR: 2
; COMPUTE_PGM_RSRC2:TRAP_HANDLER: 0
; COMPUTE_PGM_RSRC2:TGID_X_EN: 1
; COMPUTE_PGM_RSRC2:TGID_Y_EN: 0
; COMPUTE_PGM_RSRC2:TGID_Z_EN: 0
; COMPUTE_PGM_RSRC2:TIDIG_COMP_CNT: 0
	.section	.text._ZN9rocsparseL19gebsrmvn_4xn_kernelILj128ELj8ELj8E21rocsparse_complex_numIdEEEvi20rocsparse_direction_NS_24const_host_device_scalarIT2_EEPKiS8_PKS5_SA_S6_PS5_21rocsparse_index_base_b,"axG",@progbits,_ZN9rocsparseL19gebsrmvn_4xn_kernelILj128ELj8ELj8E21rocsparse_complex_numIdEEEvi20rocsparse_direction_NS_24const_host_device_scalarIT2_EEPKiS8_PKS5_SA_S6_PS5_21rocsparse_index_base_b,comdat
	.globl	_ZN9rocsparseL19gebsrmvn_4xn_kernelILj128ELj8ELj8E21rocsparse_complex_numIdEEEvi20rocsparse_direction_NS_24const_host_device_scalarIT2_EEPKiS8_PKS5_SA_S6_PS5_21rocsparse_index_base_b ; -- Begin function _ZN9rocsparseL19gebsrmvn_4xn_kernelILj128ELj8ELj8E21rocsparse_complex_numIdEEEvi20rocsparse_direction_NS_24const_host_device_scalarIT2_EEPKiS8_PKS5_SA_S6_PS5_21rocsparse_index_base_b
	.p2align	8
	.type	_ZN9rocsparseL19gebsrmvn_4xn_kernelILj128ELj8ELj8E21rocsparse_complex_numIdEEEvi20rocsparse_direction_NS_24const_host_device_scalarIT2_EEPKiS8_PKS5_SA_S6_PS5_21rocsparse_index_base_b,@function
_ZN9rocsparseL19gebsrmvn_4xn_kernelILj128ELj8ELj8E21rocsparse_complex_numIdEEEvi20rocsparse_direction_NS_24const_host_device_scalarIT2_EEPKiS8_PKS5_SA_S6_PS5_21rocsparse_index_base_b: ; @_ZN9rocsparseL19gebsrmvn_4xn_kernelILj128ELj8ELj8E21rocsparse_complex_numIdEEEvi20rocsparse_direction_NS_24const_host_device_scalarIT2_EEPKiS8_PKS5_SA_S6_PS5_21rocsparse_index_base_b
; %bb.0:
	s_clause 0x1
	s_load_b64 s[12:13], s[0:1], 0x50
	s_load_b64 s[2:3], s[0:1], 0x8
	v_mov_b32_e32 v1, 0
	s_add_nc_u64 s[4:5], s[0:1], 8
	s_load_b64 s[6:7], s[0:1], 0x38
	s_wait_kmcnt 0x0
	s_bitcmp1_b32 s13, 0
	s_cselect_b32 s3, s5, s3
	s_cselect_b32 s2, s4, s2
	flat_load_b128 v[2:5], v1, s[2:3]
	s_wait_xcnt 0x0
	s_add_nc_u64 s[2:3], s[0:1], 56
	s_delay_alu instid0(SALU_CYCLE_1)
	s_cselect_b32 s3, s3, s7
	s_cselect_b32 s2, s2, s6
	flat_load_b128 v[6:9], v1, s[2:3]
	s_wait_loadcnt_dscnt 0x101
	v_cmp_eq_f64_e32 vcc_lo, 0, v[2:3]
	s_wait_xcnt 0x0
	v_cmp_eq_f64_e64 s2, 0, v[4:5]
	s_and_b32 s4, vcc_lo, s2
	s_mov_b32 s2, -1
	s_and_saveexec_b32 s3, s4
	s_cbranch_execz .LBB142_2
; %bb.1:
	s_wait_loadcnt_dscnt 0x0
	v_cmp_neq_f64_e32 vcc_lo, 1.0, v[6:7]
	v_cmp_neq_f64_e64 s2, 0, v[8:9]
	s_or_b32 s2, vcc_lo, s2
	s_delay_alu instid0(SALU_CYCLE_1)
	s_or_not1_b32 s2, s2, exec_lo
.LBB142_2:
	s_or_b32 exec_lo, exec_lo, s3
	s_and_saveexec_b32 s3, s2
	s_cbranch_execz .LBB142_25
; %bb.3:
	s_load_b64 s[2:3], s[0:1], 0x0
	s_bfe_u32 s4, ttmp6, 0x4000c
	s_and_b32 s5, ttmp6, 15
	s_add_co_i32 s4, s4, 1
	s_getreg_b32 s6, hwreg(HW_REG_IB_STS2, 6, 4)
	s_mul_i32 s4, ttmp9, s4
	v_lshrrev_b32_e32 v1, 3, v0
	s_add_co_i32 s5, s5, s4
	s_cmp_eq_u32 s6, 0
	s_cselect_b32 s4, ttmp9, s5
	s_delay_alu instid0(VALU_DEP_1) | instid1(SALU_CYCLE_1)
	v_lshl_or_b32 v10, s4, 4, v1
	s_wait_kmcnt 0x0
	s_delay_alu instid0(VALU_DEP_1)
	v_cmp_gt_i32_e32 vcc_lo, s2, v10
	s_and_b32 exec_lo, exec_lo, vcc_lo
	s_cbranch_execz .LBB142_25
; %bb.4:
	s_load_b256 s[4:11], s[0:1], 0x18
	v_ashrrev_i32_e32 v11, 31, v10
	s_cmp_lg_u32 s3, 0
	s_wait_kmcnt 0x0
	s_delay_alu instid0(VALU_DEP_1)
	v_lshl_add_u64 v[12:13], v[10:11], 2, s[4:5]
	v_and_b32_e32 v11, 7, v0
	global_load_b64 v[12:13], v[12:13], off
	s_wait_loadcnt 0x0
	v_subrev_nc_u32_e32 v0, s12, v12
	v_subrev_nc_u32_e32 v32, s12, v13
	s_delay_alu instid0(VALU_DEP_2) | instskip(NEXT) | instid1(VALU_DEP_1)
	v_add_nc_u32_e32 v33, v0, v11
	v_cmp_lt_i32_e64 s2, v33, v32
	s_cbranch_scc0 .LBB142_12
; %bb.5:
	v_mov_b64_e32 v[0:1], 0
	v_mov_b64_e32 v[20:21], 0
	;; [unrolled: 1-line block ×8, first 2 shown]
	s_and_saveexec_b32 s3, s2
	s_cbranch_execz .LBB142_11
; %bb.6:
	v_dual_mov_b32 v27, 0 :: v_dual_lshlrev_b32 v26, 5, v33
	v_mov_b64_e32 v[0:1], 0
	v_mov_b64_e32 v[20:21], 0
	;; [unrolled: 1-line block ×8, first 2 shown]
	v_dual_mov_b32 v35, v33 :: v_dual_bitop2_b32 v34, 4, v26 bitop3:0x54
	s_add_nc_u64 s[4:5], s[10:11], 16
	s_mov_b32 s13, 0
.LBB142_7:                              ; =>This Loop Header: Depth=1
                                        ;     Child Loop BB142_8 Depth 2
	global_load_b32 v28, v35, s[6:7] scale_offset
	v_mov_b32_e32 v36, v34
	s_mov_b64 s[14:15], 0
	s_wait_loadcnt 0x0
	v_subrev_nc_u32_e32 v28, s12, v28
	s_delay_alu instid0(VALU_DEP_1) | instskip(SKIP_1) | instid1(VALU_DEP_2)
	v_dual_mov_b32 v31, v27 :: v_dual_lshlrev_b32 v30, 3, v28
	v_lshl_add_u64 v[28:29], v[26:27], 4, s[8:9]
	v_lshl_add_u64 v[30:31], v[30:31], 4, s[4:5]
.LBB142_8:                              ;   Parent Loop BB142_7 Depth=1
                                        ; =>  This Inner Loop Header: Depth=2
	s_delay_alu instid0(VALU_DEP_2)
	v_add_nc_u64_e32 v[78:79], s[14:15], v[28:29]
	s_add_nc_u64 s[14:15], s[14:15], 0x80
	s_clause 0x1
	global_load_b128 v[38:41], v[30:31], off
	global_load_b128 v[42:45], v[30:31], off offset:-16
	s_clause 0x7
	global_load_b128 v[46:49], v[78:79], off
	global_load_b128 v[50:53], v[78:79], off offset:16
	global_load_b128 v[54:57], v[78:79], off offset:32
	;; [unrolled: 1-line block ×3, first 2 shown]
	global_load_b128 v[62:65], v36, s[8:9] scale_offset
	global_load_b128 v[66:69], v36, s[8:9] offset:16 scale_offset
	global_load_b128 v[70:73], v36, s[8:9] offset:32 scale_offset
	;; [unrolled: 1-line block ×3, first 2 shown]
	s_wait_xcnt 0x8
	v_add_nc_u64_e32 v[30:31], 32, v[30:31]
	s_wait_xcnt 0x0
	v_add_nc_u32_e32 v36, 8, v36
	s_cmp_eq_u32 s14, 0x200
	s_wait_loadcnt 0x7
	v_fmac_f64_e32 v[20:21], v[46:47], v[42:43]
	v_fmac_f64_e32 v[0:1], v[48:49], v[42:43]
	s_wait_loadcnt 0x6
	v_fmac_f64_e32 v[24:25], v[50:51], v[42:43]
	v_fmac_f64_e32 v[16:17], v[52:53], v[42:43]
	s_wait_loadcnt 0x5
	v_fmac_f64_e32 v[22:23], v[54:55], v[42:43]
	v_fmac_f64_e32 v[14:15], v[56:57], v[42:43]
	s_wait_loadcnt 0x4
	v_fmac_f64_e32 v[18:19], v[58:59], v[42:43]
	v_fmac_f64_e32 v[12:13], v[60:61], v[42:43]
	v_fma_f64 v[20:21], -v[48:49], v[44:45], v[20:21]
	v_fmac_f64_e32 v[0:1], v[46:47], v[44:45]
	v_fma_f64 v[24:25], -v[52:53], v[44:45], v[24:25]
	v_fmac_f64_e32 v[16:17], v[50:51], v[44:45]
	;; [unrolled: 2-line block ×4, first 2 shown]
	s_wait_loadcnt 0x3
	v_fmac_f64_e32 v[20:21], v[62:63], v[38:39]
	v_fmac_f64_e32 v[0:1], v[64:65], v[38:39]
	s_wait_loadcnt 0x2
	v_fmac_f64_e32 v[24:25], v[66:67], v[38:39]
	v_fmac_f64_e32 v[16:17], v[68:69], v[38:39]
	;; [unrolled: 3-line block ×4, first 2 shown]
	v_fma_f64 v[20:21], -v[64:65], v[40:41], v[20:21]
	v_fmac_f64_e32 v[0:1], v[62:63], v[40:41]
	v_fma_f64 v[24:25], -v[68:69], v[40:41], v[24:25]
	v_fmac_f64_e32 v[16:17], v[66:67], v[40:41]
	;; [unrolled: 2-line block ×4, first 2 shown]
	s_cbranch_scc0 .LBB142_8
; %bb.9:                                ;   in Loop: Header=BB142_7 Depth=1
	v_add_nc_u32_e32 v35, 8, v35
	v_add_nc_u32_e32 v34, 0x100, v34
	;; [unrolled: 1-line block ×3, first 2 shown]
	s_delay_alu instid0(VALU_DEP_3) | instskip(SKIP_1) | instid1(SALU_CYCLE_1)
	v_cmp_ge_i32_e32 vcc_lo, v35, v32
	s_or_b32 s13, vcc_lo, s13
	s_and_not1_b32 exec_lo, exec_lo, s13
	s_cbranch_execnz .LBB142_7
; %bb.10:
	s_or_b32 exec_lo, exec_lo, s13
.LBB142_11:
	s_delay_alu instid0(SALU_CYCLE_1)
	s_or_b32 exec_lo, exec_lo, s3
	s_cbranch_execz .LBB142_13
	s_branch .LBB142_20
.LBB142_12:
                                        ; implicit-def: $vgpr0_vgpr1
                                        ; implicit-def: $vgpr20_vgpr21
                                        ; implicit-def: $vgpr18_vgpr19
                                        ; implicit-def: $vgpr12_vgpr13
                                        ; implicit-def: $vgpr22_vgpr23
                                        ; implicit-def: $vgpr14_vgpr15
                                        ; implicit-def: $vgpr24_vgpr25
                                        ; implicit-def: $vgpr16_vgpr17
.LBB142_13:
	v_mov_b64_e32 v[0:1], 0
	v_mov_b64_e32 v[20:21], 0
	;; [unrolled: 1-line block ×8, first 2 shown]
	s_and_saveexec_b32 s4, s2
	s_cbranch_execz .LBB142_19
; %bb.14:
	v_mov_b64_e32 v[0:1], 0
	v_mov_b64_e32 v[20:21], 0
	;; [unrolled: 1-line block ×8, first 2 shown]
	v_dual_mov_b32 v27, 0 :: v_dual_lshlrev_b32 v26, 5, v33
	s_mov_b32 s5, 0
.LBB142_15:                             ; =>This Loop Header: Depth=1
                                        ;     Child Loop BB142_16 Depth 2
	global_load_b32 v28, v33, s[6:7] scale_offset
	s_mov_b64 s[2:3], 0
	v_mov_b32_e32 v31, v27
	s_wait_loadcnt 0x0
	v_subrev_nc_u32_e32 v28, s12, v28
	s_delay_alu instid0(VALU_DEP_1) | instskip(SKIP_1) | instid1(VALU_DEP_2)
	v_lshlrev_b32_e32 v30, 3, v28
	v_lshl_add_u64 v[28:29], v[26:27], 4, s[8:9]
	v_lshl_add_u64 v[30:31], v[30:31], 4, s[10:11]
.LBB142_16:                             ;   Parent Loop BB142_15 Depth=1
                                        ; =>  This Inner Loop Header: Depth=2
	s_delay_alu instid0(VALU_DEP_2) | instskip(NEXT) | instid1(VALU_DEP_2)
	v_add_nc_u64_e32 v[74:75], s[2:3], v[28:29]
	v_add_nc_u64_e32 v[76:77], s[2:3], v[30:31]
	s_add_nc_u64 s[2:3], s[2:3], 32
	global_load_b128 v[34:37], v[74:75], off
	global_load_b128 v[38:41], v[76:77], off
	s_clause 0x3
	global_load_b128 v[42:45], v[74:75], off offset:128
	global_load_b128 v[46:49], v[74:75], off offset:256
	;; [unrolled: 1-line block ×5, first 2 shown]
	s_clause 0x2
	global_load_b128 v[62:65], v[74:75], off offset:144
	global_load_b128 v[66:69], v[74:75], off offset:272
	;; [unrolled: 1-line block ×3, first 2 shown]
	s_cmp_eq_u32 s2, 0x80
	s_wait_loadcnt 0x8
	v_fmac_f64_e32 v[20:21], v[34:35], v[38:39]
	v_fmac_f64_e32 v[0:1], v[36:37], v[38:39]
	s_wait_loadcnt 0x7
	v_fmac_f64_e32 v[24:25], v[42:43], v[38:39]
	v_fmac_f64_e32 v[16:17], v[44:45], v[38:39]
	;; [unrolled: 3-line block ×4, first 2 shown]
	v_fma_f64 v[20:21], -v[36:37], v[40:41], v[20:21]
	v_fmac_f64_e32 v[0:1], v[34:35], v[40:41]
	v_fma_f64 v[24:25], -v[44:45], v[40:41], v[24:25]
	v_fmac_f64_e32 v[16:17], v[42:43], v[40:41]
	;; [unrolled: 2-line block ×4, first 2 shown]
	s_wait_loadcnt 0x3
	v_fmac_f64_e32 v[20:21], v[54:55], v[58:59]
	v_fmac_f64_e32 v[0:1], v[56:57], v[58:59]
	s_wait_loadcnt 0x2
	v_fmac_f64_e32 v[24:25], v[62:63], v[58:59]
	v_fmac_f64_e32 v[16:17], v[64:65], v[58:59]
	;; [unrolled: 3-line block ×4, first 2 shown]
	v_fma_f64 v[20:21], -v[56:57], v[60:61], v[20:21]
	v_fmac_f64_e32 v[0:1], v[54:55], v[60:61]
	v_fma_f64 v[24:25], -v[64:65], v[60:61], v[24:25]
	v_fmac_f64_e32 v[16:17], v[62:63], v[60:61]
	;; [unrolled: 2-line block ×4, first 2 shown]
	s_cbranch_scc0 .LBB142_16
; %bb.17:                               ;   in Loop: Header=BB142_15 Depth=1
	v_add_nc_u32_e32 v33, 8, v33
	v_add_nc_u32_e32 v26, 0x100, v26
	s_delay_alu instid0(VALU_DEP_2) | instskip(SKIP_1) | instid1(SALU_CYCLE_1)
	v_cmp_ge_i32_e32 vcc_lo, v33, v32
	s_or_b32 s5, vcc_lo, s5
	s_and_not1_b32 exec_lo, exec_lo, s5
	s_cbranch_execnz .LBB142_15
; %bb.18:
	s_or_b32 exec_lo, exec_lo, s5
.LBB142_19:
	s_delay_alu instid0(SALU_CYCLE_1)
	s_or_b32 exec_lo, exec_lo, s4
.LBB142_20:
	v_mbcnt_lo_u32_b32 v44, -1, 0
	s_delay_alu instid0(VALU_DEP_1) | instskip(NEXT) | instid1(VALU_DEP_1)
	v_xor_b32_e32 v26, 4, v44
	v_cmp_gt_i32_e32 vcc_lo, 32, v26
	v_cndmask_b32_e32 v26, v44, v26, vcc_lo
	s_delay_alu instid0(VALU_DEP_1)
	v_lshlrev_b32_e32 v41, 2, v26
	ds_bpermute_b32 v26, v41, v20
	ds_bpermute_b32 v27, v41, v21
	;; [unrolled: 1-line block ×4, first 2 shown]
	s_wait_dscnt 0x2
	v_add_f64_e32 v[20:21], v[20:21], v[26:27]
	s_wait_dscnt 0x0
	v_add_f64_e32 v[26:27], v[0:1], v[28:29]
	ds_bpermute_b32 v30, v41, v24
	ds_bpermute_b32 v31, v41, v25
	;; [unrolled: 1-line block ×12, first 2 shown]
	v_xor_b32_e32 v0, 2, v44
	s_delay_alu instid0(VALU_DEP_1)
	v_cmp_gt_i32_e32 vcc_lo, 32, v0
	s_wait_dscnt 0xa
	v_add_f64_e32 v[28:29], v[24:25], v[30:31]
	v_cndmask_b32_e32 v0, v44, v0, vcc_lo
	s_wait_dscnt 0x8
	v_add_f64_e32 v[16:17], v[16:17], v[32:33]
	s_wait_dscnt 0x6
	v_add_f64_e32 v[30:31], v[22:23], v[34:35]
	;; [unrolled: 2-line block ×3, first 2 shown]
	s_wait_dscnt 0x2
	v_dual_add_f64 v[18:19], v[18:19], v[38:39] :: v_dual_lshlrev_b32 v24, 2, v0
	s_wait_dscnt 0x0
	v_add_f64_e32 v[34:35], v[12:13], v[40:41]
	ds_bpermute_b32 v12, v24, v26
	ds_bpermute_b32 v13, v24, v27
	;; [unrolled: 1-line block ×16, first 2 shown]
	s_wait_dscnt 0xe
	v_add_f64_e32 v[24:25], v[26:27], v[12:13]
	s_wait_dscnt 0xc
	v_add_f64_e32 v[0:1], v[20:21], v[0:1]
	v_xor_b32_e32 v26, 1, v44
	s_delay_alu instid0(VALU_DEP_1)
	v_cmp_gt_i32_e32 vcc_lo, 32, v26
	s_wait_dscnt 0xa
	v_add_f64_e32 v[12:13], v[28:29], v[14:15]
	s_wait_dscnt 0x6
	v_dual_add_f64 v[14:15], v[30:31], v[36:37] :: v_dual_cndmask_b32 v26, v44, v26, vcc_lo
	v_cmp_eq_u32_e32 vcc_lo, 7, v11
	s_wait_dscnt 0x4
	v_add_f64_e32 v[20:21], v[32:33], v[38:39]
	s_delay_alu instid0(VALU_DEP_3)
	v_lshlrev_b32_e32 v29, 2, v26
	v_add_f64_e32 v[22:23], v[16:17], v[22:23]
	s_wait_dscnt 0x2
	v_add_f64_e32 v[16:17], v[18:19], v[40:41]
	s_wait_dscnt 0x0
	v_add_f64_e32 v[18:19], v[34:35], v[42:43]
	ds_bpermute_b32 v38, v29, v24
	ds_bpermute_b32 v40, v29, v0
	;; [unrolled: 1-line block ×16, first 2 shown]
	s_and_b32 exec_lo, exec_lo, vcc_lo
	s_cbranch_execz .LBB142_25
; %bb.21:
	v_cmp_eq_f64_e32 vcc_lo, 0, v[6:7]
	v_cmp_eq_f64_e64 s2, 0, v[8:9]
	s_wait_dscnt 0xd
	v_add_f64_e32 v[0:1], v[0:1], v[40:41]
	s_wait_dscnt 0xc
	v_add_f64_e32 v[24:25], v[24:25], v[38:39]
	;; [unrolled: 2-line block ×4, first 2 shown]
	v_add_f64_e32 v[14:15], v[14:15], v[32:33]
	v_add_f64_e32 v[20:21], v[20:21], v[30:31]
	s_wait_dscnt 0x2
	v_add_f64_e32 v[16:17], v[16:17], v[26:27]
	s_wait_dscnt 0x0
	v_add_f64_e32 v[18:19], v[18:19], v[28:29]
	s_load_b64 s[0:1], s[0:1], 0x48
	s_and_b32 s2, vcc_lo, s2
	s_delay_alu instid0(SALU_CYCLE_1) | instskip(NEXT) | instid1(SALU_CYCLE_1)
	s_and_saveexec_b32 s3, s2
	s_xor_b32 s2, exec_lo, s3
	s_cbranch_execz .LBB142_23
; %bb.22:
	v_mul_f64_e64 v[6:7], v[24:25], -v[4:5]
	v_mul_f64_e32 v[8:9], v[2:3], v[24:25]
	v_mul_f64_e64 v[24:25], v[22:23], -v[4:5]
	v_mul_f64_e32 v[26:27], v[2:3], v[22:23]
	;; [unrolled: 2-line block ×4, first 2 shown]
                                        ; implicit-def: $vgpr18_vgpr19
	v_fmac_f64_e32 v[6:7], v[2:3], v[0:1]
	v_fmac_f64_e32 v[8:9], v[4:5], v[0:1]
	;; [unrolled: 1-line block ×8, first 2 shown]
	v_lshlrev_b32_e32 v0, 2, v10
                                        ; implicit-def: $vgpr10
                                        ; implicit-def: $vgpr12_vgpr13
                                        ; implicit-def: $vgpr14_vgpr15
                                        ; implicit-def: $vgpr16_vgpr17
                                        ; implicit-def: $vgpr4_vgpr5
	s_wait_kmcnt 0x0
	s_clause 0x3
	global_store_b128 v0, v[6:9], s[0:1] scale_offset
	global_store_b128 v0, v[24:27], s[0:1] offset:16 scale_offset
	global_store_b128 v0, v[28:31], s[0:1] offset:32 scale_offset
	;; [unrolled: 1-line block ×3, first 2 shown]
                                        ; implicit-def: $vgpr0_vgpr1
                                        ; implicit-def: $vgpr24_vgpr25
                                        ; implicit-def: $vgpr22_vgpr23
                                        ; implicit-def: $vgpr20_vgpr21
                                        ; implicit-def: $vgpr8_vgpr9
.LBB142_23:
	s_wait_xcnt 0x0
	s_and_not1_saveexec_b32 s2, s2
	s_cbranch_execz .LBB142_25
; %bb.24:
	v_dual_mul_f64 v[42:43], v[24:25], -v[4:5] :: v_dual_lshlrev_b32 v52, 2, v10
	v_mul_f64_e32 v[24:25], v[2:3], v[24:25]
	v_mul_f64_e64 v[46:47], v[22:23], -v[4:5]
	v_mul_f64_e32 v[44:45], v[2:3], v[22:23]
	s_wait_kmcnt 0x0
	s_clause 0x3
	global_load_b128 v[26:29], v52, s[0:1] scale_offset
	global_load_b128 v[30:33], v52, s[0:1] offset:16 scale_offset
	global_load_b128 v[34:37], v52, s[0:1] offset:32 scale_offset
	global_load_b128 v[38:41], v52, s[0:1] offset:48 scale_offset
	v_mul_f64_e64 v[48:49], v[20:21], -v[4:5]
	v_mul_f64_e32 v[20:21], v[2:3], v[20:21]
	v_mul_f64_e64 v[50:51], v[18:19], -v[4:5]
	v_mul_f64_e32 v[10:11], v[2:3], v[18:19]
	v_fmac_f64_e32 v[42:43], v[2:3], v[0:1]
	v_fmac_f64_e32 v[24:25], v[4:5], v[0:1]
	;; [unrolled: 1-line block ×8, first 2 shown]
	s_wait_loadcnt 0x3
	v_fmac_f64_e32 v[42:43], v[6:7], v[26:27]
	v_fmac_f64_e32 v[24:25], v[8:9], v[26:27]
	s_wait_loadcnt 0x2
	v_fmac_f64_e32 v[46:47], v[6:7], v[30:31]
	v_fmac_f64_e32 v[44:45], v[8:9], v[30:31]
	;; [unrolled: 3-line block ×4, first 2 shown]
	v_fma_f64 v[22:23], -v[8:9], v[28:29], v[42:43]
	v_fmac_f64_e32 v[24:25], v[6:7], v[28:29]
	v_fma_f64 v[42:43], -v[8:9], v[32:33], v[46:47]
	v_fmac_f64_e32 v[44:45], v[6:7], v[32:33]
	;; [unrolled: 2-line block ×4, first 2 shown]
	s_clause 0x3
	global_store_b128 v52, v[22:25], s[0:1] scale_offset
	global_store_b128 v52, v[42:45], s[0:1] offset:16 scale_offset
	global_store_b128 v52, v[18:21], s[0:1] offset:32 scale_offset
	;; [unrolled: 1-line block ×3, first 2 shown]
.LBB142_25:
	s_sendmsg sendmsg(MSG_DEALLOC_VGPRS)
	s_endpgm
	.section	.rodata,"a",@progbits
	.p2align	6, 0x0
	.amdhsa_kernel _ZN9rocsparseL19gebsrmvn_4xn_kernelILj128ELj8ELj8E21rocsparse_complex_numIdEEEvi20rocsparse_direction_NS_24const_host_device_scalarIT2_EEPKiS8_PKS5_SA_S6_PS5_21rocsparse_index_base_b
		.amdhsa_group_segment_fixed_size 0
		.amdhsa_private_segment_fixed_size 0
		.amdhsa_kernarg_size 88
		.amdhsa_user_sgpr_count 2
		.amdhsa_user_sgpr_dispatch_ptr 0
		.amdhsa_user_sgpr_queue_ptr 0
		.amdhsa_user_sgpr_kernarg_segment_ptr 1
		.amdhsa_user_sgpr_dispatch_id 0
		.amdhsa_user_sgpr_kernarg_preload_length 0
		.amdhsa_user_sgpr_kernarg_preload_offset 0
		.amdhsa_user_sgpr_private_segment_size 0
		.amdhsa_wavefront_size32 1
		.amdhsa_uses_dynamic_stack 0
		.amdhsa_enable_private_segment 0
		.amdhsa_system_sgpr_workgroup_id_x 1
		.amdhsa_system_sgpr_workgroup_id_y 0
		.amdhsa_system_sgpr_workgroup_id_z 0
		.amdhsa_system_sgpr_workgroup_info 0
		.amdhsa_system_vgpr_workitem_id 0
		.amdhsa_next_free_vgpr 80
		.amdhsa_next_free_sgpr 16
		.amdhsa_named_barrier_count 0
		.amdhsa_reserve_vcc 1
		.amdhsa_float_round_mode_32 0
		.amdhsa_float_round_mode_16_64 0
		.amdhsa_float_denorm_mode_32 3
		.amdhsa_float_denorm_mode_16_64 3
		.amdhsa_fp16_overflow 0
		.amdhsa_memory_ordered 1
		.amdhsa_forward_progress 1
		.amdhsa_inst_pref_size 21
		.amdhsa_round_robin_scheduling 0
		.amdhsa_exception_fp_ieee_invalid_op 0
		.amdhsa_exception_fp_denorm_src 0
		.amdhsa_exception_fp_ieee_div_zero 0
		.amdhsa_exception_fp_ieee_overflow 0
		.amdhsa_exception_fp_ieee_underflow 0
		.amdhsa_exception_fp_ieee_inexact 0
		.amdhsa_exception_int_div_zero 0
	.end_amdhsa_kernel
	.section	.text._ZN9rocsparseL19gebsrmvn_4xn_kernelILj128ELj8ELj8E21rocsparse_complex_numIdEEEvi20rocsparse_direction_NS_24const_host_device_scalarIT2_EEPKiS8_PKS5_SA_S6_PS5_21rocsparse_index_base_b,"axG",@progbits,_ZN9rocsparseL19gebsrmvn_4xn_kernelILj128ELj8ELj8E21rocsparse_complex_numIdEEEvi20rocsparse_direction_NS_24const_host_device_scalarIT2_EEPKiS8_PKS5_SA_S6_PS5_21rocsparse_index_base_b,comdat
.Lfunc_end142:
	.size	_ZN9rocsparseL19gebsrmvn_4xn_kernelILj128ELj8ELj8E21rocsparse_complex_numIdEEEvi20rocsparse_direction_NS_24const_host_device_scalarIT2_EEPKiS8_PKS5_SA_S6_PS5_21rocsparse_index_base_b, .Lfunc_end142-_ZN9rocsparseL19gebsrmvn_4xn_kernelILj128ELj8ELj8E21rocsparse_complex_numIdEEEvi20rocsparse_direction_NS_24const_host_device_scalarIT2_EEPKiS8_PKS5_SA_S6_PS5_21rocsparse_index_base_b
                                        ; -- End function
	.set _ZN9rocsparseL19gebsrmvn_4xn_kernelILj128ELj8ELj8E21rocsparse_complex_numIdEEEvi20rocsparse_direction_NS_24const_host_device_scalarIT2_EEPKiS8_PKS5_SA_S6_PS5_21rocsparse_index_base_b.num_vgpr, 80
	.set _ZN9rocsparseL19gebsrmvn_4xn_kernelILj128ELj8ELj8E21rocsparse_complex_numIdEEEvi20rocsparse_direction_NS_24const_host_device_scalarIT2_EEPKiS8_PKS5_SA_S6_PS5_21rocsparse_index_base_b.num_agpr, 0
	.set _ZN9rocsparseL19gebsrmvn_4xn_kernelILj128ELj8ELj8E21rocsparse_complex_numIdEEEvi20rocsparse_direction_NS_24const_host_device_scalarIT2_EEPKiS8_PKS5_SA_S6_PS5_21rocsparse_index_base_b.numbered_sgpr, 16
	.set _ZN9rocsparseL19gebsrmvn_4xn_kernelILj128ELj8ELj8E21rocsparse_complex_numIdEEEvi20rocsparse_direction_NS_24const_host_device_scalarIT2_EEPKiS8_PKS5_SA_S6_PS5_21rocsparse_index_base_b.num_named_barrier, 0
	.set _ZN9rocsparseL19gebsrmvn_4xn_kernelILj128ELj8ELj8E21rocsparse_complex_numIdEEEvi20rocsparse_direction_NS_24const_host_device_scalarIT2_EEPKiS8_PKS5_SA_S6_PS5_21rocsparse_index_base_b.private_seg_size, 0
	.set _ZN9rocsparseL19gebsrmvn_4xn_kernelILj128ELj8ELj8E21rocsparse_complex_numIdEEEvi20rocsparse_direction_NS_24const_host_device_scalarIT2_EEPKiS8_PKS5_SA_S6_PS5_21rocsparse_index_base_b.uses_vcc, 1
	.set _ZN9rocsparseL19gebsrmvn_4xn_kernelILj128ELj8ELj8E21rocsparse_complex_numIdEEEvi20rocsparse_direction_NS_24const_host_device_scalarIT2_EEPKiS8_PKS5_SA_S6_PS5_21rocsparse_index_base_b.uses_flat_scratch, 0
	.set _ZN9rocsparseL19gebsrmvn_4xn_kernelILj128ELj8ELj8E21rocsparse_complex_numIdEEEvi20rocsparse_direction_NS_24const_host_device_scalarIT2_EEPKiS8_PKS5_SA_S6_PS5_21rocsparse_index_base_b.has_dyn_sized_stack, 0
	.set _ZN9rocsparseL19gebsrmvn_4xn_kernelILj128ELj8ELj8E21rocsparse_complex_numIdEEEvi20rocsparse_direction_NS_24const_host_device_scalarIT2_EEPKiS8_PKS5_SA_S6_PS5_21rocsparse_index_base_b.has_recursion, 0
	.set _ZN9rocsparseL19gebsrmvn_4xn_kernelILj128ELj8ELj8E21rocsparse_complex_numIdEEEvi20rocsparse_direction_NS_24const_host_device_scalarIT2_EEPKiS8_PKS5_SA_S6_PS5_21rocsparse_index_base_b.has_indirect_call, 0
	.section	.AMDGPU.csdata,"",@progbits
; Kernel info:
; codeLenInByte = 2588
; TotalNumSgprs: 18
; NumVgprs: 80
; ScratchSize: 0
; MemoryBound: 0
; FloatMode: 240
; IeeeMode: 1
; LDSByteSize: 0 bytes/workgroup (compile time only)
; SGPRBlocks: 0
; VGPRBlocks: 4
; NumSGPRsForWavesPerEU: 18
; NumVGPRsForWavesPerEU: 80
; NamedBarCnt: 0
; Occupancy: 12
; WaveLimiterHint : 1
; COMPUTE_PGM_RSRC2:SCRATCH_EN: 0
; COMPUTE_PGM_RSRC2:USER_SGPR: 2
; COMPUTE_PGM_RSRC2:TRAP_HANDLER: 0
; COMPUTE_PGM_RSRC2:TGID_X_EN: 1
; COMPUTE_PGM_RSRC2:TGID_Y_EN: 0
; COMPUTE_PGM_RSRC2:TGID_Z_EN: 0
; COMPUTE_PGM_RSRC2:TIDIG_COMP_CNT: 0
	.section	.text._ZN9rocsparseL19gebsrmvn_4xn_kernelILj128ELj8ELj16E21rocsparse_complex_numIdEEEvi20rocsparse_direction_NS_24const_host_device_scalarIT2_EEPKiS8_PKS5_SA_S6_PS5_21rocsparse_index_base_b,"axG",@progbits,_ZN9rocsparseL19gebsrmvn_4xn_kernelILj128ELj8ELj16E21rocsparse_complex_numIdEEEvi20rocsparse_direction_NS_24const_host_device_scalarIT2_EEPKiS8_PKS5_SA_S6_PS5_21rocsparse_index_base_b,comdat
	.globl	_ZN9rocsparseL19gebsrmvn_4xn_kernelILj128ELj8ELj16E21rocsparse_complex_numIdEEEvi20rocsparse_direction_NS_24const_host_device_scalarIT2_EEPKiS8_PKS5_SA_S6_PS5_21rocsparse_index_base_b ; -- Begin function _ZN9rocsparseL19gebsrmvn_4xn_kernelILj128ELj8ELj16E21rocsparse_complex_numIdEEEvi20rocsparse_direction_NS_24const_host_device_scalarIT2_EEPKiS8_PKS5_SA_S6_PS5_21rocsparse_index_base_b
	.p2align	8
	.type	_ZN9rocsparseL19gebsrmvn_4xn_kernelILj128ELj8ELj16E21rocsparse_complex_numIdEEEvi20rocsparse_direction_NS_24const_host_device_scalarIT2_EEPKiS8_PKS5_SA_S6_PS5_21rocsparse_index_base_b,@function
_ZN9rocsparseL19gebsrmvn_4xn_kernelILj128ELj8ELj16E21rocsparse_complex_numIdEEEvi20rocsparse_direction_NS_24const_host_device_scalarIT2_EEPKiS8_PKS5_SA_S6_PS5_21rocsparse_index_base_b: ; @_ZN9rocsparseL19gebsrmvn_4xn_kernelILj128ELj8ELj16E21rocsparse_complex_numIdEEEvi20rocsparse_direction_NS_24const_host_device_scalarIT2_EEPKiS8_PKS5_SA_S6_PS5_21rocsparse_index_base_b
; %bb.0:
	s_clause 0x1
	s_load_b64 s[12:13], s[0:1], 0x50
	s_load_b64 s[2:3], s[0:1], 0x8
	v_mov_b32_e32 v1, 0
	s_add_nc_u64 s[4:5], s[0:1], 8
	s_load_b64 s[6:7], s[0:1], 0x38
	s_wait_kmcnt 0x0
	s_bitcmp1_b32 s13, 0
	s_cselect_b32 s3, s5, s3
	s_cselect_b32 s2, s4, s2
	flat_load_b128 v[2:5], v1, s[2:3]
	s_wait_xcnt 0x0
	s_add_nc_u64 s[2:3], s[0:1], 56
	s_delay_alu instid0(SALU_CYCLE_1)
	s_cselect_b32 s3, s3, s7
	s_cselect_b32 s2, s2, s6
	flat_load_b128 v[6:9], v1, s[2:3]
	s_wait_loadcnt_dscnt 0x101
	v_cmp_eq_f64_e32 vcc_lo, 0, v[2:3]
	s_wait_xcnt 0x0
	v_cmp_eq_f64_e64 s2, 0, v[4:5]
	s_and_b32 s4, vcc_lo, s2
	s_mov_b32 s2, -1
	s_and_saveexec_b32 s3, s4
	s_cbranch_execz .LBB143_2
; %bb.1:
	s_wait_loadcnt_dscnt 0x0
	v_cmp_neq_f64_e32 vcc_lo, 1.0, v[6:7]
	v_cmp_neq_f64_e64 s2, 0, v[8:9]
	s_or_b32 s2, vcc_lo, s2
	s_delay_alu instid0(SALU_CYCLE_1)
	s_or_not1_b32 s2, s2, exec_lo
.LBB143_2:
	s_or_b32 exec_lo, exec_lo, s3
	s_and_saveexec_b32 s3, s2
	s_cbranch_execz .LBB143_25
; %bb.3:
	s_load_b64 s[2:3], s[0:1], 0x0
	s_bfe_u32 s4, ttmp6, 0x4000c
	s_and_b32 s5, ttmp6, 15
	s_add_co_i32 s4, s4, 1
	s_getreg_b32 s6, hwreg(HW_REG_IB_STS2, 6, 4)
	s_mul_i32 s4, ttmp9, s4
	v_lshrrev_b32_e32 v1, 4, v0
	s_add_co_i32 s5, s5, s4
	s_cmp_eq_u32 s6, 0
	s_cselect_b32 s4, ttmp9, s5
	s_delay_alu instid0(VALU_DEP_1) | instid1(SALU_CYCLE_1)
	v_lshl_or_b32 v10, s4, 3, v1
	s_wait_kmcnt 0x0
	s_delay_alu instid0(VALU_DEP_1)
	v_cmp_gt_i32_e32 vcc_lo, s2, v10
	s_and_b32 exec_lo, exec_lo, vcc_lo
	s_cbranch_execz .LBB143_25
; %bb.4:
	s_load_b256 s[4:11], s[0:1], 0x18
	v_ashrrev_i32_e32 v11, 31, v10
	s_cmp_lg_u32 s3, 0
	s_wait_kmcnt 0x0
	s_delay_alu instid0(VALU_DEP_1)
	v_lshl_add_u64 v[12:13], v[10:11], 2, s[4:5]
	v_and_b32_e32 v11, 15, v0
	global_load_b64 v[12:13], v[12:13], off
	s_wait_loadcnt 0x0
	v_subrev_nc_u32_e32 v0, s12, v12
	v_subrev_nc_u32_e32 v32, s12, v13
	s_delay_alu instid0(VALU_DEP_2) | instskip(NEXT) | instid1(VALU_DEP_1)
	v_add_nc_u32_e32 v33, v0, v11
	v_cmp_lt_i32_e64 s2, v33, v32
	s_cbranch_scc0 .LBB143_12
; %bb.5:
	v_mov_b64_e32 v[0:1], 0
	v_mov_b64_e32 v[20:21], 0
	;; [unrolled: 1-line block ×8, first 2 shown]
	s_and_saveexec_b32 s3, s2
	s_cbranch_execz .LBB143_11
; %bb.6:
	v_dual_mov_b32 v27, 0 :: v_dual_lshlrev_b32 v26, 5, v33
	v_mov_b64_e32 v[0:1], 0
	v_mov_b64_e32 v[20:21], 0
	;; [unrolled: 1-line block ×8, first 2 shown]
	v_dual_mov_b32 v35, v33 :: v_dual_bitop2_b32 v34, 4, v26 bitop3:0x54
	s_add_nc_u64 s[4:5], s[10:11], 16
	s_mov_b32 s13, 0
.LBB143_7:                              ; =>This Loop Header: Depth=1
                                        ;     Child Loop BB143_8 Depth 2
	global_load_b32 v28, v35, s[6:7] scale_offset
	v_mov_b32_e32 v36, v34
	s_mov_b64 s[14:15], 0
	s_wait_loadcnt 0x0
	v_subrev_nc_u32_e32 v28, s12, v28
	s_delay_alu instid0(VALU_DEP_1) | instskip(SKIP_1) | instid1(VALU_DEP_2)
	v_dual_mov_b32 v31, v27 :: v_dual_lshlrev_b32 v30, 3, v28
	v_lshl_add_u64 v[28:29], v[26:27], 4, s[8:9]
	v_lshl_add_u64 v[30:31], v[30:31], 4, s[4:5]
.LBB143_8:                              ;   Parent Loop BB143_7 Depth=1
                                        ; =>  This Inner Loop Header: Depth=2
	s_delay_alu instid0(VALU_DEP_2)
	v_add_nc_u64_e32 v[78:79], s[14:15], v[28:29]
	s_add_nc_u64 s[14:15], s[14:15], 0x80
	s_clause 0x1
	global_load_b128 v[38:41], v[30:31], off
	global_load_b128 v[42:45], v[30:31], off offset:-16
	s_clause 0x7
	global_load_b128 v[46:49], v[78:79], off
	global_load_b128 v[50:53], v[78:79], off offset:16
	global_load_b128 v[54:57], v[78:79], off offset:32
	;; [unrolled: 1-line block ×3, first 2 shown]
	global_load_b128 v[62:65], v36, s[8:9] scale_offset
	global_load_b128 v[66:69], v36, s[8:9] offset:16 scale_offset
	global_load_b128 v[70:73], v36, s[8:9] offset:32 scale_offset
	;; [unrolled: 1-line block ×3, first 2 shown]
	s_wait_xcnt 0x8
	v_add_nc_u64_e32 v[30:31], 32, v[30:31]
	s_wait_xcnt 0x0
	v_add_nc_u32_e32 v36, 8, v36
	s_cmp_eq_u32 s14, 0x200
	s_wait_loadcnt 0x7
	v_fmac_f64_e32 v[20:21], v[46:47], v[42:43]
	v_fmac_f64_e32 v[0:1], v[48:49], v[42:43]
	s_wait_loadcnt 0x6
	v_fmac_f64_e32 v[24:25], v[50:51], v[42:43]
	v_fmac_f64_e32 v[16:17], v[52:53], v[42:43]
	;; [unrolled: 3-line block ×4, first 2 shown]
	v_fma_f64 v[20:21], -v[48:49], v[44:45], v[20:21]
	v_fmac_f64_e32 v[0:1], v[46:47], v[44:45]
	v_fma_f64 v[24:25], -v[52:53], v[44:45], v[24:25]
	v_fmac_f64_e32 v[16:17], v[50:51], v[44:45]
	v_fma_f64 v[22:23], -v[56:57], v[44:45], v[22:23]
	v_fmac_f64_e32 v[14:15], v[54:55], v[44:45]
	v_fma_f64 v[18:19], -v[60:61], v[44:45], v[18:19]
	v_fmac_f64_e32 v[12:13], v[58:59], v[44:45]
	s_wait_loadcnt 0x3
	v_fmac_f64_e32 v[20:21], v[62:63], v[38:39]
	v_fmac_f64_e32 v[0:1], v[64:65], v[38:39]
	s_wait_loadcnt 0x2
	v_fmac_f64_e32 v[24:25], v[66:67], v[38:39]
	v_fmac_f64_e32 v[16:17], v[68:69], v[38:39]
	;; [unrolled: 3-line block ×4, first 2 shown]
	v_fma_f64 v[20:21], -v[64:65], v[40:41], v[20:21]
	v_fmac_f64_e32 v[0:1], v[62:63], v[40:41]
	v_fma_f64 v[24:25], -v[68:69], v[40:41], v[24:25]
	v_fmac_f64_e32 v[16:17], v[66:67], v[40:41]
	;; [unrolled: 2-line block ×4, first 2 shown]
	s_cbranch_scc0 .LBB143_8
; %bb.9:                                ;   in Loop: Header=BB143_7 Depth=1
	v_add_nc_u32_e32 v35, 16, v35
	v_add_nc_u32_e32 v34, 0x200, v34
	;; [unrolled: 1-line block ×3, first 2 shown]
	s_delay_alu instid0(VALU_DEP_3) | instskip(SKIP_1) | instid1(SALU_CYCLE_1)
	v_cmp_ge_i32_e32 vcc_lo, v35, v32
	s_or_b32 s13, vcc_lo, s13
	s_and_not1_b32 exec_lo, exec_lo, s13
	s_cbranch_execnz .LBB143_7
; %bb.10:
	s_or_b32 exec_lo, exec_lo, s13
.LBB143_11:
	s_delay_alu instid0(SALU_CYCLE_1)
	s_or_b32 exec_lo, exec_lo, s3
	s_cbranch_execz .LBB143_13
	s_branch .LBB143_20
.LBB143_12:
                                        ; implicit-def: $vgpr0_vgpr1
                                        ; implicit-def: $vgpr20_vgpr21
                                        ; implicit-def: $vgpr18_vgpr19
                                        ; implicit-def: $vgpr12_vgpr13
                                        ; implicit-def: $vgpr22_vgpr23
                                        ; implicit-def: $vgpr14_vgpr15
                                        ; implicit-def: $vgpr24_vgpr25
                                        ; implicit-def: $vgpr16_vgpr17
.LBB143_13:
	v_mov_b64_e32 v[0:1], 0
	v_mov_b64_e32 v[20:21], 0
	;; [unrolled: 1-line block ×8, first 2 shown]
	s_and_saveexec_b32 s4, s2
	s_cbranch_execz .LBB143_19
; %bb.14:
	v_mov_b64_e32 v[0:1], 0
	v_mov_b64_e32 v[20:21], 0
	;; [unrolled: 1-line block ×8, first 2 shown]
	v_dual_mov_b32 v27, 0 :: v_dual_lshlrev_b32 v26, 5, v33
	s_mov_b32 s5, 0
.LBB143_15:                             ; =>This Loop Header: Depth=1
                                        ;     Child Loop BB143_16 Depth 2
	global_load_b32 v28, v33, s[6:7] scale_offset
	s_mov_b64 s[2:3], 0
	v_mov_b32_e32 v31, v27
	s_wait_loadcnt 0x0
	v_subrev_nc_u32_e32 v28, s12, v28
	s_delay_alu instid0(VALU_DEP_1) | instskip(SKIP_1) | instid1(VALU_DEP_2)
	v_lshlrev_b32_e32 v30, 3, v28
	v_lshl_add_u64 v[28:29], v[26:27], 4, s[8:9]
	v_lshl_add_u64 v[30:31], v[30:31], 4, s[10:11]
.LBB143_16:                             ;   Parent Loop BB143_15 Depth=1
                                        ; =>  This Inner Loop Header: Depth=2
	s_delay_alu instid0(VALU_DEP_2) | instskip(NEXT) | instid1(VALU_DEP_2)
	v_add_nc_u64_e32 v[74:75], s[2:3], v[28:29]
	v_add_nc_u64_e32 v[76:77], s[2:3], v[30:31]
	s_add_nc_u64 s[2:3], s[2:3], 32
	global_load_b128 v[34:37], v[74:75], off
	global_load_b128 v[38:41], v[76:77], off
	s_clause 0x3
	global_load_b128 v[42:45], v[74:75], off offset:128
	global_load_b128 v[46:49], v[74:75], off offset:256
	;; [unrolled: 1-line block ×5, first 2 shown]
	s_clause 0x2
	global_load_b128 v[62:65], v[74:75], off offset:144
	global_load_b128 v[66:69], v[74:75], off offset:272
	global_load_b128 v[70:73], v[74:75], off offset:400
	s_cmp_eq_u32 s2, 0x80
	s_wait_loadcnt 0x8
	v_fmac_f64_e32 v[20:21], v[34:35], v[38:39]
	v_fmac_f64_e32 v[0:1], v[36:37], v[38:39]
	s_wait_loadcnt 0x7
	v_fmac_f64_e32 v[24:25], v[42:43], v[38:39]
	v_fmac_f64_e32 v[16:17], v[44:45], v[38:39]
	;; [unrolled: 3-line block ×4, first 2 shown]
	v_fma_f64 v[20:21], -v[36:37], v[40:41], v[20:21]
	v_fmac_f64_e32 v[0:1], v[34:35], v[40:41]
	v_fma_f64 v[24:25], -v[44:45], v[40:41], v[24:25]
	v_fmac_f64_e32 v[16:17], v[42:43], v[40:41]
	v_fma_f64 v[22:23], -v[48:49], v[40:41], v[22:23]
	v_fmac_f64_e32 v[14:15], v[46:47], v[40:41]
	v_fma_f64 v[18:19], -v[52:53], v[40:41], v[18:19]
	v_fmac_f64_e32 v[12:13], v[50:51], v[40:41]
	s_wait_loadcnt 0x3
	v_fmac_f64_e32 v[20:21], v[54:55], v[58:59]
	v_fmac_f64_e32 v[0:1], v[56:57], v[58:59]
	s_wait_loadcnt 0x2
	v_fmac_f64_e32 v[24:25], v[62:63], v[58:59]
	v_fmac_f64_e32 v[16:17], v[64:65], v[58:59]
	;; [unrolled: 3-line block ×4, first 2 shown]
	v_fma_f64 v[20:21], -v[56:57], v[60:61], v[20:21]
	v_fmac_f64_e32 v[0:1], v[54:55], v[60:61]
	v_fma_f64 v[24:25], -v[64:65], v[60:61], v[24:25]
	v_fmac_f64_e32 v[16:17], v[62:63], v[60:61]
	;; [unrolled: 2-line block ×4, first 2 shown]
	s_cbranch_scc0 .LBB143_16
; %bb.17:                               ;   in Loop: Header=BB143_15 Depth=1
	v_add_nc_u32_e32 v33, 16, v33
	v_add_nc_u32_e32 v26, 0x200, v26
	s_delay_alu instid0(VALU_DEP_2) | instskip(SKIP_1) | instid1(SALU_CYCLE_1)
	v_cmp_ge_i32_e32 vcc_lo, v33, v32
	s_or_b32 s5, vcc_lo, s5
	s_and_not1_b32 exec_lo, exec_lo, s5
	s_cbranch_execnz .LBB143_15
; %bb.18:
	s_or_b32 exec_lo, exec_lo, s5
.LBB143_19:
	s_delay_alu instid0(SALU_CYCLE_1)
	s_or_b32 exec_lo, exec_lo, s4
.LBB143_20:
	v_mbcnt_lo_u32_b32 v44, -1, 0
	s_delay_alu instid0(VALU_DEP_1) | instskip(NEXT) | instid1(VALU_DEP_1)
	v_xor_b32_e32 v26, 8, v44
	v_cmp_gt_i32_e32 vcc_lo, 32, v26
	v_cndmask_b32_e32 v26, v44, v26, vcc_lo
	s_delay_alu instid0(VALU_DEP_1)
	v_lshlrev_b32_e32 v41, 2, v26
	ds_bpermute_b32 v28, v41, v0
	ds_bpermute_b32 v29, v41, v1
	s_wait_dscnt 0x0
	v_add_f64_e32 v[0:1], v[0:1], v[28:29]
	ds_bpermute_b32 v26, v41, v20
	ds_bpermute_b32 v27, v41, v21
	;; [unrolled: 1-line block ×14, first 2 shown]
	s_wait_dscnt 0xc
	v_dual_add_f64 v[20:21], v[20:21], v[26:27] :: v_dual_bitop2_b32 v26, 4, v44 bitop3:0x14
	s_wait_dscnt 0xa
	v_add_f64_e32 v[14:15], v[14:15], v[36:37]
	s_wait_dscnt 0x8
	v_add_f64_e32 v[24:25], v[24:25], v[30:31]
	v_cmp_gt_i32_e32 vcc_lo, 32, v26
	s_wait_dscnt 0x4
	v_add_f64_e32 v[22:23], v[22:23], v[34:35]
	v_cndmask_b32_e32 v26, v44, v26, vcc_lo
	v_add_f64_e32 v[16:17], v[16:17], v[32:33]
	s_wait_dscnt 0x0
	s_delay_alu instid0(VALU_DEP_2)
	v_dual_add_f64 v[12:13], v[12:13], v[40:41] :: v_dual_lshlrev_b32 v41, 2, v26
	ds_bpermute_b32 v28, v41, v0
	ds_bpermute_b32 v29, v41, v1
	;; [unrolled: 1-line block ×11, first 2 shown]
	s_wait_dscnt 0x7
	v_add_f64_e32 v[20:21], v[20:21], v[26:27]
	v_add_f64_e32 v[26:27], v[0:1], v[28:29]
	v_xor_b32_e32 v0, 2, v44
	ds_bpermute_b32 v34, v41, v22
	ds_bpermute_b32 v35, v41, v23
	s_wait_dscnt 0x5
	v_add_f64_e32 v[28:29], v[24:25], v[30:31]
	v_cmp_gt_i32_e32 vcc_lo, 32, v0
	v_dual_add_f64 v[18:19], v[18:19], v[38:39] :: v_dual_cndmask_b32 v0, v44, v0, vcc_lo
	s_wait_dscnt 0x3
	v_add_f64_e32 v[16:17], v[16:17], v[32:33]
	v_add_f64_e32 v[32:33], v[14:15], v[36:37]
	s_wait_dscnt 0x0
	v_dual_add_f64 v[30:31], v[22:23], v[34:35] :: v_dual_lshlrev_b32 v24, 2, v0
	ds_bpermute_b32 v0, v24, v20
	ds_bpermute_b32 v1, v24, v21
	;; [unrolled: 1-line block ×9, first 2 shown]
	s_wait_dscnt 0x7
	v_add_f64_e32 v[0:1], v[20:21], v[0:1]
	ds_bpermute_b32 v36, v24, v30
	ds_bpermute_b32 v37, v24, v31
	s_wait_dscnt 0x5
	v_add_f64_e32 v[18:19], v[18:19], v[38:39]
	s_wait_dscnt 0x4
	v_add_f64_e32 v[34:35], v[12:13], v[40:41]
	ds_bpermute_b32 v12, v24, v26
	ds_bpermute_b32 v13, v24, v27
	;; [unrolled: 1-line block ×4, first 2 shown]
	s_wait_dscnt 0x6
	v_add_f64_e32 v[22:23], v[16:17], v[22:23]
	s_wait_dscnt 0x0
	v_add_f64_e32 v[20:21], v[32:33], v[38:39]
	ds_bpermute_b32 v40, v24, v18
	ds_bpermute_b32 v41, v24, v19
	;; [unrolled: 1-line block ×4, first 2 shown]
	v_add_f64_e32 v[24:25], v[26:27], v[12:13]
	v_dual_add_f64 v[12:13], v[28:29], v[14:15] :: v_dual_bitop2_b32 v26, 1, v44 bitop3:0x14
	v_add_f64_e32 v[14:15], v[30:31], v[36:37]
	s_delay_alu instid0(VALU_DEP_2) | instskip(SKIP_3) | instid1(VALU_DEP_2)
	v_cmp_gt_i32_e32 vcc_lo, 32, v26
	v_cndmask_b32_e32 v26, v44, v26, vcc_lo
	v_cmp_eq_u32_e32 vcc_lo, 15, v11
	s_wait_dscnt 0x2
	v_dual_add_f64 v[16:17], v[18:19], v[40:41] :: v_dual_lshlrev_b32 v29, 2, v26
	s_wait_dscnt 0x0
	v_add_f64_e32 v[18:19], v[34:35], v[42:43]
	ds_bpermute_b32 v40, v29, v0
	ds_bpermute_b32 v41, v29, v1
	;; [unrolled: 1-line block ×16, first 2 shown]
	s_and_b32 exec_lo, exec_lo, vcc_lo
	s_cbranch_execz .LBB143_25
; %bb.21:
	v_cmp_eq_f64_e32 vcc_lo, 0, v[6:7]
	v_cmp_eq_f64_e64 s2, 0, v[8:9]
	s_wait_dscnt 0xe
	v_add_f64_e32 v[0:1], v[0:1], v[40:41]
	s_wait_dscnt 0x8
	v_add_f64_e32 v[24:25], v[24:25], v[38:39]
	;; [unrolled: 2-line block ×3, first 2 shown]
	v_add_f64_e32 v[22:23], v[22:23], v[34:35]
	s_wait_dscnt 0x4
	v_add_f64_e32 v[14:15], v[14:15], v[32:33]
	v_add_f64_e32 v[20:21], v[20:21], v[30:31]
	s_wait_dscnt 0x2
	v_add_f64_e32 v[16:17], v[16:17], v[26:27]
	s_wait_dscnt 0x0
	v_add_f64_e32 v[18:19], v[18:19], v[28:29]
	s_load_b64 s[0:1], s[0:1], 0x48
	s_and_b32 s2, vcc_lo, s2
	s_delay_alu instid0(SALU_CYCLE_1) | instskip(NEXT) | instid1(SALU_CYCLE_1)
	s_and_saveexec_b32 s3, s2
	s_xor_b32 s2, exec_lo, s3
	s_cbranch_execz .LBB143_23
; %bb.22:
	v_mul_f64_e64 v[6:7], v[24:25], -v[4:5]
	v_mul_f64_e32 v[8:9], v[2:3], v[24:25]
	v_mul_f64_e64 v[24:25], v[22:23], -v[4:5]
	v_mul_f64_e32 v[26:27], v[2:3], v[22:23]
	;; [unrolled: 2-line block ×4, first 2 shown]
                                        ; implicit-def: $vgpr18_vgpr19
	v_fmac_f64_e32 v[6:7], v[2:3], v[0:1]
	v_fmac_f64_e32 v[8:9], v[4:5], v[0:1]
	;; [unrolled: 1-line block ×8, first 2 shown]
	v_lshlrev_b32_e32 v0, 2, v10
                                        ; implicit-def: $vgpr10
                                        ; implicit-def: $vgpr12_vgpr13
                                        ; implicit-def: $vgpr14_vgpr15
                                        ; implicit-def: $vgpr16_vgpr17
                                        ; implicit-def: $vgpr4_vgpr5
	s_wait_kmcnt 0x0
	s_clause 0x3
	global_store_b128 v0, v[6:9], s[0:1] scale_offset
	global_store_b128 v0, v[24:27], s[0:1] offset:16 scale_offset
	global_store_b128 v0, v[28:31], s[0:1] offset:32 scale_offset
	;; [unrolled: 1-line block ×3, first 2 shown]
                                        ; implicit-def: $vgpr0_vgpr1
                                        ; implicit-def: $vgpr24_vgpr25
                                        ; implicit-def: $vgpr22_vgpr23
                                        ; implicit-def: $vgpr20_vgpr21
                                        ; implicit-def: $vgpr8_vgpr9
.LBB143_23:
	s_wait_xcnt 0x0
	s_and_not1_saveexec_b32 s2, s2
	s_cbranch_execz .LBB143_25
; %bb.24:
	v_dual_mul_f64 v[42:43], v[24:25], -v[4:5] :: v_dual_lshlrev_b32 v52, 2, v10
	v_mul_f64_e32 v[24:25], v[2:3], v[24:25]
	v_mul_f64_e64 v[46:47], v[22:23], -v[4:5]
	v_mul_f64_e32 v[44:45], v[2:3], v[22:23]
	s_wait_kmcnt 0x0
	s_clause 0x3
	global_load_b128 v[26:29], v52, s[0:1] scale_offset
	global_load_b128 v[30:33], v52, s[0:1] offset:16 scale_offset
	global_load_b128 v[34:37], v52, s[0:1] offset:32 scale_offset
	;; [unrolled: 1-line block ×3, first 2 shown]
	v_mul_f64_e64 v[48:49], v[20:21], -v[4:5]
	v_mul_f64_e32 v[20:21], v[2:3], v[20:21]
	v_mul_f64_e64 v[50:51], v[18:19], -v[4:5]
	v_mul_f64_e32 v[10:11], v[2:3], v[18:19]
	v_fmac_f64_e32 v[42:43], v[2:3], v[0:1]
	v_fmac_f64_e32 v[24:25], v[4:5], v[0:1]
	;; [unrolled: 1-line block ×8, first 2 shown]
	s_wait_loadcnt 0x3
	v_fmac_f64_e32 v[42:43], v[6:7], v[26:27]
	v_fmac_f64_e32 v[24:25], v[8:9], v[26:27]
	s_wait_loadcnt 0x2
	v_fmac_f64_e32 v[46:47], v[6:7], v[30:31]
	v_fmac_f64_e32 v[44:45], v[8:9], v[30:31]
	;; [unrolled: 3-line block ×4, first 2 shown]
	v_fma_f64 v[22:23], -v[8:9], v[28:29], v[42:43]
	v_fmac_f64_e32 v[24:25], v[6:7], v[28:29]
	v_fma_f64 v[42:43], -v[8:9], v[32:33], v[46:47]
	v_fmac_f64_e32 v[44:45], v[6:7], v[32:33]
	;; [unrolled: 2-line block ×4, first 2 shown]
	s_clause 0x3
	global_store_b128 v52, v[22:25], s[0:1] scale_offset
	global_store_b128 v52, v[42:45], s[0:1] offset:16 scale_offset
	global_store_b128 v52, v[18:21], s[0:1] offset:32 scale_offset
	;; [unrolled: 1-line block ×3, first 2 shown]
.LBB143_25:
	s_sendmsg sendmsg(MSG_DEALLOC_VGPRS)
	s_endpgm
	.section	.rodata,"a",@progbits
	.p2align	6, 0x0
	.amdhsa_kernel _ZN9rocsparseL19gebsrmvn_4xn_kernelILj128ELj8ELj16E21rocsparse_complex_numIdEEEvi20rocsparse_direction_NS_24const_host_device_scalarIT2_EEPKiS8_PKS5_SA_S6_PS5_21rocsparse_index_base_b
		.amdhsa_group_segment_fixed_size 0
		.amdhsa_private_segment_fixed_size 0
		.amdhsa_kernarg_size 88
		.amdhsa_user_sgpr_count 2
		.amdhsa_user_sgpr_dispatch_ptr 0
		.amdhsa_user_sgpr_queue_ptr 0
		.amdhsa_user_sgpr_kernarg_segment_ptr 1
		.amdhsa_user_sgpr_dispatch_id 0
		.amdhsa_user_sgpr_kernarg_preload_length 0
		.amdhsa_user_sgpr_kernarg_preload_offset 0
		.amdhsa_user_sgpr_private_segment_size 0
		.amdhsa_wavefront_size32 1
		.amdhsa_uses_dynamic_stack 0
		.amdhsa_enable_private_segment 0
		.amdhsa_system_sgpr_workgroup_id_x 1
		.amdhsa_system_sgpr_workgroup_id_y 0
		.amdhsa_system_sgpr_workgroup_id_z 0
		.amdhsa_system_sgpr_workgroup_info 0
		.amdhsa_system_vgpr_workitem_id 0
		.amdhsa_next_free_vgpr 80
		.amdhsa_next_free_sgpr 16
		.amdhsa_named_barrier_count 0
		.amdhsa_reserve_vcc 1
		.amdhsa_float_round_mode_32 0
		.amdhsa_float_round_mode_16_64 0
		.amdhsa_float_denorm_mode_32 3
		.amdhsa_float_denorm_mode_16_64 3
		.amdhsa_fp16_overflow 0
		.amdhsa_memory_ordered 1
		.amdhsa_forward_progress 1
		.amdhsa_inst_pref_size 22
		.amdhsa_round_robin_scheduling 0
		.amdhsa_exception_fp_ieee_invalid_op 0
		.amdhsa_exception_fp_denorm_src 0
		.amdhsa_exception_fp_ieee_div_zero 0
		.amdhsa_exception_fp_ieee_overflow 0
		.amdhsa_exception_fp_ieee_underflow 0
		.amdhsa_exception_fp_ieee_inexact 0
		.amdhsa_exception_int_div_zero 0
	.end_amdhsa_kernel
	.section	.text._ZN9rocsparseL19gebsrmvn_4xn_kernelILj128ELj8ELj16E21rocsparse_complex_numIdEEEvi20rocsparse_direction_NS_24const_host_device_scalarIT2_EEPKiS8_PKS5_SA_S6_PS5_21rocsparse_index_base_b,"axG",@progbits,_ZN9rocsparseL19gebsrmvn_4xn_kernelILj128ELj8ELj16E21rocsparse_complex_numIdEEEvi20rocsparse_direction_NS_24const_host_device_scalarIT2_EEPKiS8_PKS5_SA_S6_PS5_21rocsparse_index_base_b,comdat
.Lfunc_end143:
	.size	_ZN9rocsparseL19gebsrmvn_4xn_kernelILj128ELj8ELj16E21rocsparse_complex_numIdEEEvi20rocsparse_direction_NS_24const_host_device_scalarIT2_EEPKiS8_PKS5_SA_S6_PS5_21rocsparse_index_base_b, .Lfunc_end143-_ZN9rocsparseL19gebsrmvn_4xn_kernelILj128ELj8ELj16E21rocsparse_complex_numIdEEEvi20rocsparse_direction_NS_24const_host_device_scalarIT2_EEPKiS8_PKS5_SA_S6_PS5_21rocsparse_index_base_b
                                        ; -- End function
	.set _ZN9rocsparseL19gebsrmvn_4xn_kernelILj128ELj8ELj16E21rocsparse_complex_numIdEEEvi20rocsparse_direction_NS_24const_host_device_scalarIT2_EEPKiS8_PKS5_SA_S6_PS5_21rocsparse_index_base_b.num_vgpr, 80
	.set _ZN9rocsparseL19gebsrmvn_4xn_kernelILj128ELj8ELj16E21rocsparse_complex_numIdEEEvi20rocsparse_direction_NS_24const_host_device_scalarIT2_EEPKiS8_PKS5_SA_S6_PS5_21rocsparse_index_base_b.num_agpr, 0
	.set _ZN9rocsparseL19gebsrmvn_4xn_kernelILj128ELj8ELj16E21rocsparse_complex_numIdEEEvi20rocsparse_direction_NS_24const_host_device_scalarIT2_EEPKiS8_PKS5_SA_S6_PS5_21rocsparse_index_base_b.numbered_sgpr, 16
	.set _ZN9rocsparseL19gebsrmvn_4xn_kernelILj128ELj8ELj16E21rocsparse_complex_numIdEEEvi20rocsparse_direction_NS_24const_host_device_scalarIT2_EEPKiS8_PKS5_SA_S6_PS5_21rocsparse_index_base_b.num_named_barrier, 0
	.set _ZN9rocsparseL19gebsrmvn_4xn_kernelILj128ELj8ELj16E21rocsparse_complex_numIdEEEvi20rocsparse_direction_NS_24const_host_device_scalarIT2_EEPKiS8_PKS5_SA_S6_PS5_21rocsparse_index_base_b.private_seg_size, 0
	.set _ZN9rocsparseL19gebsrmvn_4xn_kernelILj128ELj8ELj16E21rocsparse_complex_numIdEEEvi20rocsparse_direction_NS_24const_host_device_scalarIT2_EEPKiS8_PKS5_SA_S6_PS5_21rocsparse_index_base_b.uses_vcc, 1
	.set _ZN9rocsparseL19gebsrmvn_4xn_kernelILj128ELj8ELj16E21rocsparse_complex_numIdEEEvi20rocsparse_direction_NS_24const_host_device_scalarIT2_EEPKiS8_PKS5_SA_S6_PS5_21rocsparse_index_base_b.uses_flat_scratch, 0
	.set _ZN9rocsparseL19gebsrmvn_4xn_kernelILj128ELj8ELj16E21rocsparse_complex_numIdEEEvi20rocsparse_direction_NS_24const_host_device_scalarIT2_EEPKiS8_PKS5_SA_S6_PS5_21rocsparse_index_base_b.has_dyn_sized_stack, 0
	.set _ZN9rocsparseL19gebsrmvn_4xn_kernelILj128ELj8ELj16E21rocsparse_complex_numIdEEEvi20rocsparse_direction_NS_24const_host_device_scalarIT2_EEPKiS8_PKS5_SA_S6_PS5_21rocsparse_index_base_b.has_recursion, 0
	.set _ZN9rocsparseL19gebsrmvn_4xn_kernelILj128ELj8ELj16E21rocsparse_complex_numIdEEEvi20rocsparse_direction_NS_24const_host_device_scalarIT2_EEPKiS8_PKS5_SA_S6_PS5_21rocsparse_index_base_b.has_indirect_call, 0
	.section	.AMDGPU.csdata,"",@progbits
; Kernel info:
; codeLenInByte = 2784
; TotalNumSgprs: 18
; NumVgprs: 80
; ScratchSize: 0
; MemoryBound: 0
; FloatMode: 240
; IeeeMode: 1
; LDSByteSize: 0 bytes/workgroup (compile time only)
; SGPRBlocks: 0
; VGPRBlocks: 4
; NumSGPRsForWavesPerEU: 18
; NumVGPRsForWavesPerEU: 80
; NamedBarCnt: 0
; Occupancy: 12
; WaveLimiterHint : 1
; COMPUTE_PGM_RSRC2:SCRATCH_EN: 0
; COMPUTE_PGM_RSRC2:USER_SGPR: 2
; COMPUTE_PGM_RSRC2:TRAP_HANDLER: 0
; COMPUTE_PGM_RSRC2:TGID_X_EN: 1
; COMPUTE_PGM_RSRC2:TGID_Y_EN: 0
; COMPUTE_PGM_RSRC2:TGID_Z_EN: 0
; COMPUTE_PGM_RSRC2:TIDIG_COMP_CNT: 0
	.section	.text._ZN9rocsparseL19gebsrmvn_4xn_kernelILj128ELj8ELj32E21rocsparse_complex_numIdEEEvi20rocsparse_direction_NS_24const_host_device_scalarIT2_EEPKiS8_PKS5_SA_S6_PS5_21rocsparse_index_base_b,"axG",@progbits,_ZN9rocsparseL19gebsrmvn_4xn_kernelILj128ELj8ELj32E21rocsparse_complex_numIdEEEvi20rocsparse_direction_NS_24const_host_device_scalarIT2_EEPKiS8_PKS5_SA_S6_PS5_21rocsparse_index_base_b,comdat
	.globl	_ZN9rocsparseL19gebsrmvn_4xn_kernelILj128ELj8ELj32E21rocsparse_complex_numIdEEEvi20rocsparse_direction_NS_24const_host_device_scalarIT2_EEPKiS8_PKS5_SA_S6_PS5_21rocsparse_index_base_b ; -- Begin function _ZN9rocsparseL19gebsrmvn_4xn_kernelILj128ELj8ELj32E21rocsparse_complex_numIdEEEvi20rocsparse_direction_NS_24const_host_device_scalarIT2_EEPKiS8_PKS5_SA_S6_PS5_21rocsparse_index_base_b
	.p2align	8
	.type	_ZN9rocsparseL19gebsrmvn_4xn_kernelILj128ELj8ELj32E21rocsparse_complex_numIdEEEvi20rocsparse_direction_NS_24const_host_device_scalarIT2_EEPKiS8_PKS5_SA_S6_PS5_21rocsparse_index_base_b,@function
_ZN9rocsparseL19gebsrmvn_4xn_kernelILj128ELj8ELj32E21rocsparse_complex_numIdEEEvi20rocsparse_direction_NS_24const_host_device_scalarIT2_EEPKiS8_PKS5_SA_S6_PS5_21rocsparse_index_base_b: ; @_ZN9rocsparseL19gebsrmvn_4xn_kernelILj128ELj8ELj32E21rocsparse_complex_numIdEEEvi20rocsparse_direction_NS_24const_host_device_scalarIT2_EEPKiS8_PKS5_SA_S6_PS5_21rocsparse_index_base_b
; %bb.0:
	s_clause 0x1
	s_load_b64 s[12:13], s[0:1], 0x50
	s_load_b64 s[2:3], s[0:1], 0x8
	v_mov_b32_e32 v1, 0
	s_add_nc_u64 s[4:5], s[0:1], 8
	s_load_b64 s[6:7], s[0:1], 0x38
	s_wait_kmcnt 0x0
	s_bitcmp1_b32 s13, 0
	s_cselect_b32 s3, s5, s3
	s_cselect_b32 s2, s4, s2
	flat_load_b128 v[2:5], v1, s[2:3]
	s_wait_xcnt 0x0
	s_add_nc_u64 s[2:3], s[0:1], 56
	s_delay_alu instid0(SALU_CYCLE_1)
	s_cselect_b32 s3, s3, s7
	s_cselect_b32 s2, s2, s6
	flat_load_b128 v[6:9], v1, s[2:3]
	s_wait_loadcnt_dscnt 0x101
	v_cmp_eq_f64_e32 vcc_lo, 0, v[2:3]
	s_wait_xcnt 0x0
	v_cmp_eq_f64_e64 s2, 0, v[4:5]
	s_and_b32 s4, vcc_lo, s2
	s_mov_b32 s2, -1
	s_and_saveexec_b32 s3, s4
	s_cbranch_execz .LBB144_2
; %bb.1:
	s_wait_loadcnt_dscnt 0x0
	v_cmp_neq_f64_e32 vcc_lo, 1.0, v[6:7]
	v_cmp_neq_f64_e64 s2, 0, v[8:9]
	s_or_b32 s2, vcc_lo, s2
	s_delay_alu instid0(SALU_CYCLE_1)
	s_or_not1_b32 s2, s2, exec_lo
.LBB144_2:
	s_or_b32 exec_lo, exec_lo, s3
	s_and_saveexec_b32 s3, s2
	s_cbranch_execz .LBB144_25
; %bb.3:
	s_load_b64 s[2:3], s[0:1], 0x0
	s_bfe_u32 s4, ttmp6, 0x4000c
	s_and_b32 s5, ttmp6, 15
	s_add_co_i32 s4, s4, 1
	s_getreg_b32 s6, hwreg(HW_REG_IB_STS2, 6, 4)
	s_mul_i32 s4, ttmp9, s4
	v_lshrrev_b32_e32 v1, 5, v0
	s_add_co_i32 s5, s5, s4
	s_cmp_eq_u32 s6, 0
	s_cselect_b32 s4, ttmp9, s5
	s_delay_alu instid0(VALU_DEP_1) | instid1(SALU_CYCLE_1)
	v_lshl_or_b32 v10, s4, 2, v1
	s_wait_kmcnt 0x0
	s_delay_alu instid0(VALU_DEP_1)
	v_cmp_gt_i32_e32 vcc_lo, s2, v10
	s_and_b32 exec_lo, exec_lo, vcc_lo
	s_cbranch_execz .LBB144_25
; %bb.4:
	s_load_b256 s[4:11], s[0:1], 0x18
	v_ashrrev_i32_e32 v11, 31, v10
	s_cmp_lg_u32 s3, 0
	s_wait_kmcnt 0x0
	s_delay_alu instid0(VALU_DEP_1)
	v_lshl_add_u64 v[12:13], v[10:11], 2, s[4:5]
	v_and_b32_e32 v11, 31, v0
	global_load_b64 v[12:13], v[12:13], off
	s_wait_loadcnt 0x0
	v_subrev_nc_u32_e32 v0, s12, v12
	v_subrev_nc_u32_e32 v32, s12, v13
	s_delay_alu instid0(VALU_DEP_2) | instskip(NEXT) | instid1(VALU_DEP_1)
	v_add_nc_u32_e32 v33, v0, v11
	v_cmp_lt_i32_e64 s2, v33, v32
	s_cbranch_scc0 .LBB144_12
; %bb.5:
	v_mov_b64_e32 v[0:1], 0
	v_mov_b64_e32 v[20:21], 0
	;; [unrolled: 1-line block ×8, first 2 shown]
	s_and_saveexec_b32 s3, s2
	s_cbranch_execz .LBB144_11
; %bb.6:
	v_dual_mov_b32 v27, 0 :: v_dual_lshlrev_b32 v26, 5, v33
	v_mov_b64_e32 v[0:1], 0
	v_mov_b64_e32 v[20:21], 0
	;; [unrolled: 1-line block ×8, first 2 shown]
	v_dual_mov_b32 v35, v33 :: v_dual_bitop2_b32 v34, 4, v26 bitop3:0x54
	s_add_nc_u64 s[4:5], s[10:11], 16
	s_mov_b32 s13, 0
.LBB144_7:                              ; =>This Loop Header: Depth=1
                                        ;     Child Loop BB144_8 Depth 2
	global_load_b32 v28, v35, s[6:7] scale_offset
	v_mov_b32_e32 v36, v34
	s_mov_b64 s[14:15], 0
	s_wait_loadcnt 0x0
	v_subrev_nc_u32_e32 v28, s12, v28
	s_delay_alu instid0(VALU_DEP_1) | instskip(SKIP_1) | instid1(VALU_DEP_2)
	v_dual_mov_b32 v31, v27 :: v_dual_lshlrev_b32 v30, 3, v28
	v_lshl_add_u64 v[28:29], v[26:27], 4, s[8:9]
	v_lshl_add_u64 v[30:31], v[30:31], 4, s[4:5]
.LBB144_8:                              ;   Parent Loop BB144_7 Depth=1
                                        ; =>  This Inner Loop Header: Depth=2
	s_delay_alu instid0(VALU_DEP_2)
	v_add_nc_u64_e32 v[78:79], s[14:15], v[28:29]
	s_add_nc_u64 s[14:15], s[14:15], 0x80
	s_clause 0x1
	global_load_b128 v[38:41], v[30:31], off
	global_load_b128 v[42:45], v[30:31], off offset:-16
	s_clause 0x7
	global_load_b128 v[46:49], v[78:79], off
	global_load_b128 v[50:53], v[78:79], off offset:16
	global_load_b128 v[54:57], v[78:79], off offset:32
	;; [unrolled: 1-line block ×3, first 2 shown]
	global_load_b128 v[62:65], v36, s[8:9] scale_offset
	global_load_b128 v[66:69], v36, s[8:9] offset:16 scale_offset
	global_load_b128 v[70:73], v36, s[8:9] offset:32 scale_offset
	global_load_b128 v[74:77], v36, s[8:9] offset:48 scale_offset
	s_wait_xcnt 0x8
	v_add_nc_u64_e32 v[30:31], 32, v[30:31]
	s_wait_xcnt 0x0
	v_add_nc_u32_e32 v36, 8, v36
	s_cmp_eq_u32 s14, 0x200
	s_wait_loadcnt 0x7
	v_fmac_f64_e32 v[20:21], v[46:47], v[42:43]
	v_fmac_f64_e32 v[0:1], v[48:49], v[42:43]
	s_wait_loadcnt 0x6
	v_fmac_f64_e32 v[24:25], v[50:51], v[42:43]
	v_fmac_f64_e32 v[16:17], v[52:53], v[42:43]
	;; [unrolled: 3-line block ×4, first 2 shown]
	v_fma_f64 v[20:21], -v[48:49], v[44:45], v[20:21]
	v_fmac_f64_e32 v[0:1], v[46:47], v[44:45]
	v_fma_f64 v[24:25], -v[52:53], v[44:45], v[24:25]
	v_fmac_f64_e32 v[16:17], v[50:51], v[44:45]
	;; [unrolled: 2-line block ×4, first 2 shown]
	s_wait_loadcnt 0x3
	v_fmac_f64_e32 v[20:21], v[62:63], v[38:39]
	v_fmac_f64_e32 v[0:1], v[64:65], v[38:39]
	s_wait_loadcnt 0x2
	v_fmac_f64_e32 v[24:25], v[66:67], v[38:39]
	v_fmac_f64_e32 v[16:17], v[68:69], v[38:39]
	;; [unrolled: 3-line block ×4, first 2 shown]
	v_fma_f64 v[20:21], -v[64:65], v[40:41], v[20:21]
	v_fmac_f64_e32 v[0:1], v[62:63], v[40:41]
	v_fma_f64 v[24:25], -v[68:69], v[40:41], v[24:25]
	v_fmac_f64_e32 v[16:17], v[66:67], v[40:41]
	;; [unrolled: 2-line block ×4, first 2 shown]
	s_cbranch_scc0 .LBB144_8
; %bb.9:                                ;   in Loop: Header=BB144_7 Depth=1
	v_add_nc_u32_e32 v35, 32, v35
	v_add_nc_u32_e32 v34, 0x400, v34
	;; [unrolled: 1-line block ×3, first 2 shown]
	s_delay_alu instid0(VALU_DEP_3) | instskip(SKIP_1) | instid1(SALU_CYCLE_1)
	v_cmp_ge_i32_e32 vcc_lo, v35, v32
	s_or_b32 s13, vcc_lo, s13
	s_and_not1_b32 exec_lo, exec_lo, s13
	s_cbranch_execnz .LBB144_7
; %bb.10:
	s_or_b32 exec_lo, exec_lo, s13
.LBB144_11:
	s_delay_alu instid0(SALU_CYCLE_1)
	s_or_b32 exec_lo, exec_lo, s3
	s_cbranch_execz .LBB144_13
	s_branch .LBB144_20
.LBB144_12:
                                        ; implicit-def: $vgpr0_vgpr1
                                        ; implicit-def: $vgpr20_vgpr21
                                        ; implicit-def: $vgpr18_vgpr19
                                        ; implicit-def: $vgpr12_vgpr13
                                        ; implicit-def: $vgpr22_vgpr23
                                        ; implicit-def: $vgpr14_vgpr15
                                        ; implicit-def: $vgpr24_vgpr25
                                        ; implicit-def: $vgpr16_vgpr17
.LBB144_13:
	v_mov_b64_e32 v[0:1], 0
	v_mov_b64_e32 v[20:21], 0
	;; [unrolled: 1-line block ×8, first 2 shown]
	s_and_saveexec_b32 s4, s2
	s_cbranch_execz .LBB144_19
; %bb.14:
	v_mov_b64_e32 v[0:1], 0
	v_mov_b64_e32 v[20:21], 0
	;; [unrolled: 1-line block ×8, first 2 shown]
	v_dual_mov_b32 v27, 0 :: v_dual_lshlrev_b32 v26, 5, v33
	s_mov_b32 s5, 0
.LBB144_15:                             ; =>This Loop Header: Depth=1
                                        ;     Child Loop BB144_16 Depth 2
	global_load_b32 v28, v33, s[6:7] scale_offset
	s_mov_b64 s[2:3], 0
	v_mov_b32_e32 v31, v27
	s_wait_loadcnt 0x0
	v_subrev_nc_u32_e32 v28, s12, v28
	s_delay_alu instid0(VALU_DEP_1) | instskip(SKIP_1) | instid1(VALU_DEP_2)
	v_lshlrev_b32_e32 v30, 3, v28
	v_lshl_add_u64 v[28:29], v[26:27], 4, s[8:9]
	v_lshl_add_u64 v[30:31], v[30:31], 4, s[10:11]
.LBB144_16:                             ;   Parent Loop BB144_15 Depth=1
                                        ; =>  This Inner Loop Header: Depth=2
	s_delay_alu instid0(VALU_DEP_2) | instskip(NEXT) | instid1(VALU_DEP_2)
	v_add_nc_u64_e32 v[74:75], s[2:3], v[28:29]
	v_add_nc_u64_e32 v[76:77], s[2:3], v[30:31]
	s_add_nc_u64 s[2:3], s[2:3], 32
	global_load_b128 v[34:37], v[74:75], off
	global_load_b128 v[38:41], v[76:77], off
	s_clause 0x3
	global_load_b128 v[42:45], v[74:75], off offset:128
	global_load_b128 v[46:49], v[74:75], off offset:256
	;; [unrolled: 1-line block ×5, first 2 shown]
	s_clause 0x2
	global_load_b128 v[62:65], v[74:75], off offset:144
	global_load_b128 v[66:69], v[74:75], off offset:272
	;; [unrolled: 1-line block ×3, first 2 shown]
	s_cmp_eq_u32 s2, 0x80
	s_wait_loadcnt 0x8
	v_fmac_f64_e32 v[20:21], v[34:35], v[38:39]
	v_fmac_f64_e32 v[0:1], v[36:37], v[38:39]
	s_wait_loadcnt 0x7
	v_fmac_f64_e32 v[24:25], v[42:43], v[38:39]
	v_fmac_f64_e32 v[16:17], v[44:45], v[38:39]
	;; [unrolled: 3-line block ×4, first 2 shown]
	v_fma_f64 v[20:21], -v[36:37], v[40:41], v[20:21]
	v_fmac_f64_e32 v[0:1], v[34:35], v[40:41]
	v_fma_f64 v[24:25], -v[44:45], v[40:41], v[24:25]
	v_fmac_f64_e32 v[16:17], v[42:43], v[40:41]
	;; [unrolled: 2-line block ×4, first 2 shown]
	s_wait_loadcnt 0x3
	v_fmac_f64_e32 v[20:21], v[54:55], v[58:59]
	v_fmac_f64_e32 v[0:1], v[56:57], v[58:59]
	s_wait_loadcnt 0x2
	v_fmac_f64_e32 v[24:25], v[62:63], v[58:59]
	v_fmac_f64_e32 v[16:17], v[64:65], v[58:59]
	;; [unrolled: 3-line block ×4, first 2 shown]
	v_fma_f64 v[20:21], -v[56:57], v[60:61], v[20:21]
	v_fmac_f64_e32 v[0:1], v[54:55], v[60:61]
	v_fma_f64 v[24:25], -v[64:65], v[60:61], v[24:25]
	v_fmac_f64_e32 v[16:17], v[62:63], v[60:61]
	;; [unrolled: 2-line block ×4, first 2 shown]
	s_cbranch_scc0 .LBB144_16
; %bb.17:                               ;   in Loop: Header=BB144_15 Depth=1
	v_add_nc_u32_e32 v33, 32, v33
	v_add_nc_u32_e32 v26, 0x400, v26
	s_delay_alu instid0(VALU_DEP_2) | instskip(SKIP_1) | instid1(SALU_CYCLE_1)
	v_cmp_ge_i32_e32 vcc_lo, v33, v32
	s_or_b32 s5, vcc_lo, s5
	s_and_not1_b32 exec_lo, exec_lo, s5
	s_cbranch_execnz .LBB144_15
; %bb.18:
	s_or_b32 exec_lo, exec_lo, s5
.LBB144_19:
	s_delay_alu instid0(SALU_CYCLE_1)
	s_or_b32 exec_lo, exec_lo, s4
.LBB144_20:
	v_mbcnt_lo_u32_b32 v44, -1, 0
	s_delay_alu instid0(VALU_DEP_1) | instskip(NEXT) | instid1(VALU_DEP_1)
	v_xor_b32_e32 v26, 16, v44
	v_cmp_gt_i32_e32 vcc_lo, 32, v26
	v_cndmask_b32_e32 v26, v44, v26, vcc_lo
	s_delay_alu instid0(VALU_DEP_1)
	v_lshlrev_b32_e32 v41, 2, v26
	ds_bpermute_b32 v28, v41, v0
	ds_bpermute_b32 v29, v41, v1
	s_wait_dscnt 0x0
	v_add_f64_e32 v[0:1], v[0:1], v[28:29]
	ds_bpermute_b32 v26, v41, v20
	ds_bpermute_b32 v27, v41, v21
	;; [unrolled: 1-line block ×14, first 2 shown]
	s_wait_dscnt 0xc
	v_dual_add_f64 v[20:21], v[20:21], v[26:27] :: v_dual_bitop2_b32 v26, 8, v44 bitop3:0x14
	s_wait_dscnt 0xa
	v_add_f64_e32 v[14:15], v[14:15], v[36:37]
	s_wait_dscnt 0x8
	v_add_f64_e32 v[24:25], v[24:25], v[30:31]
	v_cmp_gt_i32_e32 vcc_lo, 32, v26
	s_wait_dscnt 0x4
	v_add_f64_e32 v[22:23], v[22:23], v[34:35]
	s_wait_dscnt 0x2
	v_add_f64_e32 v[18:19], v[18:19], v[38:39]
	v_cndmask_b32_e32 v26, v44, v26, vcc_lo
	v_add_f64_e32 v[16:17], v[16:17], v[32:33]
	s_wait_dscnt 0x0
	s_delay_alu instid0(VALU_DEP_2)
	v_dual_add_f64 v[12:13], v[12:13], v[40:41] :: v_dual_lshlrev_b32 v41, 2, v26
	ds_bpermute_b32 v28, v41, v0
	ds_bpermute_b32 v29, v41, v1
	;; [unrolled: 1-line block ×8, first 2 shown]
	s_wait_dscnt 0x6
	v_add_f64_e32 v[0:1], v[0:1], v[28:29]
	ds_bpermute_b32 v38, v41, v18
	ds_bpermute_b32 v32, v41, v16
	;; [unrolled: 1-line block ×5, first 2 shown]
	s_wait_dscnt 0x9
	v_dual_add_f64 v[20:21], v[20:21], v[26:27] :: v_dual_bitop2_b32 v26, 4, v44 bitop3:0x14
	ds_bpermute_b32 v34, v41, v22
	ds_bpermute_b32 v35, v41, v23
	;; [unrolled: 1-line block ×3, first 2 shown]
	s_wait_dscnt 0xa
	v_add_f64_e32 v[14:15], v[14:15], v[36:37]
	v_cmp_gt_i32_e32 vcc_lo, 32, v26
	s_wait_dscnt 0x8
	v_add_f64_e32 v[24:25], v[24:25], v[30:31]
	v_cndmask_b32_e32 v26, v44, v26, vcc_lo
	s_wait_dscnt 0x5
	v_add_f64_e32 v[16:17], v[16:17], v[32:33]
	s_wait_dscnt 0x0
	s_delay_alu instid0(VALU_DEP_2)
	v_dual_add_f64 v[12:13], v[12:13], v[40:41] :: v_dual_lshlrev_b32 v41, 2, v26
	ds_bpermute_b32 v28, v41, v0
	ds_bpermute_b32 v29, v41, v1
	;; [unrolled: 1-line block ×10, first 2 shown]
	s_wait_dscnt 0x6
	v_add_f64_e32 v[20:21], v[20:21], v[26:27]
	v_add_f64_e32 v[26:27], v[0:1], v[28:29]
	v_dual_add_f64 v[18:19], v[18:19], v[38:39] :: v_dual_bitop2_b32 v0, 2, v44 bitop3:0x14
	ds_bpermute_b32 v40, v41, v12
	v_cmp_gt_i32_e32 vcc_lo, 32, v0
	v_add_f64_e32 v[22:23], v[22:23], v[34:35]
	s_wait_dscnt 0x3
	v_add_f64_e32 v[28:29], v[24:25], v[30:31]
	v_cndmask_b32_e32 v0, v44, v0, vcc_lo
	s_wait_dscnt 0x1
	v_add_f64_e32 v[16:17], v[16:17], v[32:33]
	v_add_f64_e32 v[32:33], v[14:15], v[36:37]
	s_delay_alu instid0(VALU_DEP_3)
	v_lshlrev_b32_e32 v24, 2, v0
	ds_bpermute_b32 v0, v24, v20
	ds_bpermute_b32 v1, v24, v21
	;; [unrolled: 1-line block ×9, first 2 shown]
	s_wait_dscnt 0x7
	v_add_f64_e32 v[0:1], v[20:21], v[0:1]
	s_wait_dscnt 0x5
	v_add_f64_e32 v[18:19], v[18:19], v[38:39]
	ds_bpermute_b32 v38, v24, v32
	ds_bpermute_b32 v39, v24, v33
	s_wait_dscnt 0x5
	v_add_f64_e32 v[30:31], v[22:23], v[34:35]
	s_wait_dscnt 0x4
	v_add_f64_e32 v[34:35], v[12:13], v[40:41]
	ds_bpermute_b32 v12, v24, v26
	ds_bpermute_b32 v13, v24, v27
	;; [unrolled: 1-line block ×4, first 2 shown]
	s_wait_dscnt 0x4
	v_add_f64_e32 v[20:21], v[32:33], v[38:39]
	s_wait_dscnt 0x0
	v_add_f64_e32 v[22:23], v[16:17], v[22:23]
	ds_bpermute_b32 v40, v24, v18
	ds_bpermute_b32 v41, v24, v19
	;; [unrolled: 1-line block ×6, first 2 shown]
	v_add_f64_e32 v[24:25], v[26:27], v[12:13]
	v_dual_add_f64 v[12:13], v[28:29], v[14:15] :: v_dual_bitop2_b32 v26, 1, v44 bitop3:0x14
	s_delay_alu instid0(VALU_DEP_1) | instskip(SKIP_4) | instid1(VALU_DEP_2)
	v_cmp_gt_i32_e32 vcc_lo, 32, v26
	s_wait_dscnt 0x4
	v_dual_add_f64 v[16:17], v[18:19], v[40:41] :: v_dual_cndmask_b32 v26, v44, v26, vcc_lo
	v_cmp_eq_u32_e32 vcc_lo, 31, v11
	s_wait_dscnt 0x2
	v_dual_add_f64 v[14:15], v[30:31], v[36:37] :: v_dual_lshlrev_b32 v29, 2, v26
	s_wait_dscnt 0x0
	v_add_f64_e32 v[18:19], v[34:35], v[42:43]
	ds_bpermute_b32 v40, v29, v0
	ds_bpermute_b32 v41, v29, v1
	;; [unrolled: 1-line block ×16, first 2 shown]
	s_and_b32 exec_lo, exec_lo, vcc_lo
	s_cbranch_execz .LBB144_25
; %bb.21:
	v_cmp_eq_f64_e32 vcc_lo, 0, v[6:7]
	v_cmp_eq_f64_e64 s2, 0, v[8:9]
	s_wait_dscnt 0xe
	v_add_f64_e32 v[0:1], v[0:1], v[40:41]
	s_wait_dscnt 0x8
	v_add_f64_e32 v[24:25], v[24:25], v[38:39]
	;; [unrolled: 2-line block ×3, first 2 shown]
	v_add_f64_e32 v[22:23], v[22:23], v[34:35]
	s_wait_dscnt 0x2
	v_add_f64_e32 v[14:15], v[14:15], v[32:33]
	v_add_f64_e32 v[20:21], v[20:21], v[30:31]
	;; [unrolled: 1-line block ×3, first 2 shown]
	s_wait_dscnt 0x0
	v_add_f64_e32 v[18:19], v[18:19], v[28:29]
	s_load_b64 s[0:1], s[0:1], 0x48
	s_and_b32 s2, vcc_lo, s2
	s_delay_alu instid0(SALU_CYCLE_1) | instskip(NEXT) | instid1(SALU_CYCLE_1)
	s_and_saveexec_b32 s3, s2
	s_xor_b32 s2, exec_lo, s3
	s_cbranch_execz .LBB144_23
; %bb.22:
	v_mul_f64_e64 v[6:7], v[24:25], -v[4:5]
	v_mul_f64_e32 v[8:9], v[2:3], v[24:25]
	v_mul_f64_e64 v[24:25], v[22:23], -v[4:5]
	v_mul_f64_e32 v[26:27], v[2:3], v[22:23]
	;; [unrolled: 2-line block ×4, first 2 shown]
                                        ; implicit-def: $vgpr18_vgpr19
	v_fmac_f64_e32 v[6:7], v[2:3], v[0:1]
	v_fmac_f64_e32 v[8:9], v[4:5], v[0:1]
	;; [unrolled: 1-line block ×8, first 2 shown]
	v_lshlrev_b32_e32 v0, 2, v10
                                        ; implicit-def: $vgpr10
                                        ; implicit-def: $vgpr12_vgpr13
                                        ; implicit-def: $vgpr14_vgpr15
                                        ; implicit-def: $vgpr16_vgpr17
                                        ; implicit-def: $vgpr4_vgpr5
	s_wait_kmcnt 0x0
	s_clause 0x3
	global_store_b128 v0, v[6:9], s[0:1] scale_offset
	global_store_b128 v0, v[24:27], s[0:1] offset:16 scale_offset
	global_store_b128 v0, v[28:31], s[0:1] offset:32 scale_offset
	;; [unrolled: 1-line block ×3, first 2 shown]
                                        ; implicit-def: $vgpr0_vgpr1
                                        ; implicit-def: $vgpr24_vgpr25
                                        ; implicit-def: $vgpr22_vgpr23
                                        ; implicit-def: $vgpr20_vgpr21
                                        ; implicit-def: $vgpr8_vgpr9
.LBB144_23:
	s_wait_xcnt 0x0
	s_and_not1_saveexec_b32 s2, s2
	s_cbranch_execz .LBB144_25
; %bb.24:
	v_dual_mul_f64 v[42:43], v[24:25], -v[4:5] :: v_dual_lshlrev_b32 v52, 2, v10
	v_mul_f64_e32 v[24:25], v[2:3], v[24:25]
	v_mul_f64_e64 v[46:47], v[22:23], -v[4:5]
	v_mul_f64_e32 v[44:45], v[2:3], v[22:23]
	s_wait_kmcnt 0x0
	s_clause 0x3
	global_load_b128 v[26:29], v52, s[0:1] scale_offset
	global_load_b128 v[30:33], v52, s[0:1] offset:16 scale_offset
	global_load_b128 v[34:37], v52, s[0:1] offset:32 scale_offset
	;; [unrolled: 1-line block ×3, first 2 shown]
	v_mul_f64_e64 v[48:49], v[20:21], -v[4:5]
	v_mul_f64_e32 v[20:21], v[2:3], v[20:21]
	v_mul_f64_e64 v[50:51], v[18:19], -v[4:5]
	v_mul_f64_e32 v[10:11], v[2:3], v[18:19]
	v_fmac_f64_e32 v[42:43], v[2:3], v[0:1]
	v_fmac_f64_e32 v[24:25], v[4:5], v[0:1]
	;; [unrolled: 1-line block ×8, first 2 shown]
	s_wait_loadcnt 0x3
	v_fmac_f64_e32 v[42:43], v[6:7], v[26:27]
	v_fmac_f64_e32 v[24:25], v[8:9], v[26:27]
	s_wait_loadcnt 0x2
	v_fmac_f64_e32 v[46:47], v[6:7], v[30:31]
	v_fmac_f64_e32 v[44:45], v[8:9], v[30:31]
	;; [unrolled: 3-line block ×4, first 2 shown]
	v_fma_f64 v[22:23], -v[8:9], v[28:29], v[42:43]
	v_fmac_f64_e32 v[24:25], v[6:7], v[28:29]
	v_fma_f64 v[42:43], -v[8:9], v[32:33], v[46:47]
	v_fmac_f64_e32 v[44:45], v[6:7], v[32:33]
	;; [unrolled: 2-line block ×4, first 2 shown]
	s_clause 0x3
	global_store_b128 v52, v[22:25], s[0:1] scale_offset
	global_store_b128 v52, v[42:45], s[0:1] offset:16 scale_offset
	global_store_b128 v52, v[18:21], s[0:1] offset:32 scale_offset
	;; [unrolled: 1-line block ×3, first 2 shown]
.LBB144_25:
	s_sendmsg sendmsg(MSG_DEALLOC_VGPRS)
	s_endpgm
	.section	.rodata,"a",@progbits
	.p2align	6, 0x0
	.amdhsa_kernel _ZN9rocsparseL19gebsrmvn_4xn_kernelILj128ELj8ELj32E21rocsparse_complex_numIdEEEvi20rocsparse_direction_NS_24const_host_device_scalarIT2_EEPKiS8_PKS5_SA_S6_PS5_21rocsparse_index_base_b
		.amdhsa_group_segment_fixed_size 0
		.amdhsa_private_segment_fixed_size 0
		.amdhsa_kernarg_size 88
		.amdhsa_user_sgpr_count 2
		.amdhsa_user_sgpr_dispatch_ptr 0
		.amdhsa_user_sgpr_queue_ptr 0
		.amdhsa_user_sgpr_kernarg_segment_ptr 1
		.amdhsa_user_sgpr_dispatch_id 0
		.amdhsa_user_sgpr_kernarg_preload_length 0
		.amdhsa_user_sgpr_kernarg_preload_offset 0
		.amdhsa_user_sgpr_private_segment_size 0
		.amdhsa_wavefront_size32 1
		.amdhsa_uses_dynamic_stack 0
		.amdhsa_enable_private_segment 0
		.amdhsa_system_sgpr_workgroup_id_x 1
		.amdhsa_system_sgpr_workgroup_id_y 0
		.amdhsa_system_sgpr_workgroup_id_z 0
		.amdhsa_system_sgpr_workgroup_info 0
		.amdhsa_system_vgpr_workitem_id 0
		.amdhsa_next_free_vgpr 80
		.amdhsa_next_free_sgpr 16
		.amdhsa_named_barrier_count 0
		.amdhsa_reserve_vcc 1
		.amdhsa_float_round_mode_32 0
		.amdhsa_float_round_mode_16_64 0
		.amdhsa_float_denorm_mode_32 3
		.amdhsa_float_denorm_mode_16_64 3
		.amdhsa_fp16_overflow 0
		.amdhsa_memory_ordered 1
		.amdhsa_forward_progress 1
		.amdhsa_inst_pref_size 24
		.amdhsa_round_robin_scheduling 0
		.amdhsa_exception_fp_ieee_invalid_op 0
		.amdhsa_exception_fp_denorm_src 0
		.amdhsa_exception_fp_ieee_div_zero 0
		.amdhsa_exception_fp_ieee_overflow 0
		.amdhsa_exception_fp_ieee_underflow 0
		.amdhsa_exception_fp_ieee_inexact 0
		.amdhsa_exception_int_div_zero 0
	.end_amdhsa_kernel
	.section	.text._ZN9rocsparseL19gebsrmvn_4xn_kernelILj128ELj8ELj32E21rocsparse_complex_numIdEEEvi20rocsparse_direction_NS_24const_host_device_scalarIT2_EEPKiS8_PKS5_SA_S6_PS5_21rocsparse_index_base_b,"axG",@progbits,_ZN9rocsparseL19gebsrmvn_4xn_kernelILj128ELj8ELj32E21rocsparse_complex_numIdEEEvi20rocsparse_direction_NS_24const_host_device_scalarIT2_EEPKiS8_PKS5_SA_S6_PS5_21rocsparse_index_base_b,comdat
.Lfunc_end144:
	.size	_ZN9rocsparseL19gebsrmvn_4xn_kernelILj128ELj8ELj32E21rocsparse_complex_numIdEEEvi20rocsparse_direction_NS_24const_host_device_scalarIT2_EEPKiS8_PKS5_SA_S6_PS5_21rocsparse_index_base_b, .Lfunc_end144-_ZN9rocsparseL19gebsrmvn_4xn_kernelILj128ELj8ELj32E21rocsparse_complex_numIdEEEvi20rocsparse_direction_NS_24const_host_device_scalarIT2_EEPKiS8_PKS5_SA_S6_PS5_21rocsparse_index_base_b
                                        ; -- End function
	.set _ZN9rocsparseL19gebsrmvn_4xn_kernelILj128ELj8ELj32E21rocsparse_complex_numIdEEEvi20rocsparse_direction_NS_24const_host_device_scalarIT2_EEPKiS8_PKS5_SA_S6_PS5_21rocsparse_index_base_b.num_vgpr, 80
	.set _ZN9rocsparseL19gebsrmvn_4xn_kernelILj128ELj8ELj32E21rocsparse_complex_numIdEEEvi20rocsparse_direction_NS_24const_host_device_scalarIT2_EEPKiS8_PKS5_SA_S6_PS5_21rocsparse_index_base_b.num_agpr, 0
	.set _ZN9rocsparseL19gebsrmvn_4xn_kernelILj128ELj8ELj32E21rocsparse_complex_numIdEEEvi20rocsparse_direction_NS_24const_host_device_scalarIT2_EEPKiS8_PKS5_SA_S6_PS5_21rocsparse_index_base_b.numbered_sgpr, 16
	.set _ZN9rocsparseL19gebsrmvn_4xn_kernelILj128ELj8ELj32E21rocsparse_complex_numIdEEEvi20rocsparse_direction_NS_24const_host_device_scalarIT2_EEPKiS8_PKS5_SA_S6_PS5_21rocsparse_index_base_b.num_named_barrier, 0
	.set _ZN9rocsparseL19gebsrmvn_4xn_kernelILj128ELj8ELj32E21rocsparse_complex_numIdEEEvi20rocsparse_direction_NS_24const_host_device_scalarIT2_EEPKiS8_PKS5_SA_S6_PS5_21rocsparse_index_base_b.private_seg_size, 0
	.set _ZN9rocsparseL19gebsrmvn_4xn_kernelILj128ELj8ELj32E21rocsparse_complex_numIdEEEvi20rocsparse_direction_NS_24const_host_device_scalarIT2_EEPKiS8_PKS5_SA_S6_PS5_21rocsparse_index_base_b.uses_vcc, 1
	.set _ZN9rocsparseL19gebsrmvn_4xn_kernelILj128ELj8ELj32E21rocsparse_complex_numIdEEEvi20rocsparse_direction_NS_24const_host_device_scalarIT2_EEPKiS8_PKS5_SA_S6_PS5_21rocsparse_index_base_b.uses_flat_scratch, 0
	.set _ZN9rocsparseL19gebsrmvn_4xn_kernelILj128ELj8ELj32E21rocsparse_complex_numIdEEEvi20rocsparse_direction_NS_24const_host_device_scalarIT2_EEPKiS8_PKS5_SA_S6_PS5_21rocsparse_index_base_b.has_dyn_sized_stack, 0
	.set _ZN9rocsparseL19gebsrmvn_4xn_kernelILj128ELj8ELj32E21rocsparse_complex_numIdEEEvi20rocsparse_direction_NS_24const_host_device_scalarIT2_EEPKiS8_PKS5_SA_S6_PS5_21rocsparse_index_base_b.has_recursion, 0
	.set _ZN9rocsparseL19gebsrmvn_4xn_kernelILj128ELj8ELj32E21rocsparse_complex_numIdEEEvi20rocsparse_direction_NS_24const_host_device_scalarIT2_EEPKiS8_PKS5_SA_S6_PS5_21rocsparse_index_base_b.has_indirect_call, 0
	.section	.AMDGPU.csdata,"",@progbits
; Kernel info:
; codeLenInByte = 3004
; TotalNumSgprs: 18
; NumVgprs: 80
; ScratchSize: 0
; MemoryBound: 0
; FloatMode: 240
; IeeeMode: 1
; LDSByteSize: 0 bytes/workgroup (compile time only)
; SGPRBlocks: 0
; VGPRBlocks: 4
; NumSGPRsForWavesPerEU: 18
; NumVGPRsForWavesPerEU: 80
; NamedBarCnt: 0
; Occupancy: 12
; WaveLimiterHint : 1
; COMPUTE_PGM_RSRC2:SCRATCH_EN: 0
; COMPUTE_PGM_RSRC2:USER_SGPR: 2
; COMPUTE_PGM_RSRC2:TRAP_HANDLER: 0
; COMPUTE_PGM_RSRC2:TGID_X_EN: 1
; COMPUTE_PGM_RSRC2:TGID_Y_EN: 0
; COMPUTE_PGM_RSRC2:TGID_Z_EN: 0
; COMPUTE_PGM_RSRC2:TIDIG_COMP_CNT: 0
	.section	.text._ZN9rocsparseL19gebsrmvn_4xn_kernelILj128ELj8ELj64E21rocsparse_complex_numIdEEEvi20rocsparse_direction_NS_24const_host_device_scalarIT2_EEPKiS8_PKS5_SA_S6_PS5_21rocsparse_index_base_b,"axG",@progbits,_ZN9rocsparseL19gebsrmvn_4xn_kernelILj128ELj8ELj64E21rocsparse_complex_numIdEEEvi20rocsparse_direction_NS_24const_host_device_scalarIT2_EEPKiS8_PKS5_SA_S6_PS5_21rocsparse_index_base_b,comdat
	.globl	_ZN9rocsparseL19gebsrmvn_4xn_kernelILj128ELj8ELj64E21rocsparse_complex_numIdEEEvi20rocsparse_direction_NS_24const_host_device_scalarIT2_EEPKiS8_PKS5_SA_S6_PS5_21rocsparse_index_base_b ; -- Begin function _ZN9rocsparseL19gebsrmvn_4xn_kernelILj128ELj8ELj64E21rocsparse_complex_numIdEEEvi20rocsparse_direction_NS_24const_host_device_scalarIT2_EEPKiS8_PKS5_SA_S6_PS5_21rocsparse_index_base_b
	.p2align	8
	.type	_ZN9rocsparseL19gebsrmvn_4xn_kernelILj128ELj8ELj64E21rocsparse_complex_numIdEEEvi20rocsparse_direction_NS_24const_host_device_scalarIT2_EEPKiS8_PKS5_SA_S6_PS5_21rocsparse_index_base_b,@function
_ZN9rocsparseL19gebsrmvn_4xn_kernelILj128ELj8ELj64E21rocsparse_complex_numIdEEEvi20rocsparse_direction_NS_24const_host_device_scalarIT2_EEPKiS8_PKS5_SA_S6_PS5_21rocsparse_index_base_b: ; @_ZN9rocsparseL19gebsrmvn_4xn_kernelILj128ELj8ELj64E21rocsparse_complex_numIdEEEvi20rocsparse_direction_NS_24const_host_device_scalarIT2_EEPKiS8_PKS5_SA_S6_PS5_21rocsparse_index_base_b
; %bb.0:
	s_clause 0x1
	s_load_b64 s[12:13], s[0:1], 0x50
	s_load_b64 s[2:3], s[0:1], 0x8
	v_mov_b32_e32 v1, 0
	s_add_nc_u64 s[4:5], s[0:1], 8
	s_load_b64 s[6:7], s[0:1], 0x38
	s_wait_kmcnt 0x0
	s_bitcmp1_b32 s13, 0
	s_cselect_b32 s3, s5, s3
	s_cselect_b32 s2, s4, s2
	flat_load_b128 v[2:5], v1, s[2:3]
	s_wait_xcnt 0x0
	s_add_nc_u64 s[2:3], s[0:1], 56
	s_delay_alu instid0(SALU_CYCLE_1)
	s_cselect_b32 s3, s3, s7
	s_cselect_b32 s2, s2, s6
	flat_load_b128 v[6:9], v1, s[2:3]
	s_wait_loadcnt_dscnt 0x101
	v_cmp_eq_f64_e32 vcc_lo, 0, v[2:3]
	s_wait_xcnt 0x0
	v_cmp_eq_f64_e64 s2, 0, v[4:5]
	s_and_b32 s4, vcc_lo, s2
	s_mov_b32 s2, -1
	s_and_saveexec_b32 s3, s4
	s_cbranch_execz .LBB145_2
; %bb.1:
	s_wait_loadcnt_dscnt 0x0
	v_cmp_neq_f64_e32 vcc_lo, 1.0, v[6:7]
	v_cmp_neq_f64_e64 s2, 0, v[8:9]
	s_or_b32 s2, vcc_lo, s2
	s_delay_alu instid0(SALU_CYCLE_1)
	s_or_not1_b32 s2, s2, exec_lo
.LBB145_2:
	s_or_b32 exec_lo, exec_lo, s3
	s_and_saveexec_b32 s3, s2
	s_cbranch_execz .LBB145_25
; %bb.3:
	s_load_b64 s[2:3], s[0:1], 0x0
	s_bfe_u32 s4, ttmp6, 0x4000c
	s_and_b32 s5, ttmp6, 15
	s_add_co_i32 s4, s4, 1
	s_getreg_b32 s6, hwreg(HW_REG_IB_STS2, 6, 4)
	s_mul_i32 s4, ttmp9, s4
	v_lshrrev_b32_e32 v1, 6, v0
	s_add_co_i32 s5, s5, s4
	s_cmp_eq_u32 s6, 0
	s_cselect_b32 s4, ttmp9, s5
	s_delay_alu instid0(VALU_DEP_1) | instid1(SALU_CYCLE_1)
	v_lshl_or_b32 v10, s4, 1, v1
	s_wait_kmcnt 0x0
	s_delay_alu instid0(VALU_DEP_1)
	v_cmp_gt_i32_e32 vcc_lo, s2, v10
	s_and_b32 exec_lo, exec_lo, vcc_lo
	s_cbranch_execz .LBB145_25
; %bb.4:
	s_load_b256 s[4:11], s[0:1], 0x18
	v_ashrrev_i32_e32 v11, 31, v10
	s_cmp_lg_u32 s3, 0
	s_wait_kmcnt 0x0
	s_delay_alu instid0(VALU_DEP_1)
	v_lshl_add_u64 v[12:13], v[10:11], 2, s[4:5]
	v_and_b32_e32 v11, 63, v0
	global_load_b64 v[12:13], v[12:13], off
	s_wait_loadcnt 0x0
	v_subrev_nc_u32_e32 v0, s12, v12
	v_subrev_nc_u32_e32 v32, s12, v13
	s_delay_alu instid0(VALU_DEP_2) | instskip(NEXT) | instid1(VALU_DEP_1)
	v_add_nc_u32_e32 v33, v0, v11
	v_cmp_lt_i32_e64 s2, v33, v32
	s_cbranch_scc0 .LBB145_12
; %bb.5:
	v_mov_b64_e32 v[0:1], 0
	v_mov_b64_e32 v[20:21], 0
	;; [unrolled: 1-line block ×8, first 2 shown]
	s_and_saveexec_b32 s3, s2
	s_cbranch_execz .LBB145_11
; %bb.6:
	v_dual_mov_b32 v27, 0 :: v_dual_lshlrev_b32 v26, 5, v33
	v_mov_b64_e32 v[0:1], 0
	v_mov_b64_e32 v[20:21], 0
	;; [unrolled: 1-line block ×8, first 2 shown]
	v_dual_mov_b32 v35, v33 :: v_dual_bitop2_b32 v34, 4, v26 bitop3:0x54
	s_add_nc_u64 s[4:5], s[10:11], 16
	s_mov_b32 s13, 0
.LBB145_7:                              ; =>This Loop Header: Depth=1
                                        ;     Child Loop BB145_8 Depth 2
	global_load_b32 v28, v35, s[6:7] scale_offset
	v_mov_b32_e32 v36, v34
	s_mov_b64 s[14:15], 0
	s_wait_loadcnt 0x0
	v_subrev_nc_u32_e32 v28, s12, v28
	s_delay_alu instid0(VALU_DEP_1) | instskip(SKIP_1) | instid1(VALU_DEP_2)
	v_dual_mov_b32 v31, v27 :: v_dual_lshlrev_b32 v30, 3, v28
	v_lshl_add_u64 v[28:29], v[26:27], 4, s[8:9]
	v_lshl_add_u64 v[30:31], v[30:31], 4, s[4:5]
.LBB145_8:                              ;   Parent Loop BB145_7 Depth=1
                                        ; =>  This Inner Loop Header: Depth=2
	s_delay_alu instid0(VALU_DEP_2)
	v_add_nc_u64_e32 v[78:79], s[14:15], v[28:29]
	s_add_nc_u64 s[14:15], s[14:15], 0x80
	s_clause 0x1
	global_load_b128 v[38:41], v[30:31], off
	global_load_b128 v[42:45], v[30:31], off offset:-16
	s_clause 0x7
	global_load_b128 v[46:49], v[78:79], off
	global_load_b128 v[50:53], v[78:79], off offset:16
	global_load_b128 v[54:57], v[78:79], off offset:32
	;; [unrolled: 1-line block ×3, first 2 shown]
	global_load_b128 v[62:65], v36, s[8:9] scale_offset
	global_load_b128 v[66:69], v36, s[8:9] offset:16 scale_offset
	global_load_b128 v[70:73], v36, s[8:9] offset:32 scale_offset
	;; [unrolled: 1-line block ×3, first 2 shown]
	s_wait_xcnt 0x8
	v_add_nc_u64_e32 v[30:31], 32, v[30:31]
	s_wait_xcnt 0x0
	v_add_nc_u32_e32 v36, 8, v36
	s_cmp_eq_u32 s14, 0x200
	s_wait_loadcnt 0x7
	v_fmac_f64_e32 v[20:21], v[46:47], v[42:43]
	v_fmac_f64_e32 v[0:1], v[48:49], v[42:43]
	s_wait_loadcnt 0x6
	v_fmac_f64_e32 v[24:25], v[50:51], v[42:43]
	v_fmac_f64_e32 v[16:17], v[52:53], v[42:43]
	;; [unrolled: 3-line block ×4, first 2 shown]
	v_fma_f64 v[20:21], -v[48:49], v[44:45], v[20:21]
	v_fmac_f64_e32 v[0:1], v[46:47], v[44:45]
	v_fma_f64 v[24:25], -v[52:53], v[44:45], v[24:25]
	v_fmac_f64_e32 v[16:17], v[50:51], v[44:45]
	;; [unrolled: 2-line block ×4, first 2 shown]
	s_wait_loadcnt 0x3
	v_fmac_f64_e32 v[20:21], v[62:63], v[38:39]
	v_fmac_f64_e32 v[0:1], v[64:65], v[38:39]
	s_wait_loadcnt 0x2
	v_fmac_f64_e32 v[24:25], v[66:67], v[38:39]
	v_fmac_f64_e32 v[16:17], v[68:69], v[38:39]
	;; [unrolled: 3-line block ×4, first 2 shown]
	v_fma_f64 v[20:21], -v[64:65], v[40:41], v[20:21]
	v_fmac_f64_e32 v[0:1], v[62:63], v[40:41]
	v_fma_f64 v[24:25], -v[68:69], v[40:41], v[24:25]
	v_fmac_f64_e32 v[16:17], v[66:67], v[40:41]
	v_fma_f64 v[22:23], -v[72:73], v[40:41], v[22:23]
	v_fmac_f64_e32 v[14:15], v[70:71], v[40:41]
	v_fma_f64 v[18:19], -v[76:77], v[40:41], v[18:19]
	v_fmac_f64_e32 v[12:13], v[74:75], v[40:41]
	s_cbranch_scc0 .LBB145_8
; %bb.9:                                ;   in Loop: Header=BB145_7 Depth=1
	v_add_nc_u32_e32 v35, 64, v35
	v_add_nc_u32_e32 v34, 0x800, v34
	;; [unrolled: 1-line block ×3, first 2 shown]
	s_delay_alu instid0(VALU_DEP_3) | instskip(SKIP_1) | instid1(SALU_CYCLE_1)
	v_cmp_ge_i32_e32 vcc_lo, v35, v32
	s_or_b32 s13, vcc_lo, s13
	s_and_not1_b32 exec_lo, exec_lo, s13
	s_cbranch_execnz .LBB145_7
; %bb.10:
	s_or_b32 exec_lo, exec_lo, s13
.LBB145_11:
	s_delay_alu instid0(SALU_CYCLE_1)
	s_or_b32 exec_lo, exec_lo, s3
	s_cbranch_execz .LBB145_13
	s_branch .LBB145_20
.LBB145_12:
                                        ; implicit-def: $vgpr0_vgpr1
                                        ; implicit-def: $vgpr20_vgpr21
                                        ; implicit-def: $vgpr18_vgpr19
                                        ; implicit-def: $vgpr12_vgpr13
                                        ; implicit-def: $vgpr22_vgpr23
                                        ; implicit-def: $vgpr14_vgpr15
                                        ; implicit-def: $vgpr24_vgpr25
                                        ; implicit-def: $vgpr16_vgpr17
.LBB145_13:
	v_mov_b64_e32 v[0:1], 0
	v_mov_b64_e32 v[20:21], 0
	v_mov_b64_e32 v[18:19], 0
	v_mov_b64_e32 v[12:13], 0
	v_mov_b64_e32 v[22:23], 0
	v_mov_b64_e32 v[14:15], 0
	v_mov_b64_e32 v[24:25], 0
	v_mov_b64_e32 v[16:17], 0
	s_and_saveexec_b32 s4, s2
	s_cbranch_execz .LBB145_19
; %bb.14:
	v_mov_b64_e32 v[0:1], 0
	v_mov_b64_e32 v[20:21], 0
	;; [unrolled: 1-line block ×8, first 2 shown]
	v_dual_mov_b32 v27, 0 :: v_dual_lshlrev_b32 v26, 5, v33
	s_mov_b32 s5, 0
.LBB145_15:                             ; =>This Loop Header: Depth=1
                                        ;     Child Loop BB145_16 Depth 2
	global_load_b32 v28, v33, s[6:7] scale_offset
	s_mov_b64 s[2:3], 0
	v_mov_b32_e32 v31, v27
	s_wait_loadcnt 0x0
	v_subrev_nc_u32_e32 v28, s12, v28
	s_delay_alu instid0(VALU_DEP_1) | instskip(SKIP_1) | instid1(VALU_DEP_2)
	v_lshlrev_b32_e32 v30, 3, v28
	v_lshl_add_u64 v[28:29], v[26:27], 4, s[8:9]
	v_lshl_add_u64 v[30:31], v[30:31], 4, s[10:11]
.LBB145_16:                             ;   Parent Loop BB145_15 Depth=1
                                        ; =>  This Inner Loop Header: Depth=2
	s_delay_alu instid0(VALU_DEP_2) | instskip(NEXT) | instid1(VALU_DEP_2)
	v_add_nc_u64_e32 v[74:75], s[2:3], v[28:29]
	v_add_nc_u64_e32 v[76:77], s[2:3], v[30:31]
	s_add_nc_u64 s[2:3], s[2:3], 32
	global_load_b128 v[34:37], v[74:75], off
	global_load_b128 v[38:41], v[76:77], off
	s_clause 0x3
	global_load_b128 v[42:45], v[74:75], off offset:128
	global_load_b128 v[46:49], v[74:75], off offset:256
	;; [unrolled: 1-line block ×5, first 2 shown]
	s_clause 0x2
	global_load_b128 v[62:65], v[74:75], off offset:144
	global_load_b128 v[66:69], v[74:75], off offset:272
	;; [unrolled: 1-line block ×3, first 2 shown]
	s_cmp_eq_u32 s2, 0x80
	s_wait_loadcnt 0x8
	v_fmac_f64_e32 v[20:21], v[34:35], v[38:39]
	v_fmac_f64_e32 v[0:1], v[36:37], v[38:39]
	s_wait_loadcnt 0x7
	v_fmac_f64_e32 v[24:25], v[42:43], v[38:39]
	v_fmac_f64_e32 v[16:17], v[44:45], v[38:39]
	;; [unrolled: 3-line block ×4, first 2 shown]
	v_fma_f64 v[20:21], -v[36:37], v[40:41], v[20:21]
	v_fmac_f64_e32 v[0:1], v[34:35], v[40:41]
	v_fma_f64 v[24:25], -v[44:45], v[40:41], v[24:25]
	v_fmac_f64_e32 v[16:17], v[42:43], v[40:41]
	;; [unrolled: 2-line block ×4, first 2 shown]
	s_wait_loadcnt 0x3
	v_fmac_f64_e32 v[20:21], v[54:55], v[58:59]
	v_fmac_f64_e32 v[0:1], v[56:57], v[58:59]
	s_wait_loadcnt 0x2
	v_fmac_f64_e32 v[24:25], v[62:63], v[58:59]
	v_fmac_f64_e32 v[16:17], v[64:65], v[58:59]
	;; [unrolled: 3-line block ×4, first 2 shown]
	v_fma_f64 v[20:21], -v[56:57], v[60:61], v[20:21]
	v_fmac_f64_e32 v[0:1], v[54:55], v[60:61]
	v_fma_f64 v[24:25], -v[64:65], v[60:61], v[24:25]
	v_fmac_f64_e32 v[16:17], v[62:63], v[60:61]
	;; [unrolled: 2-line block ×4, first 2 shown]
	s_cbranch_scc0 .LBB145_16
; %bb.17:                               ;   in Loop: Header=BB145_15 Depth=1
	v_add_nc_u32_e32 v33, 64, v33
	v_add_nc_u32_e32 v26, 0x800, v26
	s_delay_alu instid0(VALU_DEP_2) | instskip(SKIP_1) | instid1(SALU_CYCLE_1)
	v_cmp_ge_i32_e32 vcc_lo, v33, v32
	s_or_b32 s5, vcc_lo, s5
	s_and_not1_b32 exec_lo, exec_lo, s5
	s_cbranch_execnz .LBB145_15
; %bb.18:
	s_or_b32 exec_lo, exec_lo, s5
.LBB145_19:
	s_delay_alu instid0(SALU_CYCLE_1)
	s_or_b32 exec_lo, exec_lo, s4
.LBB145_20:
	v_mbcnt_lo_u32_b32 v44, -1, 0
	s_delay_alu instid0(VALU_DEP_1) | instskip(NEXT) | instid1(VALU_DEP_1)
	v_or_b32_e32 v26, 32, v44
	v_cmp_gt_i32_e32 vcc_lo, 32, v26
	v_cndmask_b32_e32 v26, v44, v26, vcc_lo
	s_delay_alu instid0(VALU_DEP_1)
	v_lshlrev_b32_e32 v41, 2, v26
	ds_bpermute_b32 v28, v41, v0
	ds_bpermute_b32 v29, v41, v1
	s_wait_dscnt 0x0
	v_add_f64_e32 v[0:1], v[0:1], v[28:29]
	ds_bpermute_b32 v26, v41, v20
	ds_bpermute_b32 v27, v41, v21
	ds_bpermute_b32 v36, v41, v14
	ds_bpermute_b32 v37, v41, v15
	ds_bpermute_b32 v30, v41, v24
	ds_bpermute_b32 v31, v41, v25
	ds_bpermute_b32 v32, v41, v16
	ds_bpermute_b32 v33, v41, v17
	ds_bpermute_b32 v34, v41, v22
	ds_bpermute_b32 v35, v41, v23
	ds_bpermute_b32 v38, v41, v18
	ds_bpermute_b32 v39, v41, v19
	ds_bpermute_b32 v40, v41, v12
	ds_bpermute_b32 v41, v41, v13
	s_wait_dscnt 0xc
	v_dual_add_f64 v[20:21], v[20:21], v[26:27] :: v_dual_bitop2_b32 v26, 16, v44 bitop3:0x14
	s_wait_dscnt 0xa
	v_add_f64_e32 v[14:15], v[14:15], v[36:37]
	s_wait_dscnt 0x8
	v_add_f64_e32 v[24:25], v[24:25], v[30:31]
	v_cmp_gt_i32_e32 vcc_lo, 32, v26
	s_wait_dscnt 0x4
	v_add_f64_e32 v[22:23], v[22:23], v[34:35]
	s_wait_dscnt 0x2
	v_add_f64_e32 v[18:19], v[18:19], v[38:39]
	v_cndmask_b32_e32 v26, v44, v26, vcc_lo
	v_add_f64_e32 v[16:17], v[16:17], v[32:33]
	s_wait_dscnt 0x0
	s_delay_alu instid0(VALU_DEP_2)
	v_dual_add_f64 v[12:13], v[12:13], v[40:41] :: v_dual_lshlrev_b32 v41, 2, v26
	ds_bpermute_b32 v28, v41, v0
	ds_bpermute_b32 v29, v41, v1
	;; [unrolled: 1-line block ×13, first 2 shown]
	s_wait_dscnt 0x9
	v_dual_add_f64 v[20:21], v[20:21], v[26:27] :: v_dual_bitop2_b32 v26, 8, v44 bitop3:0x14
	ds_bpermute_b32 v34, v41, v22
	ds_bpermute_b32 v35, v41, v23
	;; [unrolled: 1-line block ×3, first 2 shown]
	s_wait_dscnt 0xa
	v_add_f64_e32 v[14:15], v[14:15], v[36:37]
	v_cmp_gt_i32_e32 vcc_lo, 32, v26
	s_wait_dscnt 0x8
	v_add_f64_e32 v[24:25], v[24:25], v[30:31]
	v_cndmask_b32_e32 v26, v44, v26, vcc_lo
	s_wait_dscnt 0x4
	v_add_f64_e32 v[16:17], v[16:17], v[32:33]
	s_wait_dscnt 0x1
	v_add_f64_e32 v[22:23], v[22:23], v[34:35]
	s_wait_dscnt 0x0
	v_dual_add_f64 v[12:13], v[12:13], v[40:41] :: v_dual_lshlrev_b32 v41, 2, v26
	ds_bpermute_b32 v26, v41, v20
	ds_bpermute_b32 v27, v41, v21
	;; [unrolled: 1-line block ×8, first 2 shown]
	s_wait_dscnt 0x6
	v_dual_add_f64 v[20:21], v[20:21], v[26:27] :: v_dual_bitop2_b32 v26, 4, v44 bitop3:0x14
	v_add_f64_e32 v[18:19], v[18:19], v[38:39]
	ds_bpermute_b32 v34, v41, v22
	ds_bpermute_b32 v35, v41, v23
	s_wait_dscnt 0x6
	v_add_f64_e32 v[14:15], v[14:15], v[36:37]
	v_cmp_gt_i32_e32 vcc_lo, 32, v26
	ds_bpermute_b32 v40, v41, v12
	s_wait_dscnt 0x5
	v_add_f64_e32 v[24:25], v[24:25], v[30:31]
	v_cndmask_b32_e32 v26, v44, v26, vcc_lo
	v_add_f64_e32 v[0:1], v[0:1], v[28:29]
	s_wait_dscnt 0x3
	v_add_f64_e32 v[16:17], v[16:17], v[32:33]
	ds_bpermute_b32 v38, v41, v18
	ds_bpermute_b32 v39, v41, v19
	;; [unrolled: 1-line block ×5, first 2 shown]
	s_wait_dscnt 0x0
	v_dual_add_f64 v[12:13], v[12:13], v[40:41] :: v_dual_lshlrev_b32 v41, 2, v26
	v_add_f64_e32 v[0:1], v[0:1], v[28:29]
	ds_bpermute_b32 v26, v41, v20
	ds_bpermute_b32 v27, v41, v21
	;; [unrolled: 1-line block ×8, first 2 shown]
	s_wait_dscnt 0x6
	v_add_f64_e32 v[20:21], v[20:21], v[26:27]
	s_wait_dscnt 0x2
	v_add_f64_e32 v[16:17], v[16:17], v[32:33]
	ds_bpermute_b32 v40, v41, v12
	s_wait_dscnt 0x1
	v_add_f64_e32 v[32:33], v[14:15], v[36:37]
	ds_bpermute_b32 v28, v41, v0
	ds_bpermute_b32 v29, v41, v1
	s_wait_dscnt 0x0
	v_add_f64_e32 v[26:27], v[0:1], v[28:29]
	v_dual_add_f64 v[28:29], v[24:25], v[30:31] :: v_dual_bitop2_b32 v0, 2, v44 bitop3:0x14
	s_delay_alu instid0(VALU_DEP_1) | instskip(SKIP_1) | instid1(VALU_DEP_1)
	v_cmp_gt_i32_e32 vcc_lo, 32, v0
	v_dual_add_f64 v[22:23], v[22:23], v[34:35] :: v_dual_cndmask_b32 v0, v44, v0, vcc_lo
	v_dual_add_f64 v[18:19], v[18:19], v[38:39] :: v_dual_lshlrev_b32 v24, 2, v0
	ds_bpermute_b32 v0, v24, v20
	ds_bpermute_b32 v1, v24, v21
	;; [unrolled: 1-line block ×4, first 2 shown]
	s_wait_dscnt 0x2
	v_add_f64_e32 v[0:1], v[20:21], v[0:1]
	ds_bpermute_b32 v34, v41, v22
	ds_bpermute_b32 v35, v41, v23
	;; [unrolled: 1-line block ×5, first 2 shown]
	s_wait_dscnt 0x3
	v_add_f64_e32 v[30:31], v[22:23], v[34:35]
	ds_bpermute_b32 v22, v24, v16
	ds_bpermute_b32 v23, v24, v17
	s_wait_dscnt 0x3
	v_add_f64_e32 v[18:19], v[18:19], v[38:39]
	s_wait_dscnt 0x2
	v_add_f64_e32 v[34:35], v[12:13], v[40:41]
	ds_bpermute_b32 v12, v24, v26
	ds_bpermute_b32 v13, v24, v27
	;; [unrolled: 1-line block ×4, first 2 shown]
	s_wait_dscnt 0x4
	v_add_f64_e32 v[22:23], v[16:17], v[22:23]
	s_wait_dscnt 0x0
	v_add_f64_e32 v[20:21], v[32:33], v[38:39]
	ds_bpermute_b32 v36, v24, v30
	ds_bpermute_b32 v37, v24, v31
	;; [unrolled: 1-line block ×6, first 2 shown]
	v_add_f64_e32 v[24:25], v[26:27], v[12:13]
	v_dual_add_f64 v[12:13], v[28:29], v[14:15] :: v_dual_bitop2_b32 v26, 1, v44 bitop3:0x14
	s_delay_alu instid0(VALU_DEP_1) | instskip(SKIP_4) | instid1(VALU_DEP_2)
	v_cmp_gt_i32_e32 vcc_lo, 32, v26
	s_wait_dscnt 0x4
	v_dual_add_f64 v[14:15], v[30:31], v[36:37] :: v_dual_cndmask_b32 v26, v44, v26, vcc_lo
	v_cmp_eq_u32_e32 vcc_lo, 63, v11
	s_wait_dscnt 0x2
	v_dual_add_f64 v[16:17], v[18:19], v[40:41] :: v_dual_lshlrev_b32 v29, 2, v26
	s_wait_dscnt 0x0
	v_add_f64_e32 v[18:19], v[34:35], v[42:43]
	ds_bpermute_b32 v40, v29, v0
	ds_bpermute_b32 v41, v29, v1
	;; [unrolled: 1-line block ×16, first 2 shown]
	s_and_b32 exec_lo, exec_lo, vcc_lo
	s_cbranch_execz .LBB145_25
; %bb.21:
	v_cmp_eq_f64_e32 vcc_lo, 0, v[6:7]
	v_cmp_eq_f64_e64 s2, 0, v[8:9]
	s_wait_dscnt 0xe
	v_add_f64_e32 v[0:1], v[0:1], v[40:41]
	s_wait_dscnt 0x8
	v_add_f64_e32 v[24:25], v[24:25], v[38:39]
	;; [unrolled: 2-line block ×3, first 2 shown]
	v_add_f64_e32 v[22:23], v[22:23], v[34:35]
	s_wait_dscnt 0x4
	v_add_f64_e32 v[14:15], v[14:15], v[32:33]
	v_add_f64_e32 v[20:21], v[20:21], v[30:31]
	s_wait_dscnt 0x2
	v_add_f64_e32 v[16:17], v[16:17], v[26:27]
	s_wait_dscnt 0x0
	v_add_f64_e32 v[18:19], v[18:19], v[28:29]
	s_load_b64 s[0:1], s[0:1], 0x48
	s_and_b32 s2, vcc_lo, s2
	s_delay_alu instid0(SALU_CYCLE_1) | instskip(NEXT) | instid1(SALU_CYCLE_1)
	s_and_saveexec_b32 s3, s2
	s_xor_b32 s2, exec_lo, s3
	s_cbranch_execz .LBB145_23
; %bb.22:
	v_mul_f64_e64 v[6:7], v[24:25], -v[4:5]
	v_mul_f64_e32 v[8:9], v[2:3], v[24:25]
	v_mul_f64_e64 v[24:25], v[22:23], -v[4:5]
	v_mul_f64_e32 v[26:27], v[2:3], v[22:23]
	;; [unrolled: 2-line block ×4, first 2 shown]
                                        ; implicit-def: $vgpr18_vgpr19
	v_fmac_f64_e32 v[6:7], v[2:3], v[0:1]
	v_fmac_f64_e32 v[8:9], v[4:5], v[0:1]
	;; [unrolled: 1-line block ×8, first 2 shown]
	v_lshlrev_b32_e32 v0, 2, v10
                                        ; implicit-def: $vgpr10
                                        ; implicit-def: $vgpr12_vgpr13
                                        ; implicit-def: $vgpr14_vgpr15
                                        ; implicit-def: $vgpr16_vgpr17
                                        ; implicit-def: $vgpr4_vgpr5
	s_wait_kmcnt 0x0
	s_clause 0x3
	global_store_b128 v0, v[6:9], s[0:1] scale_offset
	global_store_b128 v0, v[24:27], s[0:1] offset:16 scale_offset
	global_store_b128 v0, v[28:31], s[0:1] offset:32 scale_offset
	;; [unrolled: 1-line block ×3, first 2 shown]
                                        ; implicit-def: $vgpr0_vgpr1
                                        ; implicit-def: $vgpr24_vgpr25
                                        ; implicit-def: $vgpr22_vgpr23
                                        ; implicit-def: $vgpr20_vgpr21
                                        ; implicit-def: $vgpr8_vgpr9
.LBB145_23:
	s_wait_xcnt 0x0
	s_and_not1_saveexec_b32 s2, s2
	s_cbranch_execz .LBB145_25
; %bb.24:
	v_dual_mul_f64 v[42:43], v[24:25], -v[4:5] :: v_dual_lshlrev_b32 v52, 2, v10
	v_mul_f64_e32 v[24:25], v[2:3], v[24:25]
	v_mul_f64_e64 v[46:47], v[22:23], -v[4:5]
	v_mul_f64_e32 v[44:45], v[2:3], v[22:23]
	s_wait_kmcnt 0x0
	s_clause 0x3
	global_load_b128 v[26:29], v52, s[0:1] scale_offset
	global_load_b128 v[30:33], v52, s[0:1] offset:16 scale_offset
	global_load_b128 v[34:37], v52, s[0:1] offset:32 scale_offset
	;; [unrolled: 1-line block ×3, first 2 shown]
	v_mul_f64_e64 v[48:49], v[20:21], -v[4:5]
	v_mul_f64_e32 v[20:21], v[2:3], v[20:21]
	v_mul_f64_e64 v[50:51], v[18:19], -v[4:5]
	v_mul_f64_e32 v[10:11], v[2:3], v[18:19]
	v_fmac_f64_e32 v[42:43], v[2:3], v[0:1]
	v_fmac_f64_e32 v[24:25], v[4:5], v[0:1]
	;; [unrolled: 1-line block ×8, first 2 shown]
	s_wait_loadcnt 0x3
	v_fmac_f64_e32 v[42:43], v[6:7], v[26:27]
	v_fmac_f64_e32 v[24:25], v[8:9], v[26:27]
	s_wait_loadcnt 0x2
	v_fmac_f64_e32 v[46:47], v[6:7], v[30:31]
	v_fmac_f64_e32 v[44:45], v[8:9], v[30:31]
	;; [unrolled: 3-line block ×4, first 2 shown]
	v_fma_f64 v[22:23], -v[8:9], v[28:29], v[42:43]
	v_fmac_f64_e32 v[24:25], v[6:7], v[28:29]
	v_fma_f64 v[42:43], -v[8:9], v[32:33], v[46:47]
	v_fmac_f64_e32 v[44:45], v[6:7], v[32:33]
	;; [unrolled: 2-line block ×4, first 2 shown]
	s_clause 0x3
	global_store_b128 v52, v[22:25], s[0:1] scale_offset
	global_store_b128 v52, v[42:45], s[0:1] offset:16 scale_offset
	global_store_b128 v52, v[18:21], s[0:1] offset:32 scale_offset
	;; [unrolled: 1-line block ×3, first 2 shown]
.LBB145_25:
	s_sendmsg sendmsg(MSG_DEALLOC_VGPRS)
	s_endpgm
	.section	.rodata,"a",@progbits
	.p2align	6, 0x0
	.amdhsa_kernel _ZN9rocsparseL19gebsrmvn_4xn_kernelILj128ELj8ELj64E21rocsparse_complex_numIdEEEvi20rocsparse_direction_NS_24const_host_device_scalarIT2_EEPKiS8_PKS5_SA_S6_PS5_21rocsparse_index_base_b
		.amdhsa_group_segment_fixed_size 0
		.amdhsa_private_segment_fixed_size 0
		.amdhsa_kernarg_size 88
		.amdhsa_user_sgpr_count 2
		.amdhsa_user_sgpr_dispatch_ptr 0
		.amdhsa_user_sgpr_queue_ptr 0
		.amdhsa_user_sgpr_kernarg_segment_ptr 1
		.amdhsa_user_sgpr_dispatch_id 0
		.amdhsa_user_sgpr_kernarg_preload_length 0
		.amdhsa_user_sgpr_kernarg_preload_offset 0
		.amdhsa_user_sgpr_private_segment_size 0
		.amdhsa_wavefront_size32 1
		.amdhsa_uses_dynamic_stack 0
		.amdhsa_enable_private_segment 0
		.amdhsa_system_sgpr_workgroup_id_x 1
		.amdhsa_system_sgpr_workgroup_id_y 0
		.amdhsa_system_sgpr_workgroup_id_z 0
		.amdhsa_system_sgpr_workgroup_info 0
		.amdhsa_system_vgpr_workitem_id 0
		.amdhsa_next_free_vgpr 80
		.amdhsa_next_free_sgpr 16
		.amdhsa_named_barrier_count 0
		.amdhsa_reserve_vcc 1
		.amdhsa_float_round_mode_32 0
		.amdhsa_float_round_mode_16_64 0
		.amdhsa_float_denorm_mode_32 3
		.amdhsa_float_denorm_mode_16_64 3
		.amdhsa_fp16_overflow 0
		.amdhsa_memory_ordered 1
		.amdhsa_forward_progress 1
		.amdhsa_inst_pref_size 26
		.amdhsa_round_robin_scheduling 0
		.amdhsa_exception_fp_ieee_invalid_op 0
		.amdhsa_exception_fp_denorm_src 0
		.amdhsa_exception_fp_ieee_div_zero 0
		.amdhsa_exception_fp_ieee_overflow 0
		.amdhsa_exception_fp_ieee_underflow 0
		.amdhsa_exception_fp_ieee_inexact 0
		.amdhsa_exception_int_div_zero 0
	.end_amdhsa_kernel
	.section	.text._ZN9rocsparseL19gebsrmvn_4xn_kernelILj128ELj8ELj64E21rocsparse_complex_numIdEEEvi20rocsparse_direction_NS_24const_host_device_scalarIT2_EEPKiS8_PKS5_SA_S6_PS5_21rocsparse_index_base_b,"axG",@progbits,_ZN9rocsparseL19gebsrmvn_4xn_kernelILj128ELj8ELj64E21rocsparse_complex_numIdEEEvi20rocsparse_direction_NS_24const_host_device_scalarIT2_EEPKiS8_PKS5_SA_S6_PS5_21rocsparse_index_base_b,comdat
.Lfunc_end145:
	.size	_ZN9rocsparseL19gebsrmvn_4xn_kernelILj128ELj8ELj64E21rocsparse_complex_numIdEEEvi20rocsparse_direction_NS_24const_host_device_scalarIT2_EEPKiS8_PKS5_SA_S6_PS5_21rocsparse_index_base_b, .Lfunc_end145-_ZN9rocsparseL19gebsrmvn_4xn_kernelILj128ELj8ELj64E21rocsparse_complex_numIdEEEvi20rocsparse_direction_NS_24const_host_device_scalarIT2_EEPKiS8_PKS5_SA_S6_PS5_21rocsparse_index_base_b
                                        ; -- End function
	.set _ZN9rocsparseL19gebsrmvn_4xn_kernelILj128ELj8ELj64E21rocsparse_complex_numIdEEEvi20rocsparse_direction_NS_24const_host_device_scalarIT2_EEPKiS8_PKS5_SA_S6_PS5_21rocsparse_index_base_b.num_vgpr, 80
	.set _ZN9rocsparseL19gebsrmvn_4xn_kernelILj128ELj8ELj64E21rocsparse_complex_numIdEEEvi20rocsparse_direction_NS_24const_host_device_scalarIT2_EEPKiS8_PKS5_SA_S6_PS5_21rocsparse_index_base_b.num_agpr, 0
	.set _ZN9rocsparseL19gebsrmvn_4xn_kernelILj128ELj8ELj64E21rocsparse_complex_numIdEEEvi20rocsparse_direction_NS_24const_host_device_scalarIT2_EEPKiS8_PKS5_SA_S6_PS5_21rocsparse_index_base_b.numbered_sgpr, 16
	.set _ZN9rocsparseL19gebsrmvn_4xn_kernelILj128ELj8ELj64E21rocsparse_complex_numIdEEEvi20rocsparse_direction_NS_24const_host_device_scalarIT2_EEPKiS8_PKS5_SA_S6_PS5_21rocsparse_index_base_b.num_named_barrier, 0
	.set _ZN9rocsparseL19gebsrmvn_4xn_kernelILj128ELj8ELj64E21rocsparse_complex_numIdEEEvi20rocsparse_direction_NS_24const_host_device_scalarIT2_EEPKiS8_PKS5_SA_S6_PS5_21rocsparse_index_base_b.private_seg_size, 0
	.set _ZN9rocsparseL19gebsrmvn_4xn_kernelILj128ELj8ELj64E21rocsparse_complex_numIdEEEvi20rocsparse_direction_NS_24const_host_device_scalarIT2_EEPKiS8_PKS5_SA_S6_PS5_21rocsparse_index_base_b.uses_vcc, 1
	.set _ZN9rocsparseL19gebsrmvn_4xn_kernelILj128ELj8ELj64E21rocsparse_complex_numIdEEEvi20rocsparse_direction_NS_24const_host_device_scalarIT2_EEPKiS8_PKS5_SA_S6_PS5_21rocsparse_index_base_b.uses_flat_scratch, 0
	.set _ZN9rocsparseL19gebsrmvn_4xn_kernelILj128ELj8ELj64E21rocsparse_complex_numIdEEEvi20rocsparse_direction_NS_24const_host_device_scalarIT2_EEPKiS8_PKS5_SA_S6_PS5_21rocsparse_index_base_b.has_dyn_sized_stack, 0
	.set _ZN9rocsparseL19gebsrmvn_4xn_kernelILj128ELj8ELj64E21rocsparse_complex_numIdEEEvi20rocsparse_direction_NS_24const_host_device_scalarIT2_EEPKiS8_PKS5_SA_S6_PS5_21rocsparse_index_base_b.has_recursion, 0
	.set _ZN9rocsparseL19gebsrmvn_4xn_kernelILj128ELj8ELj64E21rocsparse_complex_numIdEEEvi20rocsparse_direction_NS_24const_host_device_scalarIT2_EEPKiS8_PKS5_SA_S6_PS5_21rocsparse_index_base_b.has_indirect_call, 0
	.section	.AMDGPU.csdata,"",@progbits
; Kernel info:
; codeLenInByte = 3220
; TotalNumSgprs: 18
; NumVgprs: 80
; ScratchSize: 0
; MemoryBound: 0
; FloatMode: 240
; IeeeMode: 1
; LDSByteSize: 0 bytes/workgroup (compile time only)
; SGPRBlocks: 0
; VGPRBlocks: 4
; NumSGPRsForWavesPerEU: 18
; NumVGPRsForWavesPerEU: 80
; NamedBarCnt: 0
; Occupancy: 12
; WaveLimiterHint : 1
; COMPUTE_PGM_RSRC2:SCRATCH_EN: 0
; COMPUTE_PGM_RSRC2:USER_SGPR: 2
; COMPUTE_PGM_RSRC2:TRAP_HANDLER: 0
; COMPUTE_PGM_RSRC2:TGID_X_EN: 1
; COMPUTE_PGM_RSRC2:TGID_Y_EN: 0
; COMPUTE_PGM_RSRC2:TGID_Z_EN: 0
; COMPUTE_PGM_RSRC2:TIDIG_COMP_CNT: 0
	.section	.text._ZN9rocsparseL23gebsrmvn_general_kernelILj64ELj16E21rocsparse_complex_numIdEEEvi20rocsparse_direction_NS_24const_host_device_scalarIT1_EEPKiS8_PKS5_iiSA_S6_PS5_21rocsparse_index_base_b,"axG",@progbits,_ZN9rocsparseL23gebsrmvn_general_kernelILj64ELj16E21rocsparse_complex_numIdEEEvi20rocsparse_direction_NS_24const_host_device_scalarIT1_EEPKiS8_PKS5_iiSA_S6_PS5_21rocsparse_index_base_b,comdat
	.globl	_ZN9rocsparseL23gebsrmvn_general_kernelILj64ELj16E21rocsparse_complex_numIdEEEvi20rocsparse_direction_NS_24const_host_device_scalarIT1_EEPKiS8_PKS5_iiSA_S6_PS5_21rocsparse_index_base_b ; -- Begin function _ZN9rocsparseL23gebsrmvn_general_kernelILj64ELj16E21rocsparse_complex_numIdEEEvi20rocsparse_direction_NS_24const_host_device_scalarIT1_EEPKiS8_PKS5_iiSA_S6_PS5_21rocsparse_index_base_b
	.p2align	8
	.type	_ZN9rocsparseL23gebsrmvn_general_kernelILj64ELj16E21rocsparse_complex_numIdEEEvi20rocsparse_direction_NS_24const_host_device_scalarIT1_EEPKiS8_PKS5_iiSA_S6_PS5_21rocsparse_index_base_b,@function
_ZN9rocsparseL23gebsrmvn_general_kernelILj64ELj16E21rocsparse_complex_numIdEEEvi20rocsparse_direction_NS_24const_host_device_scalarIT1_EEPKiS8_PKS5_iiSA_S6_PS5_21rocsparse_index_base_b: ; @_ZN9rocsparseL23gebsrmvn_general_kernelILj64ELj16E21rocsparse_complex_numIdEEEvi20rocsparse_direction_NS_24const_host_device_scalarIT1_EEPKiS8_PKS5_iiSA_S6_PS5_21rocsparse_index_base_b
; %bb.0:
	s_clause 0x1
	s_load_b64 s[8:9], s[0:1], 0x58
	s_load_b64 s[2:3], s[0:1], 0x8
	v_mov_b32_e32 v1, 0
	s_add_nc_u64 s[4:5], s[0:1], 8
	s_load_b64 s[6:7], s[0:1], 0x40
	s_wait_kmcnt 0x0
	s_bitcmp1_b32 s9, 0
	s_cselect_b32 s3, s5, s3
	s_cselect_b32 s2, s4, s2
	flat_load_b128 v[2:5], v1, s[2:3]
	s_wait_xcnt 0x0
	s_add_nc_u64 s[2:3], s[0:1], 64
	s_delay_alu instid0(SALU_CYCLE_1)
	s_cselect_b32 s3, s3, s7
	s_cselect_b32 s2, s2, s6
	flat_load_b128 v[6:9], v1, s[2:3]
	s_wait_loadcnt_dscnt 0x101
	v_cmp_eq_f64_e32 vcc_lo, 0, v[2:3]
	s_wait_xcnt 0x0
	v_cmp_eq_f64_e64 s2, 0, v[4:5]
	s_and_b32 s4, vcc_lo, s2
	s_mov_b32 s2, -1
	s_and_saveexec_b32 s3, s4
	s_cbranch_execz .LBB146_2
; %bb.1:
	s_wait_loadcnt_dscnt 0x0
	v_cmp_neq_f64_e32 vcc_lo, 1.0, v[6:7]
	v_cmp_neq_f64_e64 s2, 0, v[8:9]
	s_or_b32 s2, vcc_lo, s2
	s_delay_alu instid0(SALU_CYCLE_1)
	s_or_not1_b32 s2, s2, exec_lo
.LBB146_2:
	s_or_b32 exec_lo, exec_lo, s3
	s_and_saveexec_b32 s3, s2
	s_cbranch_execz .LBB146_22
; %bb.3:
	s_load_b64 s[10:11], s[0:1], 0x30
	v_lshrrev_b32_e32 v16, 4, v0
	s_wait_kmcnt 0x0
	s_delay_alu instid0(VALU_DEP_1)
	v_cmp_gt_i32_e32 vcc_lo, s10, v16
	s_and_b32 exec_lo, exec_lo, vcc_lo
	s_cbranch_execz .LBB146_22
; %bb.4:
	s_clause 0x1
	s_load_b128 s[4:7], s[0:1], 0x18
	s_load_b32 s20, s[0:1], 0x4
	s_bfe_u32 s2, ttmp6, 0x4000c
	s_and_b32 s3, ttmp6, 15
	s_add_co_i32 s2, s2, 1
	s_getreg_b32 s9, hwreg(HW_REG_IB_STS2, 6, 4)
	s_mul_i32 s2, ttmp9, s2
	v_and_b32_e32 v17, 15, v0
	s_add_co_i32 s3, s3, s2
	s_cmp_eq_u32 s9, 0
	v_mbcnt_lo_u32_b32 v0, -1, 0
	s_cselect_b32 s22, ttmp9, s3
	s_wait_loadcnt_dscnt 0x0
	v_cmp_eq_f64_e32 vcc_lo, 0, v[6:7]
	s_ashr_i32 s23, s22, 31
	s_mov_b32 s9, 0
	s_lshl_b64 s[2:3], s[22:23], 2
	v_xor_b32_e32 v13, 1, v0
	v_xor_b32_e32 v11, 2, v0
	;; [unrolled: 1-line block ×4, first 2 shown]
	s_wait_kmcnt 0x0
	s_add_nc_u64 s[2:3], s[4:5], s[2:3]
	s_mul_i32 s21, s10, s22
	s_load_b64 s[18:19], s[2:3], 0x0
	s_wait_xcnt 0x0
	v_cmp_eq_f64_e64 s2, 0, v[8:9]
	s_clause 0x2
	s_load_b64 s[4:5], s[0:1], 0x50
	s_load_b64 s[12:13], s[0:1], 0x28
	s_load_b64 s[14:15], s[0:1], 0x38
	s_wait_xcnt 0x0
	v_cmp_gt_i32_e64 s1, 32, v1
	s_mul_i32 s23, s11, s10
	v_cndmask_b32_e64 v1, v0, v1, s1
	v_cmp_gt_i32_e64 s1, 32, v10
	v_cmp_gt_i32_e64 s0, s11, v17
	s_delay_alu instid0(VALU_DEP_2) | instskip(SKIP_1) | instid1(VALU_DEP_1)
	v_dual_lshlrev_b32 v18, 2, v1 :: v_dual_cndmask_b32 v10, v0, v10, s1
	v_cmp_gt_i32_e64 s1, 32, v11
	v_cndmask_b32_e64 v11, v0, v11, s1
	s_wait_kmcnt 0x0
	s_sub_co_i32 s16, s18, s8
	v_cmp_gt_i32_e64 s1, 32, v13
	v_mad_u32 v12, s10, s16, v16
	s_sub_co_i32 s17, s19, s8
	s_cmp_lt_i32 s18, s19
	v_dual_lshlrev_b32 v20, 2, v10 :: v_dual_lshlrev_b32 v21, 2, v11
	v_cndmask_b32_e64 v0, v0, v13, s1
	v_cmp_eq_u32_e64 s1, 15, v17
	s_cselect_b32 s18, -1, 0
	s_cmp_lg_u32 s20, 0
	v_lshlrev_b32_e32 v22, 2, v0
	v_mul_lo_u32 v19, s11, v12
	s_cselect_b32 s19, -1, 0
	s_and_b32 s20, vcc_lo, s2
	s_lshl_b32 s22, s11, 2
	s_branch .LBB146_6
.LBB146_5:                              ;   in Loop: Header=BB146_6 Depth=1
	s_wait_xcnt 0x0
	s_or_b32 exec_lo, exec_lo, s2
	v_dual_add_nc_u32 v16, 4, v16 :: v_dual_add_nc_u32 v19, s22, v19
	s_delay_alu instid0(VALU_DEP_1) | instskip(SKIP_1) | instid1(SALU_CYCLE_1)
	v_cmp_le_i32_e32 vcc_lo, s10, v16
	s_or_b32 s9, vcc_lo, s9
	s_and_not1_b32 exec_lo, exec_lo, s9
	s_cbranch_execz .LBB146_22
.LBB146_6:                              ; =>This Loop Header: Depth=1
                                        ;     Child Loop BB146_10 Depth 2
                                        ;       Child Loop BB146_13 Depth 3
	v_mov_b64_e32 v[0:1], 0
	v_mov_b64_e32 v[10:11], 0
	s_and_not1_b32 vcc_lo, exec_lo, s18
	s_cbranch_vccnz .LBB146_17
; %bb.7:                                ;   in Loop: Header=BB146_6 Depth=1
	v_mov_b64_e32 v[0:1], 0
	v_mov_b64_e32 v[10:11], 0
	s_wait_dscnt 0x3
	v_mov_b32_e32 v12, v19
	s_mov_b32 s2, s16
	s_branch .LBB146_10
.LBB146_8:                              ;   in Loop: Header=BB146_10 Depth=2
	s_or_b32 exec_lo, exec_lo, s25
.LBB146_9:                              ;   in Loop: Header=BB146_10 Depth=2
	s_delay_alu instid0(SALU_CYCLE_1) | instskip(SKIP_2) | instid1(SALU_CYCLE_1)
	s_or_b32 exec_lo, exec_lo, s24
	v_add_nc_u32_e32 v12, s23, v12
	s_add_co_i32 s2, s2, 1
	s_cmp_ge_i32 s2, s17
	s_cbranch_scc1 .LBB146_17
.LBB146_10:                             ;   Parent Loop BB146_6 Depth=1
                                        ; =>  This Loop Header: Depth=2
                                        ;       Child Loop BB146_13 Depth 3
	s_and_saveexec_b32 s24, s0
	s_cbranch_execz .LBB146_9
; %bb.11:                               ;   in Loop: Header=BB146_10 Depth=2
	s_ashr_i32 s3, s2, 31
	s_wait_dscnt 0x2
	v_mov_b32_e32 v13, v17
	s_lshl_b64 s[26:27], s[2:3], 2
	s_mov_b32 s25, 0
	s_add_nc_u64 s[26:27], s[6:7], s[26:27]
	s_load_b32 s3, s[26:27], 0x0
	s_wait_kmcnt 0x0
	s_wait_xcnt 0x0
	s_sub_co_i32 s26, s3, s8
	s_mul_i32 s3, s2, s11
	s_mul_i32 s26, s26, s11
	s_branch .LBB146_13
.LBB146_12:                             ;   in Loop: Header=BB146_13 Depth=3
	s_wait_dscnt 0x0
	v_dual_add_nc_u32 v15, s26, v13 :: v_dual_add_nc_u32 v13, 16, v13
	global_load_b128 v[24:27], v14, s[12:13] scale_offset
	global_load_b128 v[28:31], v15, s[14:15] scale_offset
	v_cmp_le_i32_e32 vcc_lo, s11, v13
	s_or_b32 s25, vcc_lo, s25
	s_wait_loadcnt 0x0
	v_fmac_f64_e32 v[10:11], v[24:25], v[28:29]
	v_fmac_f64_e32 v[0:1], v[26:27], v[28:29]
	s_delay_alu instid0(VALU_DEP_2) | instskip(NEXT) | instid1(VALU_DEP_2)
	v_fma_f64 v[10:11], -v[26:27], v[30:31], v[10:11]
	v_fmac_f64_e32 v[0:1], v[24:25], v[30:31]
	s_wait_xcnt 0x0
	s_and_not1_b32 exec_lo, exec_lo, s25
	s_cbranch_execz .LBB146_8
.LBB146_13:                             ;   Parent Loop BB146_6 Depth=1
                                        ;     Parent Loop BB146_10 Depth=2
                                        ; =>    This Inner Loop Header: Depth=3
	s_and_b32 vcc_lo, exec_lo, s19
	s_cbranch_vccz .LBB146_15
; %bb.14:                               ;   in Loop: Header=BB146_13 Depth=3
	s_wait_dscnt 0x1
	v_add_nc_u32_e32 v14, s3, v13
	s_delay_alu instid0(VALU_DEP_1)
	v_mad_u32 v14, v14, s10, v16
	s_cbranch_execnz .LBB146_12
	s_branch .LBB146_16
.LBB146_15:                             ;   in Loop: Header=BB146_13 Depth=3
                                        ; implicit-def: $vgpr14
.LBB146_16:                             ;   in Loop: Header=BB146_13 Depth=3
	s_wait_dscnt 0x1
	v_add_nc_u32_e32 v14, v12, v13
	s_branch .LBB146_12
.LBB146_17:                             ;   in Loop: Header=BB146_6 Depth=1
	s_wait_dscnt 0x3
	ds_bpermute_b32 v12, v18, v10
	s_wait_dscnt 0x3
	ds_bpermute_b32 v13, v18, v11
	;; [unrolled: 2-line block ×4, first 2 shown]
	s_wait_dscnt 0x2
	v_add_f64_e32 v[10:11], v[10:11], v[12:13]
	s_wait_dscnt 0x0
	v_add_f64_e32 v[0:1], v[0:1], v[14:15]
	ds_bpermute_b32 v12, v20, v10
	ds_bpermute_b32 v13, v20, v11
	ds_bpermute_b32 v14, v20, v0
	ds_bpermute_b32 v15, v20, v1
	s_wait_dscnt 0x2
	v_add_f64_e32 v[10:11], v[10:11], v[12:13]
	s_wait_dscnt 0x0
	v_add_f64_e32 v[12:13], v[0:1], v[14:15]
	ds_bpermute_b32 v0, v21, v10
	ds_bpermute_b32 v1, v21, v11
	ds_bpermute_b32 v14, v21, v12
	ds_bpermute_b32 v15, v21, v13
	;; [unrolled: 8-line block ×3, first 2 shown]
	s_and_saveexec_b32 s2, s1
	s_cbranch_execz .LBB146_5
; %bb.18:                               ;   in Loop: Header=BB146_6 Depth=1
	s_wait_dscnt 0x0
	v_add_f64_e32 v[14:15], v[10:11], v[14:15]
	v_add_f64_e32 v[0:1], v[0:1], v[12:13]
	s_delay_alu instid0(VALU_DEP_2) | instskip(SKIP_1) | instid1(VALU_DEP_2)
	v_mul_f64_e64 v[10:11], v[14:15], -v[4:5]
	v_mul_f64_e32 v[12:13], v[2:3], v[14:15]
	v_fmac_f64_e32 v[10:11], v[2:3], v[0:1]
	s_delay_alu instid0(VALU_DEP_2) | instskip(SKIP_2) | instid1(SALU_CYCLE_1)
	v_fmac_f64_e32 v[12:13], v[4:5], v[0:1]
	v_add_nc_u32_e32 v0, s21, v16
	s_and_saveexec_b32 s3, s20
	s_xor_b32 s3, exec_lo, s3
	s_cbranch_execz .LBB146_20
; %bb.19:                               ;   in Loop: Header=BB146_6 Depth=1
	global_store_b128 v0, v[10:13], s[4:5] scale_offset
                                        ; implicit-def: $vgpr0
                                        ; implicit-def: $vgpr10_vgpr11
.LBB146_20:                             ;   in Loop: Header=BB146_6 Depth=1
	s_wait_xcnt 0x0
	s_and_not1_saveexec_b32 s3, s3
	s_cbranch_execz .LBB146_5
; %bb.21:                               ;   in Loop: Header=BB146_6 Depth=1
	global_load_b128 v[24:27], v0, s[4:5] scale_offset
	s_wait_loadcnt 0x0
	v_fmac_f64_e32 v[10:11], v[6:7], v[24:25]
	v_fmac_f64_e32 v[12:13], v[8:9], v[24:25]
	s_delay_alu instid0(VALU_DEP_2) | instskip(NEXT) | instid1(VALU_DEP_2)
	v_fma_f64 v[10:11], -v[8:9], v[26:27], v[10:11]
	v_fmac_f64_e32 v[12:13], v[6:7], v[26:27]
	global_store_b128 v0, v[10:13], s[4:5] scale_offset
	s_branch .LBB146_5
.LBB146_22:
	s_endpgm
	.section	.rodata,"a",@progbits
	.p2align	6, 0x0
	.amdhsa_kernel _ZN9rocsparseL23gebsrmvn_general_kernelILj64ELj16E21rocsparse_complex_numIdEEEvi20rocsparse_direction_NS_24const_host_device_scalarIT1_EEPKiS8_PKS5_iiSA_S6_PS5_21rocsparse_index_base_b
		.amdhsa_group_segment_fixed_size 0
		.amdhsa_private_segment_fixed_size 0
		.amdhsa_kernarg_size 96
		.amdhsa_user_sgpr_count 2
		.amdhsa_user_sgpr_dispatch_ptr 0
		.amdhsa_user_sgpr_queue_ptr 0
		.amdhsa_user_sgpr_kernarg_segment_ptr 1
		.amdhsa_user_sgpr_dispatch_id 0
		.amdhsa_user_sgpr_kernarg_preload_length 0
		.amdhsa_user_sgpr_kernarg_preload_offset 0
		.amdhsa_user_sgpr_private_segment_size 0
		.amdhsa_wavefront_size32 1
		.amdhsa_uses_dynamic_stack 0
		.amdhsa_enable_private_segment 0
		.amdhsa_system_sgpr_workgroup_id_x 1
		.amdhsa_system_sgpr_workgroup_id_y 0
		.amdhsa_system_sgpr_workgroup_id_z 0
		.amdhsa_system_sgpr_workgroup_info 0
		.amdhsa_system_vgpr_workitem_id 0
		.amdhsa_next_free_vgpr 32
		.amdhsa_next_free_sgpr 28
		.amdhsa_named_barrier_count 0
		.amdhsa_reserve_vcc 1
		.amdhsa_float_round_mode_32 0
		.amdhsa_float_round_mode_16_64 0
		.amdhsa_float_denorm_mode_32 3
		.amdhsa_float_denorm_mode_16_64 3
		.amdhsa_fp16_overflow 0
		.amdhsa_memory_ordered 1
		.amdhsa_forward_progress 1
		.amdhsa_inst_pref_size 10
		.amdhsa_round_robin_scheduling 0
		.amdhsa_exception_fp_ieee_invalid_op 0
		.amdhsa_exception_fp_denorm_src 0
		.amdhsa_exception_fp_ieee_div_zero 0
		.amdhsa_exception_fp_ieee_overflow 0
		.amdhsa_exception_fp_ieee_underflow 0
		.amdhsa_exception_fp_ieee_inexact 0
		.amdhsa_exception_int_div_zero 0
	.end_amdhsa_kernel
	.section	.text._ZN9rocsparseL23gebsrmvn_general_kernelILj64ELj16E21rocsparse_complex_numIdEEEvi20rocsparse_direction_NS_24const_host_device_scalarIT1_EEPKiS8_PKS5_iiSA_S6_PS5_21rocsparse_index_base_b,"axG",@progbits,_ZN9rocsparseL23gebsrmvn_general_kernelILj64ELj16E21rocsparse_complex_numIdEEEvi20rocsparse_direction_NS_24const_host_device_scalarIT1_EEPKiS8_PKS5_iiSA_S6_PS5_21rocsparse_index_base_b,comdat
.Lfunc_end146:
	.size	_ZN9rocsparseL23gebsrmvn_general_kernelILj64ELj16E21rocsparse_complex_numIdEEEvi20rocsparse_direction_NS_24const_host_device_scalarIT1_EEPKiS8_PKS5_iiSA_S6_PS5_21rocsparse_index_base_b, .Lfunc_end146-_ZN9rocsparseL23gebsrmvn_general_kernelILj64ELj16E21rocsparse_complex_numIdEEEvi20rocsparse_direction_NS_24const_host_device_scalarIT1_EEPKiS8_PKS5_iiSA_S6_PS5_21rocsparse_index_base_b
                                        ; -- End function
	.set _ZN9rocsparseL23gebsrmvn_general_kernelILj64ELj16E21rocsparse_complex_numIdEEEvi20rocsparse_direction_NS_24const_host_device_scalarIT1_EEPKiS8_PKS5_iiSA_S6_PS5_21rocsparse_index_base_b.num_vgpr, 32
	.set _ZN9rocsparseL23gebsrmvn_general_kernelILj64ELj16E21rocsparse_complex_numIdEEEvi20rocsparse_direction_NS_24const_host_device_scalarIT1_EEPKiS8_PKS5_iiSA_S6_PS5_21rocsparse_index_base_b.num_agpr, 0
	.set _ZN9rocsparseL23gebsrmvn_general_kernelILj64ELj16E21rocsparse_complex_numIdEEEvi20rocsparse_direction_NS_24const_host_device_scalarIT1_EEPKiS8_PKS5_iiSA_S6_PS5_21rocsparse_index_base_b.numbered_sgpr, 28
	.set _ZN9rocsparseL23gebsrmvn_general_kernelILj64ELj16E21rocsparse_complex_numIdEEEvi20rocsparse_direction_NS_24const_host_device_scalarIT1_EEPKiS8_PKS5_iiSA_S6_PS5_21rocsparse_index_base_b.num_named_barrier, 0
	.set _ZN9rocsparseL23gebsrmvn_general_kernelILj64ELj16E21rocsparse_complex_numIdEEEvi20rocsparse_direction_NS_24const_host_device_scalarIT1_EEPKiS8_PKS5_iiSA_S6_PS5_21rocsparse_index_base_b.private_seg_size, 0
	.set _ZN9rocsparseL23gebsrmvn_general_kernelILj64ELj16E21rocsparse_complex_numIdEEEvi20rocsparse_direction_NS_24const_host_device_scalarIT1_EEPKiS8_PKS5_iiSA_S6_PS5_21rocsparse_index_base_b.uses_vcc, 1
	.set _ZN9rocsparseL23gebsrmvn_general_kernelILj64ELj16E21rocsparse_complex_numIdEEEvi20rocsparse_direction_NS_24const_host_device_scalarIT1_EEPKiS8_PKS5_iiSA_S6_PS5_21rocsparse_index_base_b.uses_flat_scratch, 0
	.set _ZN9rocsparseL23gebsrmvn_general_kernelILj64ELj16E21rocsparse_complex_numIdEEEvi20rocsparse_direction_NS_24const_host_device_scalarIT1_EEPKiS8_PKS5_iiSA_S6_PS5_21rocsparse_index_base_b.has_dyn_sized_stack, 0
	.set _ZN9rocsparseL23gebsrmvn_general_kernelILj64ELj16E21rocsparse_complex_numIdEEEvi20rocsparse_direction_NS_24const_host_device_scalarIT1_EEPKiS8_PKS5_iiSA_S6_PS5_21rocsparse_index_base_b.has_recursion, 0
	.set _ZN9rocsparseL23gebsrmvn_general_kernelILj64ELj16E21rocsparse_complex_numIdEEEvi20rocsparse_direction_NS_24const_host_device_scalarIT1_EEPKiS8_PKS5_iiSA_S6_PS5_21rocsparse_index_base_b.has_indirect_call, 0
	.section	.AMDGPU.csdata,"",@progbits
; Kernel info:
; codeLenInByte = 1184
; TotalNumSgprs: 30
; NumVgprs: 32
; ScratchSize: 0
; MemoryBound: 0
; FloatMode: 240
; IeeeMode: 1
; LDSByteSize: 0 bytes/workgroup (compile time only)
; SGPRBlocks: 0
; VGPRBlocks: 1
; NumSGPRsForWavesPerEU: 30
; NumVGPRsForWavesPerEU: 32
; NamedBarCnt: 0
; Occupancy: 16
; WaveLimiterHint : 1
; COMPUTE_PGM_RSRC2:SCRATCH_EN: 0
; COMPUTE_PGM_RSRC2:USER_SGPR: 2
; COMPUTE_PGM_RSRC2:TRAP_HANDLER: 0
; COMPUTE_PGM_RSRC2:TGID_X_EN: 1
; COMPUTE_PGM_RSRC2:TGID_Y_EN: 0
; COMPUTE_PGM_RSRC2:TGID_Z_EN: 0
; COMPUTE_PGM_RSRC2:TIDIG_COMP_CNT: 0
	.section	.text._ZN9rocsparseL23gebsrmvn_general_kernelILj128ELj32E21rocsparse_complex_numIdEEEvi20rocsparse_direction_NS_24const_host_device_scalarIT1_EEPKiS8_PKS5_iiSA_S6_PS5_21rocsparse_index_base_b,"axG",@progbits,_ZN9rocsparseL23gebsrmvn_general_kernelILj128ELj32E21rocsparse_complex_numIdEEEvi20rocsparse_direction_NS_24const_host_device_scalarIT1_EEPKiS8_PKS5_iiSA_S6_PS5_21rocsparse_index_base_b,comdat
	.globl	_ZN9rocsparseL23gebsrmvn_general_kernelILj128ELj32E21rocsparse_complex_numIdEEEvi20rocsparse_direction_NS_24const_host_device_scalarIT1_EEPKiS8_PKS5_iiSA_S6_PS5_21rocsparse_index_base_b ; -- Begin function _ZN9rocsparseL23gebsrmvn_general_kernelILj128ELj32E21rocsparse_complex_numIdEEEvi20rocsparse_direction_NS_24const_host_device_scalarIT1_EEPKiS8_PKS5_iiSA_S6_PS5_21rocsparse_index_base_b
	.p2align	8
	.type	_ZN9rocsparseL23gebsrmvn_general_kernelILj128ELj32E21rocsparse_complex_numIdEEEvi20rocsparse_direction_NS_24const_host_device_scalarIT1_EEPKiS8_PKS5_iiSA_S6_PS5_21rocsparse_index_base_b,@function
_ZN9rocsparseL23gebsrmvn_general_kernelILj128ELj32E21rocsparse_complex_numIdEEEvi20rocsparse_direction_NS_24const_host_device_scalarIT1_EEPKiS8_PKS5_iiSA_S6_PS5_21rocsparse_index_base_b: ; @_ZN9rocsparseL23gebsrmvn_general_kernelILj128ELj32E21rocsparse_complex_numIdEEEvi20rocsparse_direction_NS_24const_host_device_scalarIT1_EEPKiS8_PKS5_iiSA_S6_PS5_21rocsparse_index_base_b
; %bb.0:
	s_clause 0x1
	s_load_b64 s[8:9], s[0:1], 0x58
	s_load_b64 s[2:3], s[0:1], 0x8
	v_mov_b32_e32 v1, 0
	s_add_nc_u64 s[4:5], s[0:1], 8
	s_load_b64 s[6:7], s[0:1], 0x40
	s_wait_kmcnt 0x0
	s_bitcmp1_b32 s9, 0
	s_cselect_b32 s3, s5, s3
	s_cselect_b32 s2, s4, s2
	flat_load_b128 v[2:5], v1, s[2:3]
	s_wait_xcnt 0x0
	s_add_nc_u64 s[2:3], s[0:1], 64
	s_delay_alu instid0(SALU_CYCLE_1)
	s_cselect_b32 s3, s3, s7
	s_cselect_b32 s2, s2, s6
	flat_load_b128 v[6:9], v1, s[2:3]
	s_wait_loadcnt_dscnt 0x101
	v_cmp_eq_f64_e32 vcc_lo, 0, v[2:3]
	s_wait_xcnt 0x0
	v_cmp_eq_f64_e64 s2, 0, v[4:5]
	s_and_b32 s4, vcc_lo, s2
	s_mov_b32 s2, -1
	s_and_saveexec_b32 s3, s4
	s_cbranch_execz .LBB147_2
; %bb.1:
	s_wait_loadcnt_dscnt 0x0
	v_cmp_neq_f64_e32 vcc_lo, 1.0, v[6:7]
	v_cmp_neq_f64_e64 s2, 0, v[8:9]
	s_or_b32 s2, vcc_lo, s2
	s_delay_alu instid0(SALU_CYCLE_1)
	s_or_not1_b32 s2, s2, exec_lo
.LBB147_2:
	s_or_b32 exec_lo, exec_lo, s3
	s_and_saveexec_b32 s3, s2
	s_cbranch_execz .LBB147_22
; %bb.3:
	s_load_b64 s[10:11], s[0:1], 0x30
	v_lshrrev_b32_e32 v16, 5, v0
	s_wait_kmcnt 0x0
	s_delay_alu instid0(VALU_DEP_1)
	v_cmp_gt_i32_e32 vcc_lo, s10, v16
	s_and_b32 exec_lo, exec_lo, vcc_lo
	s_cbranch_execz .LBB147_22
; %bb.4:
	s_clause 0x1
	s_load_b128 s[4:7], s[0:1], 0x18
	s_load_b32 s20, s[0:1], 0x4
	s_bfe_u32 s2, ttmp6, 0x4000c
	s_and_b32 s3, ttmp6, 15
	s_add_co_i32 s2, s2, 1
	s_getreg_b32 s9, hwreg(HW_REG_IB_STS2, 6, 4)
	s_mul_i32 s2, ttmp9, s2
	v_mbcnt_lo_u32_b32 v1, -1, 0
	s_add_co_i32 s3, s3, s2
	s_cmp_eq_u32 s9, 0
	v_and_b32_e32 v17, 31, v0
	s_cselect_b32 s22, ttmp9, s3
	v_xor_b32_e32 v10, 8, v1
	s_ashr_i32 s23, s22, 31
	v_xor_b32_e32 v0, 16, v1
	s_lshl_b64 s[2:3], s[22:23], 2
	s_wait_loadcnt_dscnt 0x0
	v_cmp_eq_f64_e32 vcc_lo, 0, v[6:7]
	v_xor_b32_e32 v12, 2, v1
	v_xor_b32_e32 v11, 4, v1
	s_mov_b32 s9, 0
	s_wait_kmcnt 0x0
	s_add_nc_u64 s[2:3], s[4:5], s[2:3]
	s_mul_i32 s21, s10, s22
	s_load_b64 s[18:19], s[2:3], 0x0
	s_clause 0x2
	s_load_b64 s[4:5], s[0:1], 0x50
	s_load_b64 s[12:13], s[0:1], 0x28
	s_load_b64 s[14:15], s[0:1], 0x38
	s_wait_xcnt 0x0
	v_cmp_gt_i32_e64 s1, 32, v0
	v_cmp_eq_f64_e64 s2, 0, v[8:9]
	s_mul_i32 s23, s11, s10
	v_cndmask_b32_e64 v0, v1, v0, s1
	v_cmp_gt_i32_e64 s0, s11, v17
	s_delay_alu instid0(VALU_DEP_2) | instskip(SKIP_1) | instid1(VALU_DEP_1)
	v_lshlrev_b32_e32 v18, 2, v0
	v_cmp_gt_i32_e64 s1, 32, v10
	v_cndmask_b32_e64 v10, v1, v10, s1
	v_cmp_gt_i32_e64 s1, 32, v11
	s_wait_kmcnt 0x0
	s_sub_co_i32 s16, s18, s8
	v_xor_b32_e32 v0, 1, v1
	v_mad_u32 v13, s10, s16, v16
	v_dual_lshlrev_b32 v19, 2, v10 :: v_dual_cndmask_b32 v11, v1, v11, s1
	v_cmp_gt_i32_e64 s1, 32, v12
	s_sub_co_i32 s17, s19, s8
	s_cmp_lt_i32 s18, s19
	s_cselect_b32 s18, -1, 0
	v_cndmask_b32_e64 v12, v1, v12, s1
	v_cmp_gt_i32_e64 s1, 32, v0
	v_lshlrev_b32_e32 v21, 2, v11
	v_mul_lo_u32 v20, s11, v13
	s_cmp_lg_u32 s20, 0
	v_lshlrev_b32_e32 v22, 2, v12
	v_cndmask_b32_e64 v0, v1, v0, s1
	v_cmp_eq_u32_e64 s1, 31, v17
	s_cselect_b32 s19, -1, 0
	s_and_b32 s20, vcc_lo, s2
	s_lshl_b32 s22, s11, 2
	v_lshlrev_b32_e32 v23, 2, v0
	s_branch .LBB147_6
.LBB147_5:                              ;   in Loop: Header=BB147_6 Depth=1
	s_wait_xcnt 0x0
	s_or_b32 exec_lo, exec_lo, s2
	v_add_nc_u32_e32 v16, 4, v16
	v_add_nc_u32_e32 v20, s22, v20
	s_delay_alu instid0(VALU_DEP_2) | instskip(SKIP_1) | instid1(SALU_CYCLE_1)
	v_cmp_le_i32_e32 vcc_lo, s10, v16
	s_or_b32 s9, vcc_lo, s9
	s_and_not1_b32 exec_lo, exec_lo, s9
	s_cbranch_execz .LBB147_22
.LBB147_6:                              ; =>This Loop Header: Depth=1
                                        ;     Child Loop BB147_10 Depth 2
                                        ;       Child Loop BB147_13 Depth 3
	v_mov_b64_e32 v[0:1], 0
	v_mov_b64_e32 v[10:11], 0
	s_and_not1_b32 vcc_lo, exec_lo, s18
	s_cbranch_vccnz .LBB147_17
; %bb.7:                                ;   in Loop: Header=BB147_6 Depth=1
	v_mov_b64_e32 v[0:1], 0
	v_mov_b64_e32 v[10:11], 0
	s_wait_dscnt 0x3
	v_mov_b32_e32 v12, v20
	s_mov_b32 s2, s16
	s_branch .LBB147_10
.LBB147_8:                              ;   in Loop: Header=BB147_10 Depth=2
	s_or_b32 exec_lo, exec_lo, s25
.LBB147_9:                              ;   in Loop: Header=BB147_10 Depth=2
	s_delay_alu instid0(SALU_CYCLE_1) | instskip(SKIP_2) | instid1(SALU_CYCLE_1)
	s_or_b32 exec_lo, exec_lo, s24
	v_add_nc_u32_e32 v12, s23, v12
	s_add_co_i32 s2, s2, 1
	s_cmp_ge_i32 s2, s17
	s_cbranch_scc1 .LBB147_17
.LBB147_10:                             ;   Parent Loop BB147_6 Depth=1
                                        ; =>  This Loop Header: Depth=2
                                        ;       Child Loop BB147_13 Depth 3
	s_and_saveexec_b32 s24, s0
	s_cbranch_execz .LBB147_9
; %bb.11:                               ;   in Loop: Header=BB147_10 Depth=2
	s_ashr_i32 s3, s2, 31
	s_wait_dscnt 0x2
	v_mov_b32_e32 v13, v17
	s_lshl_b64 s[26:27], s[2:3], 2
	s_mov_b32 s25, 0
	s_add_nc_u64 s[26:27], s[6:7], s[26:27]
	s_load_b32 s3, s[26:27], 0x0
	s_wait_kmcnt 0x0
	s_wait_xcnt 0x0
	s_sub_co_i32 s26, s3, s8
	s_mul_i32 s3, s2, s11
	s_mul_i32 s26, s26, s11
	s_branch .LBB147_13
.LBB147_12:                             ;   in Loop: Header=BB147_13 Depth=3
	s_wait_dscnt 0x0
	v_dual_add_nc_u32 v15, s26, v13 :: v_dual_add_nc_u32 v13, 32, v13
	global_load_b128 v[24:27], v14, s[12:13] scale_offset
	global_load_b128 v[28:31], v15, s[14:15] scale_offset
	v_cmp_le_i32_e32 vcc_lo, s11, v13
	s_or_b32 s25, vcc_lo, s25
	s_wait_loadcnt 0x0
	v_fmac_f64_e32 v[10:11], v[24:25], v[28:29]
	v_fmac_f64_e32 v[0:1], v[26:27], v[28:29]
	s_delay_alu instid0(VALU_DEP_2) | instskip(NEXT) | instid1(VALU_DEP_2)
	v_fma_f64 v[10:11], -v[26:27], v[30:31], v[10:11]
	v_fmac_f64_e32 v[0:1], v[24:25], v[30:31]
	s_wait_xcnt 0x0
	s_and_not1_b32 exec_lo, exec_lo, s25
	s_cbranch_execz .LBB147_8
.LBB147_13:                             ;   Parent Loop BB147_6 Depth=1
                                        ;     Parent Loop BB147_10 Depth=2
                                        ; =>    This Inner Loop Header: Depth=3
	s_and_b32 vcc_lo, exec_lo, s19
	s_cbranch_vccz .LBB147_15
; %bb.14:                               ;   in Loop: Header=BB147_13 Depth=3
	s_wait_dscnt 0x1
	v_add_nc_u32_e32 v14, s3, v13
	s_delay_alu instid0(VALU_DEP_1)
	v_mad_u32 v14, v14, s10, v16
	s_cbranch_execnz .LBB147_12
	s_branch .LBB147_16
.LBB147_15:                             ;   in Loop: Header=BB147_13 Depth=3
                                        ; implicit-def: $vgpr14
.LBB147_16:                             ;   in Loop: Header=BB147_13 Depth=3
	s_wait_dscnt 0x1
	v_add_nc_u32_e32 v14, v12, v13
	s_branch .LBB147_12
.LBB147_17:                             ;   in Loop: Header=BB147_6 Depth=1
	s_wait_dscnt 0x3
	ds_bpermute_b32 v12, v18, v10
	s_wait_dscnt 0x3
	ds_bpermute_b32 v13, v18, v11
	s_wait_dscnt 0x3
	ds_bpermute_b32 v14, v18, v0
	s_wait_dscnt 0x3
	ds_bpermute_b32 v15, v18, v1
	s_wait_dscnt 0x2
	v_add_f64_e32 v[10:11], v[10:11], v[12:13]
	s_wait_dscnt 0x0
	v_add_f64_e32 v[0:1], v[0:1], v[14:15]
	ds_bpermute_b32 v12, v19, v10
	ds_bpermute_b32 v13, v19, v11
	ds_bpermute_b32 v14, v19, v0
	ds_bpermute_b32 v15, v19, v1
	s_wait_dscnt 0x2
	v_add_f64_e32 v[10:11], v[10:11], v[12:13]
	s_wait_dscnt 0x0
	v_add_f64_e32 v[0:1], v[0:1], v[14:15]
	ds_bpermute_b32 v12, v21, v10
	ds_bpermute_b32 v13, v21, v11
	ds_bpermute_b32 v14, v21, v0
	ds_bpermute_b32 v15, v21, v1
	;; [unrolled: 8-line block ×4, first 2 shown]
	s_and_saveexec_b32 s2, s1
	s_cbranch_execz .LBB147_5
; %bb.18:                               ;   in Loop: Header=BB147_6 Depth=1
	s_wait_dscnt 0x0
	v_add_f64_e32 v[14:15], v[10:11], v[14:15]
	v_add_f64_e32 v[0:1], v[0:1], v[12:13]
	s_delay_alu instid0(VALU_DEP_2) | instskip(SKIP_1) | instid1(VALU_DEP_2)
	v_mul_f64_e64 v[10:11], v[14:15], -v[4:5]
	v_mul_f64_e32 v[12:13], v[2:3], v[14:15]
	v_fmac_f64_e32 v[10:11], v[2:3], v[0:1]
	s_delay_alu instid0(VALU_DEP_2) | instskip(SKIP_2) | instid1(SALU_CYCLE_1)
	v_fmac_f64_e32 v[12:13], v[4:5], v[0:1]
	v_add_nc_u32_e32 v0, s21, v16
	s_and_saveexec_b32 s3, s20
	s_xor_b32 s3, exec_lo, s3
	s_cbranch_execz .LBB147_20
; %bb.19:                               ;   in Loop: Header=BB147_6 Depth=1
	global_store_b128 v0, v[10:13], s[4:5] scale_offset
                                        ; implicit-def: $vgpr0
                                        ; implicit-def: $vgpr10_vgpr11
.LBB147_20:                             ;   in Loop: Header=BB147_6 Depth=1
	s_wait_xcnt 0x0
	s_and_not1_saveexec_b32 s3, s3
	s_cbranch_execz .LBB147_5
; %bb.21:                               ;   in Loop: Header=BB147_6 Depth=1
	global_load_b128 v[24:27], v0, s[4:5] scale_offset
	s_wait_loadcnt 0x0
	v_fmac_f64_e32 v[10:11], v[6:7], v[24:25]
	v_fmac_f64_e32 v[12:13], v[8:9], v[24:25]
	s_delay_alu instid0(VALU_DEP_2) | instskip(NEXT) | instid1(VALU_DEP_2)
	v_fma_f64 v[10:11], -v[8:9], v[26:27], v[10:11]
	v_fmac_f64_e32 v[12:13], v[6:7], v[26:27]
	global_store_b128 v0, v[10:13], s[4:5] scale_offset
	s_branch .LBB147_5
.LBB147_22:
	s_endpgm
	.section	.rodata,"a",@progbits
	.p2align	6, 0x0
	.amdhsa_kernel _ZN9rocsparseL23gebsrmvn_general_kernelILj128ELj32E21rocsparse_complex_numIdEEEvi20rocsparse_direction_NS_24const_host_device_scalarIT1_EEPKiS8_PKS5_iiSA_S6_PS5_21rocsparse_index_base_b
		.amdhsa_group_segment_fixed_size 0
		.amdhsa_private_segment_fixed_size 0
		.amdhsa_kernarg_size 96
		.amdhsa_user_sgpr_count 2
		.amdhsa_user_sgpr_dispatch_ptr 0
		.amdhsa_user_sgpr_queue_ptr 0
		.amdhsa_user_sgpr_kernarg_segment_ptr 1
		.amdhsa_user_sgpr_dispatch_id 0
		.amdhsa_user_sgpr_kernarg_preload_length 0
		.amdhsa_user_sgpr_kernarg_preload_offset 0
		.amdhsa_user_sgpr_private_segment_size 0
		.amdhsa_wavefront_size32 1
		.amdhsa_uses_dynamic_stack 0
		.amdhsa_enable_private_segment 0
		.amdhsa_system_sgpr_workgroup_id_x 1
		.amdhsa_system_sgpr_workgroup_id_y 0
		.amdhsa_system_sgpr_workgroup_id_z 0
		.amdhsa_system_sgpr_workgroup_info 0
		.amdhsa_system_vgpr_workitem_id 0
		.amdhsa_next_free_vgpr 32
		.amdhsa_next_free_sgpr 28
		.amdhsa_named_barrier_count 0
		.amdhsa_reserve_vcc 1
		.amdhsa_float_round_mode_32 0
		.amdhsa_float_round_mode_16_64 0
		.amdhsa_float_denorm_mode_32 3
		.amdhsa_float_denorm_mode_16_64 3
		.amdhsa_fp16_overflow 0
		.amdhsa_memory_ordered 1
		.amdhsa_forward_progress 1
		.amdhsa_inst_pref_size 10
		.amdhsa_round_robin_scheduling 0
		.amdhsa_exception_fp_ieee_invalid_op 0
		.amdhsa_exception_fp_denorm_src 0
		.amdhsa_exception_fp_ieee_div_zero 0
		.amdhsa_exception_fp_ieee_overflow 0
		.amdhsa_exception_fp_ieee_underflow 0
		.amdhsa_exception_fp_ieee_inexact 0
		.amdhsa_exception_int_div_zero 0
	.end_amdhsa_kernel
	.section	.text._ZN9rocsparseL23gebsrmvn_general_kernelILj128ELj32E21rocsparse_complex_numIdEEEvi20rocsparse_direction_NS_24const_host_device_scalarIT1_EEPKiS8_PKS5_iiSA_S6_PS5_21rocsparse_index_base_b,"axG",@progbits,_ZN9rocsparseL23gebsrmvn_general_kernelILj128ELj32E21rocsparse_complex_numIdEEEvi20rocsparse_direction_NS_24const_host_device_scalarIT1_EEPKiS8_PKS5_iiSA_S6_PS5_21rocsparse_index_base_b,comdat
.Lfunc_end147:
	.size	_ZN9rocsparseL23gebsrmvn_general_kernelILj128ELj32E21rocsparse_complex_numIdEEEvi20rocsparse_direction_NS_24const_host_device_scalarIT1_EEPKiS8_PKS5_iiSA_S6_PS5_21rocsparse_index_base_b, .Lfunc_end147-_ZN9rocsparseL23gebsrmvn_general_kernelILj128ELj32E21rocsparse_complex_numIdEEEvi20rocsparse_direction_NS_24const_host_device_scalarIT1_EEPKiS8_PKS5_iiSA_S6_PS5_21rocsparse_index_base_b
                                        ; -- End function
	.set _ZN9rocsparseL23gebsrmvn_general_kernelILj128ELj32E21rocsparse_complex_numIdEEEvi20rocsparse_direction_NS_24const_host_device_scalarIT1_EEPKiS8_PKS5_iiSA_S6_PS5_21rocsparse_index_base_b.num_vgpr, 32
	.set _ZN9rocsparseL23gebsrmvn_general_kernelILj128ELj32E21rocsparse_complex_numIdEEEvi20rocsparse_direction_NS_24const_host_device_scalarIT1_EEPKiS8_PKS5_iiSA_S6_PS5_21rocsparse_index_base_b.num_agpr, 0
	.set _ZN9rocsparseL23gebsrmvn_general_kernelILj128ELj32E21rocsparse_complex_numIdEEEvi20rocsparse_direction_NS_24const_host_device_scalarIT1_EEPKiS8_PKS5_iiSA_S6_PS5_21rocsparse_index_base_b.numbered_sgpr, 28
	.set _ZN9rocsparseL23gebsrmvn_general_kernelILj128ELj32E21rocsparse_complex_numIdEEEvi20rocsparse_direction_NS_24const_host_device_scalarIT1_EEPKiS8_PKS5_iiSA_S6_PS5_21rocsparse_index_base_b.num_named_barrier, 0
	.set _ZN9rocsparseL23gebsrmvn_general_kernelILj128ELj32E21rocsparse_complex_numIdEEEvi20rocsparse_direction_NS_24const_host_device_scalarIT1_EEPKiS8_PKS5_iiSA_S6_PS5_21rocsparse_index_base_b.private_seg_size, 0
	.set _ZN9rocsparseL23gebsrmvn_general_kernelILj128ELj32E21rocsparse_complex_numIdEEEvi20rocsparse_direction_NS_24const_host_device_scalarIT1_EEPKiS8_PKS5_iiSA_S6_PS5_21rocsparse_index_base_b.uses_vcc, 1
	.set _ZN9rocsparseL23gebsrmvn_general_kernelILj128ELj32E21rocsparse_complex_numIdEEEvi20rocsparse_direction_NS_24const_host_device_scalarIT1_EEPKiS8_PKS5_iiSA_S6_PS5_21rocsparse_index_base_b.uses_flat_scratch, 0
	.set _ZN9rocsparseL23gebsrmvn_general_kernelILj128ELj32E21rocsparse_complex_numIdEEEvi20rocsparse_direction_NS_24const_host_device_scalarIT1_EEPKiS8_PKS5_iiSA_S6_PS5_21rocsparse_index_base_b.has_dyn_sized_stack, 0
	.set _ZN9rocsparseL23gebsrmvn_general_kernelILj128ELj32E21rocsparse_complex_numIdEEEvi20rocsparse_direction_NS_24const_host_device_scalarIT1_EEPKiS8_PKS5_iiSA_S6_PS5_21rocsparse_index_base_b.has_recursion, 0
	.set _ZN9rocsparseL23gebsrmvn_general_kernelILj128ELj32E21rocsparse_complex_numIdEEEvi20rocsparse_direction_NS_24const_host_device_scalarIT1_EEPKiS8_PKS5_iiSA_S6_PS5_21rocsparse_index_base_b.has_indirect_call, 0
	.section	.AMDGPU.csdata,"",@progbits
; Kernel info:
; codeLenInByte = 1244
; TotalNumSgprs: 30
; NumVgprs: 32
; ScratchSize: 0
; MemoryBound: 0
; FloatMode: 240
; IeeeMode: 1
; LDSByteSize: 0 bytes/workgroup (compile time only)
; SGPRBlocks: 0
; VGPRBlocks: 1
; NumSGPRsForWavesPerEU: 30
; NumVGPRsForWavesPerEU: 32
; NamedBarCnt: 0
; Occupancy: 16
; WaveLimiterHint : 1
; COMPUTE_PGM_RSRC2:SCRATCH_EN: 0
; COMPUTE_PGM_RSRC2:USER_SGPR: 2
; COMPUTE_PGM_RSRC2:TRAP_HANDLER: 0
; COMPUTE_PGM_RSRC2:TGID_X_EN: 1
; COMPUTE_PGM_RSRC2:TGID_Y_EN: 0
; COMPUTE_PGM_RSRC2:TGID_Z_EN: 0
; COMPUTE_PGM_RSRC2:TIDIG_COMP_CNT: 0
	.section	.AMDGPU.gpr_maximums,"",@progbits
	.set amdgpu.max_num_vgpr, 0
	.set amdgpu.max_num_agpr, 0
	.set amdgpu.max_num_sgpr, 0
	.section	.AMDGPU.csdata,"",@progbits
	.type	__hip_cuid_3395debafaf5d4c0,@object ; @__hip_cuid_3395debafaf5d4c0
	.section	.bss,"aw",@nobits
	.globl	__hip_cuid_3395debafaf5d4c0
__hip_cuid_3395debafaf5d4c0:
	.byte	0                               ; 0x0
	.size	__hip_cuid_3395debafaf5d4c0, 1

	.ident	"AMD clang version 22.0.0git (https://github.com/RadeonOpenCompute/llvm-project roc-7.2.4 26084 f58b06dce1f9c15707c5f808fd002e18c2accf7e)"
	.section	".note.GNU-stack","",@progbits
	.addrsig
	.addrsig_sym __hip_cuid_3395debafaf5d4c0
	.amdgpu_metadata
---
amdhsa.kernels:
  - .args:
      - .offset:         0
        .size:           4
        .value_kind:     by_value
      - .offset:         4
        .size:           4
        .value_kind:     by_value
      - .offset:         8
        .size:           8
        .value_kind:     by_value
      - .actual_access:  read_only
        .address_space:  global
        .offset:         16
        .size:           8
        .value_kind:     global_buffer
      - .actual_access:  read_only
        .address_space:  global
        .offset:         24
        .size:           8
        .value_kind:     global_buffer
      - .actual_access:  read_only
        .address_space:  global
        .offset:         32
        .size:           8
        .value_kind:     global_buffer
      - .actual_access:  read_only
        .address_space:  global
        .offset:         40
        .size:           8
        .value_kind:     global_buffer
      - .offset:         48
        .size:           8
        .value_kind:     by_value
      - .address_space:  global
        .offset:         56
        .size:           8
        .value_kind:     global_buffer
      - .offset:         64
        .size:           4
        .value_kind:     by_value
      - .offset:         68
        .size:           1
        .value_kind:     by_value
    .group_segment_fixed_size: 0
    .kernarg_segment_align: 8
    .kernarg_segment_size: 72
    .language:       OpenCL C
    .language_version:
      - 2
      - 0
    .max_flat_workgroup_size: 128
    .name:           _ZN9rocsparseL19gebsrmvn_4xn_kernelILj128ELj1ELj4EfEEvi20rocsparse_direction_NS_24const_host_device_scalarIT2_EEPKiS6_PKS3_S8_S4_PS3_21rocsparse_index_base_b
    .private_segment_fixed_size: 0
    .sgpr_count:     20
    .sgpr_spill_count: 0
    .symbol:         _ZN9rocsparseL19gebsrmvn_4xn_kernelILj128ELj1ELj4EfEEvi20rocsparse_direction_NS_24const_host_device_scalarIT2_EEPKiS6_PKS3_S8_S4_PS3_21rocsparse_index_base_b.kd
    .uniform_work_group_size: 1
    .uses_dynamic_stack: false
    .vgpr_count:     20
    .vgpr_spill_count: 0
    .wavefront_size: 32
  - .args:
      - .offset:         0
        .size:           4
        .value_kind:     by_value
      - .offset:         4
        .size:           4
        .value_kind:     by_value
      - .offset:         8
        .size:           8
        .value_kind:     by_value
      - .actual_access:  read_only
        .address_space:  global
        .offset:         16
        .size:           8
        .value_kind:     global_buffer
      - .actual_access:  read_only
        .address_space:  global
        .offset:         24
        .size:           8
        .value_kind:     global_buffer
      - .actual_access:  read_only
        .address_space:  global
        .offset:         32
        .size:           8
        .value_kind:     global_buffer
      - .actual_access:  read_only
        .address_space:  global
        .offset:         40
        .size:           8
        .value_kind:     global_buffer
      - .offset:         48
        .size:           8
        .value_kind:     by_value
      - .address_space:  global
        .offset:         56
        .size:           8
        .value_kind:     global_buffer
      - .offset:         64
        .size:           4
        .value_kind:     by_value
      - .offset:         68
        .size:           1
        .value_kind:     by_value
    .group_segment_fixed_size: 0
    .kernarg_segment_align: 8
    .kernarg_segment_size: 72
    .language:       OpenCL C
    .language_version:
      - 2
      - 0
    .max_flat_workgroup_size: 128
    .name:           _ZN9rocsparseL19gebsrmvn_4xn_kernelILj128ELj1ELj8EfEEvi20rocsparse_direction_NS_24const_host_device_scalarIT2_EEPKiS6_PKS3_S8_S4_PS3_21rocsparse_index_base_b
    .private_segment_fixed_size: 0
    .sgpr_count:     20
    .sgpr_spill_count: 0
    .symbol:         _ZN9rocsparseL19gebsrmvn_4xn_kernelILj128ELj1ELj8EfEEvi20rocsparse_direction_NS_24const_host_device_scalarIT2_EEPKiS6_PKS3_S8_S4_PS3_21rocsparse_index_base_b.kd
    .uniform_work_group_size: 1
    .uses_dynamic_stack: false
    .vgpr_count:     20
    .vgpr_spill_count: 0
    .wavefront_size: 32
  - .args:
      - .offset:         0
        .size:           4
        .value_kind:     by_value
      - .offset:         4
        .size:           4
        .value_kind:     by_value
      - .offset:         8
        .size:           8
        .value_kind:     by_value
      - .actual_access:  read_only
        .address_space:  global
        .offset:         16
        .size:           8
        .value_kind:     global_buffer
      - .actual_access:  read_only
        .address_space:  global
        .offset:         24
        .size:           8
        .value_kind:     global_buffer
      - .actual_access:  read_only
        .address_space:  global
        .offset:         32
        .size:           8
        .value_kind:     global_buffer
      - .actual_access:  read_only
        .address_space:  global
        .offset:         40
        .size:           8
        .value_kind:     global_buffer
      - .offset:         48
        .size:           8
        .value_kind:     by_value
      - .address_space:  global
        .offset:         56
        .size:           8
        .value_kind:     global_buffer
      - .offset:         64
        .size:           4
        .value_kind:     by_value
      - .offset:         68
        .size:           1
        .value_kind:     by_value
    .group_segment_fixed_size: 0
    .kernarg_segment_align: 8
    .kernarg_segment_size: 72
    .language:       OpenCL C
    .language_version:
      - 2
      - 0
    .max_flat_workgroup_size: 128
    .name:           _ZN9rocsparseL19gebsrmvn_4xn_kernelILj128ELj1ELj16EfEEvi20rocsparse_direction_NS_24const_host_device_scalarIT2_EEPKiS6_PKS3_S8_S4_PS3_21rocsparse_index_base_b
    .private_segment_fixed_size: 0
    .sgpr_count:     20
    .sgpr_spill_count: 0
    .symbol:         _ZN9rocsparseL19gebsrmvn_4xn_kernelILj128ELj1ELj16EfEEvi20rocsparse_direction_NS_24const_host_device_scalarIT2_EEPKiS6_PKS3_S8_S4_PS3_21rocsparse_index_base_b.kd
    .uniform_work_group_size: 1
    .uses_dynamic_stack: false
    .vgpr_count:     20
    .vgpr_spill_count: 0
    .wavefront_size: 32
  - .args:
      - .offset:         0
        .size:           4
        .value_kind:     by_value
      - .offset:         4
        .size:           4
        .value_kind:     by_value
      - .offset:         8
        .size:           8
        .value_kind:     by_value
      - .actual_access:  read_only
        .address_space:  global
        .offset:         16
        .size:           8
        .value_kind:     global_buffer
      - .actual_access:  read_only
        .address_space:  global
        .offset:         24
        .size:           8
        .value_kind:     global_buffer
      - .actual_access:  read_only
        .address_space:  global
        .offset:         32
        .size:           8
        .value_kind:     global_buffer
      - .actual_access:  read_only
        .address_space:  global
        .offset:         40
        .size:           8
        .value_kind:     global_buffer
      - .offset:         48
        .size:           8
        .value_kind:     by_value
      - .address_space:  global
        .offset:         56
        .size:           8
        .value_kind:     global_buffer
      - .offset:         64
        .size:           4
        .value_kind:     by_value
      - .offset:         68
        .size:           1
        .value_kind:     by_value
    .group_segment_fixed_size: 0
    .kernarg_segment_align: 8
    .kernarg_segment_size: 72
    .language:       OpenCL C
    .language_version:
      - 2
      - 0
    .max_flat_workgroup_size: 128
    .name:           _ZN9rocsparseL19gebsrmvn_4xn_kernelILj128ELj1ELj32EfEEvi20rocsparse_direction_NS_24const_host_device_scalarIT2_EEPKiS6_PKS3_S8_S4_PS3_21rocsparse_index_base_b
    .private_segment_fixed_size: 0
    .sgpr_count:     20
    .sgpr_spill_count: 0
    .symbol:         _ZN9rocsparseL19gebsrmvn_4xn_kernelILj128ELj1ELj32EfEEvi20rocsparse_direction_NS_24const_host_device_scalarIT2_EEPKiS6_PKS3_S8_S4_PS3_21rocsparse_index_base_b.kd
    .uniform_work_group_size: 1
    .uses_dynamic_stack: false
    .vgpr_count:     20
    .vgpr_spill_count: 0
    .wavefront_size: 32
  - .args:
      - .offset:         0
        .size:           4
        .value_kind:     by_value
      - .offset:         4
        .size:           4
        .value_kind:     by_value
      - .offset:         8
        .size:           8
        .value_kind:     by_value
      - .actual_access:  read_only
        .address_space:  global
        .offset:         16
        .size:           8
        .value_kind:     global_buffer
      - .actual_access:  read_only
        .address_space:  global
        .offset:         24
        .size:           8
        .value_kind:     global_buffer
      - .actual_access:  read_only
        .address_space:  global
        .offset:         32
        .size:           8
        .value_kind:     global_buffer
      - .actual_access:  read_only
        .address_space:  global
        .offset:         40
        .size:           8
        .value_kind:     global_buffer
      - .offset:         48
        .size:           8
        .value_kind:     by_value
      - .address_space:  global
        .offset:         56
        .size:           8
        .value_kind:     global_buffer
      - .offset:         64
        .size:           4
        .value_kind:     by_value
      - .offset:         68
        .size:           1
        .value_kind:     by_value
    .group_segment_fixed_size: 0
    .kernarg_segment_align: 8
    .kernarg_segment_size: 72
    .language:       OpenCL C
    .language_version:
      - 2
      - 0
    .max_flat_workgroup_size: 128
    .name:           _ZN9rocsparseL19gebsrmvn_4xn_kernelILj128ELj1ELj64EfEEvi20rocsparse_direction_NS_24const_host_device_scalarIT2_EEPKiS6_PKS3_S8_S4_PS3_21rocsparse_index_base_b
    .private_segment_fixed_size: 0
    .sgpr_count:     20
    .sgpr_spill_count: 0
    .symbol:         _ZN9rocsparseL19gebsrmvn_4xn_kernelILj128ELj1ELj64EfEEvi20rocsparse_direction_NS_24const_host_device_scalarIT2_EEPKiS6_PKS3_S8_S4_PS3_21rocsparse_index_base_b.kd
    .uniform_work_group_size: 1
    .uses_dynamic_stack: false
    .vgpr_count:     20
    .vgpr_spill_count: 0
    .wavefront_size: 32
  - .args:
      - .offset:         0
        .size:           4
        .value_kind:     by_value
      - .offset:         4
        .size:           4
        .value_kind:     by_value
      - .offset:         8
        .size:           8
        .value_kind:     by_value
      - .actual_access:  read_only
        .address_space:  global
        .offset:         16
        .size:           8
        .value_kind:     global_buffer
      - .actual_access:  read_only
        .address_space:  global
        .offset:         24
        .size:           8
        .value_kind:     global_buffer
      - .actual_access:  read_only
        .address_space:  global
        .offset:         32
        .size:           8
        .value_kind:     global_buffer
      - .actual_access:  read_only
        .address_space:  global
        .offset:         40
        .size:           8
        .value_kind:     global_buffer
      - .offset:         48
        .size:           8
        .value_kind:     by_value
      - .address_space:  global
        .offset:         56
        .size:           8
        .value_kind:     global_buffer
      - .offset:         64
        .size:           4
        .value_kind:     by_value
      - .offset:         68
        .size:           1
        .value_kind:     by_value
    .group_segment_fixed_size: 0
    .kernarg_segment_align: 8
    .kernarg_segment_size: 72
    .language:       OpenCL C
    .language_version:
      - 2
      - 0
    .max_flat_workgroup_size: 128
    .name:           _ZN9rocsparseL19gebsrmvn_4xn_kernelILj128ELj2ELj4EfEEvi20rocsparse_direction_NS_24const_host_device_scalarIT2_EEPKiS6_PKS3_S8_S4_PS3_21rocsparse_index_base_b
    .private_segment_fixed_size: 0
    .sgpr_count:     20
    .sgpr_spill_count: 0
    .symbol:         _ZN9rocsparseL19gebsrmvn_4xn_kernelILj128ELj2ELj4EfEEvi20rocsparse_direction_NS_24const_host_device_scalarIT2_EEPKiS6_PKS3_S8_S4_PS3_21rocsparse_index_base_b.kd
    .uniform_work_group_size: 1
    .uses_dynamic_stack: false
    .vgpr_count:     26
    .vgpr_spill_count: 0
    .wavefront_size: 32
  - .args:
      - .offset:         0
        .size:           4
        .value_kind:     by_value
      - .offset:         4
        .size:           4
        .value_kind:     by_value
      - .offset:         8
        .size:           8
        .value_kind:     by_value
      - .actual_access:  read_only
        .address_space:  global
        .offset:         16
        .size:           8
        .value_kind:     global_buffer
      - .actual_access:  read_only
        .address_space:  global
        .offset:         24
        .size:           8
        .value_kind:     global_buffer
      - .actual_access:  read_only
        .address_space:  global
        .offset:         32
        .size:           8
        .value_kind:     global_buffer
      - .actual_access:  read_only
        .address_space:  global
        .offset:         40
        .size:           8
        .value_kind:     global_buffer
      - .offset:         48
        .size:           8
        .value_kind:     by_value
      - .address_space:  global
        .offset:         56
        .size:           8
        .value_kind:     global_buffer
      - .offset:         64
        .size:           4
        .value_kind:     by_value
      - .offset:         68
        .size:           1
        .value_kind:     by_value
    .group_segment_fixed_size: 0
    .kernarg_segment_align: 8
    .kernarg_segment_size: 72
    .language:       OpenCL C
    .language_version:
      - 2
      - 0
    .max_flat_workgroup_size: 128
    .name:           _ZN9rocsparseL19gebsrmvn_4xn_kernelILj128ELj2ELj8EfEEvi20rocsparse_direction_NS_24const_host_device_scalarIT2_EEPKiS6_PKS3_S8_S4_PS3_21rocsparse_index_base_b
    .private_segment_fixed_size: 0
    .sgpr_count:     20
    .sgpr_spill_count: 0
    .symbol:         _ZN9rocsparseL19gebsrmvn_4xn_kernelILj128ELj2ELj8EfEEvi20rocsparse_direction_NS_24const_host_device_scalarIT2_EEPKiS6_PKS3_S8_S4_PS3_21rocsparse_index_base_b.kd
    .uniform_work_group_size: 1
    .uses_dynamic_stack: false
    .vgpr_count:     26
    .vgpr_spill_count: 0
    .wavefront_size: 32
  - .args:
      - .offset:         0
        .size:           4
        .value_kind:     by_value
      - .offset:         4
        .size:           4
        .value_kind:     by_value
      - .offset:         8
        .size:           8
        .value_kind:     by_value
      - .actual_access:  read_only
        .address_space:  global
        .offset:         16
        .size:           8
        .value_kind:     global_buffer
      - .actual_access:  read_only
        .address_space:  global
        .offset:         24
        .size:           8
        .value_kind:     global_buffer
      - .actual_access:  read_only
        .address_space:  global
        .offset:         32
        .size:           8
        .value_kind:     global_buffer
      - .actual_access:  read_only
        .address_space:  global
        .offset:         40
        .size:           8
        .value_kind:     global_buffer
      - .offset:         48
        .size:           8
        .value_kind:     by_value
      - .address_space:  global
        .offset:         56
        .size:           8
        .value_kind:     global_buffer
      - .offset:         64
        .size:           4
        .value_kind:     by_value
      - .offset:         68
        .size:           1
        .value_kind:     by_value
    .group_segment_fixed_size: 0
    .kernarg_segment_align: 8
    .kernarg_segment_size: 72
    .language:       OpenCL C
    .language_version:
      - 2
      - 0
    .max_flat_workgroup_size: 128
    .name:           _ZN9rocsparseL19gebsrmvn_4xn_kernelILj128ELj2ELj16EfEEvi20rocsparse_direction_NS_24const_host_device_scalarIT2_EEPKiS6_PKS3_S8_S4_PS3_21rocsparse_index_base_b
    .private_segment_fixed_size: 0
    .sgpr_count:     20
    .sgpr_spill_count: 0
    .symbol:         _ZN9rocsparseL19gebsrmvn_4xn_kernelILj128ELj2ELj16EfEEvi20rocsparse_direction_NS_24const_host_device_scalarIT2_EEPKiS6_PKS3_S8_S4_PS3_21rocsparse_index_base_b.kd
    .uniform_work_group_size: 1
    .uses_dynamic_stack: false
    .vgpr_count:     26
    .vgpr_spill_count: 0
    .wavefront_size: 32
  - .args:
      - .offset:         0
        .size:           4
        .value_kind:     by_value
      - .offset:         4
        .size:           4
        .value_kind:     by_value
      - .offset:         8
        .size:           8
        .value_kind:     by_value
      - .actual_access:  read_only
        .address_space:  global
        .offset:         16
        .size:           8
        .value_kind:     global_buffer
      - .actual_access:  read_only
        .address_space:  global
        .offset:         24
        .size:           8
        .value_kind:     global_buffer
      - .actual_access:  read_only
        .address_space:  global
        .offset:         32
        .size:           8
        .value_kind:     global_buffer
      - .actual_access:  read_only
        .address_space:  global
        .offset:         40
        .size:           8
        .value_kind:     global_buffer
      - .offset:         48
        .size:           8
        .value_kind:     by_value
      - .address_space:  global
        .offset:         56
        .size:           8
        .value_kind:     global_buffer
      - .offset:         64
        .size:           4
        .value_kind:     by_value
      - .offset:         68
        .size:           1
        .value_kind:     by_value
    .group_segment_fixed_size: 0
    .kernarg_segment_align: 8
    .kernarg_segment_size: 72
    .language:       OpenCL C
    .language_version:
      - 2
      - 0
    .max_flat_workgroup_size: 128
    .name:           _ZN9rocsparseL19gebsrmvn_4xn_kernelILj128ELj2ELj32EfEEvi20rocsparse_direction_NS_24const_host_device_scalarIT2_EEPKiS6_PKS3_S8_S4_PS3_21rocsparse_index_base_b
    .private_segment_fixed_size: 0
    .sgpr_count:     20
    .sgpr_spill_count: 0
    .symbol:         _ZN9rocsparseL19gebsrmvn_4xn_kernelILj128ELj2ELj32EfEEvi20rocsparse_direction_NS_24const_host_device_scalarIT2_EEPKiS6_PKS3_S8_S4_PS3_21rocsparse_index_base_b.kd
    .uniform_work_group_size: 1
    .uses_dynamic_stack: false
    .vgpr_count:     26
    .vgpr_spill_count: 0
    .wavefront_size: 32
  - .args:
      - .offset:         0
        .size:           4
        .value_kind:     by_value
      - .offset:         4
        .size:           4
        .value_kind:     by_value
      - .offset:         8
        .size:           8
        .value_kind:     by_value
      - .actual_access:  read_only
        .address_space:  global
        .offset:         16
        .size:           8
        .value_kind:     global_buffer
      - .actual_access:  read_only
        .address_space:  global
        .offset:         24
        .size:           8
        .value_kind:     global_buffer
      - .actual_access:  read_only
        .address_space:  global
        .offset:         32
        .size:           8
        .value_kind:     global_buffer
      - .actual_access:  read_only
        .address_space:  global
        .offset:         40
        .size:           8
        .value_kind:     global_buffer
      - .offset:         48
        .size:           8
        .value_kind:     by_value
      - .address_space:  global
        .offset:         56
        .size:           8
        .value_kind:     global_buffer
      - .offset:         64
        .size:           4
        .value_kind:     by_value
      - .offset:         68
        .size:           1
        .value_kind:     by_value
    .group_segment_fixed_size: 0
    .kernarg_segment_align: 8
    .kernarg_segment_size: 72
    .language:       OpenCL C
    .language_version:
      - 2
      - 0
    .max_flat_workgroup_size: 128
    .name:           _ZN9rocsparseL19gebsrmvn_4xn_kernelILj128ELj2ELj64EfEEvi20rocsparse_direction_NS_24const_host_device_scalarIT2_EEPKiS6_PKS3_S8_S4_PS3_21rocsparse_index_base_b
    .private_segment_fixed_size: 0
    .sgpr_count:     20
    .sgpr_spill_count: 0
    .symbol:         _ZN9rocsparseL19gebsrmvn_4xn_kernelILj128ELj2ELj64EfEEvi20rocsparse_direction_NS_24const_host_device_scalarIT2_EEPKiS6_PKS3_S8_S4_PS3_21rocsparse_index_base_b.kd
    .uniform_work_group_size: 1
    .uses_dynamic_stack: false
    .vgpr_count:     26
    .vgpr_spill_count: 0
    .wavefront_size: 32
  - .args:
      - .offset:         0
        .size:           4
        .value_kind:     by_value
      - .offset:         4
        .size:           4
        .value_kind:     by_value
      - .offset:         8
        .size:           8
        .value_kind:     by_value
      - .actual_access:  read_only
        .address_space:  global
        .offset:         16
        .size:           8
        .value_kind:     global_buffer
      - .actual_access:  read_only
        .address_space:  global
        .offset:         24
        .size:           8
        .value_kind:     global_buffer
      - .actual_access:  read_only
        .address_space:  global
        .offset:         32
        .size:           8
        .value_kind:     global_buffer
      - .actual_access:  read_only
        .address_space:  global
        .offset:         40
        .size:           8
        .value_kind:     global_buffer
      - .offset:         48
        .size:           8
        .value_kind:     by_value
      - .address_space:  global
        .offset:         56
        .size:           8
        .value_kind:     global_buffer
      - .offset:         64
        .size:           4
        .value_kind:     by_value
      - .offset:         68
        .size:           1
        .value_kind:     by_value
    .group_segment_fixed_size: 0
    .kernarg_segment_align: 8
    .kernarg_segment_size: 72
    .language:       OpenCL C
    .language_version:
      - 2
      - 0
    .max_flat_workgroup_size: 128
    .name:           _ZN9rocsparseL19gebsrmvn_4xn_kernelILj128ELj3ELj4EfEEvi20rocsparse_direction_NS_24const_host_device_scalarIT2_EEPKiS6_PKS3_S8_S4_PS3_21rocsparse_index_base_b
    .private_segment_fixed_size: 0
    .sgpr_count:     20
    .sgpr_spill_count: 0
    .symbol:         _ZN9rocsparseL19gebsrmvn_4xn_kernelILj128ELj3ELj4EfEEvi20rocsparse_direction_NS_24const_host_device_scalarIT2_EEPKiS6_PKS3_S8_S4_PS3_21rocsparse_index_base_b.kd
    .uniform_work_group_size: 1
    .uses_dynamic_stack: false
    .vgpr_count:     32
    .vgpr_spill_count: 0
    .wavefront_size: 32
  - .args:
      - .offset:         0
        .size:           4
        .value_kind:     by_value
      - .offset:         4
        .size:           4
        .value_kind:     by_value
      - .offset:         8
        .size:           8
        .value_kind:     by_value
      - .actual_access:  read_only
        .address_space:  global
        .offset:         16
        .size:           8
        .value_kind:     global_buffer
      - .actual_access:  read_only
        .address_space:  global
        .offset:         24
        .size:           8
        .value_kind:     global_buffer
      - .actual_access:  read_only
        .address_space:  global
        .offset:         32
        .size:           8
        .value_kind:     global_buffer
      - .actual_access:  read_only
        .address_space:  global
        .offset:         40
        .size:           8
        .value_kind:     global_buffer
      - .offset:         48
        .size:           8
        .value_kind:     by_value
      - .address_space:  global
        .offset:         56
        .size:           8
        .value_kind:     global_buffer
      - .offset:         64
        .size:           4
        .value_kind:     by_value
      - .offset:         68
        .size:           1
        .value_kind:     by_value
    .group_segment_fixed_size: 0
    .kernarg_segment_align: 8
    .kernarg_segment_size: 72
    .language:       OpenCL C
    .language_version:
      - 2
      - 0
    .max_flat_workgroup_size: 128
    .name:           _ZN9rocsparseL19gebsrmvn_4xn_kernelILj128ELj3ELj8EfEEvi20rocsparse_direction_NS_24const_host_device_scalarIT2_EEPKiS6_PKS3_S8_S4_PS3_21rocsparse_index_base_b
    .private_segment_fixed_size: 0
    .sgpr_count:     20
    .sgpr_spill_count: 0
    .symbol:         _ZN9rocsparseL19gebsrmvn_4xn_kernelILj128ELj3ELj8EfEEvi20rocsparse_direction_NS_24const_host_device_scalarIT2_EEPKiS6_PKS3_S8_S4_PS3_21rocsparse_index_base_b.kd
    .uniform_work_group_size: 1
    .uses_dynamic_stack: false
    .vgpr_count:     32
    .vgpr_spill_count: 0
    .wavefront_size: 32
  - .args:
      - .offset:         0
        .size:           4
        .value_kind:     by_value
      - .offset:         4
        .size:           4
        .value_kind:     by_value
      - .offset:         8
        .size:           8
        .value_kind:     by_value
      - .actual_access:  read_only
        .address_space:  global
        .offset:         16
        .size:           8
        .value_kind:     global_buffer
      - .actual_access:  read_only
        .address_space:  global
        .offset:         24
        .size:           8
        .value_kind:     global_buffer
      - .actual_access:  read_only
        .address_space:  global
        .offset:         32
        .size:           8
        .value_kind:     global_buffer
      - .actual_access:  read_only
        .address_space:  global
        .offset:         40
        .size:           8
        .value_kind:     global_buffer
      - .offset:         48
        .size:           8
        .value_kind:     by_value
      - .address_space:  global
        .offset:         56
        .size:           8
        .value_kind:     global_buffer
      - .offset:         64
        .size:           4
        .value_kind:     by_value
      - .offset:         68
        .size:           1
        .value_kind:     by_value
    .group_segment_fixed_size: 0
    .kernarg_segment_align: 8
    .kernarg_segment_size: 72
    .language:       OpenCL C
    .language_version:
      - 2
      - 0
    .max_flat_workgroup_size: 128
    .name:           _ZN9rocsparseL19gebsrmvn_4xn_kernelILj128ELj3ELj16EfEEvi20rocsparse_direction_NS_24const_host_device_scalarIT2_EEPKiS6_PKS3_S8_S4_PS3_21rocsparse_index_base_b
    .private_segment_fixed_size: 0
    .sgpr_count:     20
    .sgpr_spill_count: 0
    .symbol:         _ZN9rocsparseL19gebsrmvn_4xn_kernelILj128ELj3ELj16EfEEvi20rocsparse_direction_NS_24const_host_device_scalarIT2_EEPKiS6_PKS3_S8_S4_PS3_21rocsparse_index_base_b.kd
    .uniform_work_group_size: 1
    .uses_dynamic_stack: false
    .vgpr_count:     32
    .vgpr_spill_count: 0
    .wavefront_size: 32
  - .args:
      - .offset:         0
        .size:           4
        .value_kind:     by_value
      - .offset:         4
        .size:           4
        .value_kind:     by_value
      - .offset:         8
        .size:           8
        .value_kind:     by_value
      - .actual_access:  read_only
        .address_space:  global
        .offset:         16
        .size:           8
        .value_kind:     global_buffer
      - .actual_access:  read_only
        .address_space:  global
        .offset:         24
        .size:           8
        .value_kind:     global_buffer
      - .actual_access:  read_only
        .address_space:  global
        .offset:         32
        .size:           8
        .value_kind:     global_buffer
      - .actual_access:  read_only
        .address_space:  global
        .offset:         40
        .size:           8
        .value_kind:     global_buffer
      - .offset:         48
        .size:           8
        .value_kind:     by_value
      - .address_space:  global
        .offset:         56
        .size:           8
        .value_kind:     global_buffer
      - .offset:         64
        .size:           4
        .value_kind:     by_value
      - .offset:         68
        .size:           1
        .value_kind:     by_value
    .group_segment_fixed_size: 0
    .kernarg_segment_align: 8
    .kernarg_segment_size: 72
    .language:       OpenCL C
    .language_version:
      - 2
      - 0
    .max_flat_workgroup_size: 128
    .name:           _ZN9rocsparseL19gebsrmvn_4xn_kernelILj128ELj3ELj32EfEEvi20rocsparse_direction_NS_24const_host_device_scalarIT2_EEPKiS6_PKS3_S8_S4_PS3_21rocsparse_index_base_b
    .private_segment_fixed_size: 0
    .sgpr_count:     20
    .sgpr_spill_count: 0
    .symbol:         _ZN9rocsparseL19gebsrmvn_4xn_kernelILj128ELj3ELj32EfEEvi20rocsparse_direction_NS_24const_host_device_scalarIT2_EEPKiS6_PKS3_S8_S4_PS3_21rocsparse_index_base_b.kd
    .uniform_work_group_size: 1
    .uses_dynamic_stack: false
    .vgpr_count:     32
    .vgpr_spill_count: 0
    .wavefront_size: 32
  - .args:
      - .offset:         0
        .size:           4
        .value_kind:     by_value
      - .offset:         4
        .size:           4
        .value_kind:     by_value
      - .offset:         8
        .size:           8
        .value_kind:     by_value
      - .actual_access:  read_only
        .address_space:  global
        .offset:         16
        .size:           8
        .value_kind:     global_buffer
      - .actual_access:  read_only
        .address_space:  global
        .offset:         24
        .size:           8
        .value_kind:     global_buffer
      - .actual_access:  read_only
        .address_space:  global
        .offset:         32
        .size:           8
        .value_kind:     global_buffer
      - .actual_access:  read_only
        .address_space:  global
        .offset:         40
        .size:           8
        .value_kind:     global_buffer
      - .offset:         48
        .size:           8
        .value_kind:     by_value
      - .address_space:  global
        .offset:         56
        .size:           8
        .value_kind:     global_buffer
      - .offset:         64
        .size:           4
        .value_kind:     by_value
      - .offset:         68
        .size:           1
        .value_kind:     by_value
    .group_segment_fixed_size: 0
    .kernarg_segment_align: 8
    .kernarg_segment_size: 72
    .language:       OpenCL C
    .language_version:
      - 2
      - 0
    .max_flat_workgroup_size: 128
    .name:           _ZN9rocsparseL19gebsrmvn_4xn_kernelILj128ELj3ELj64EfEEvi20rocsparse_direction_NS_24const_host_device_scalarIT2_EEPKiS6_PKS3_S8_S4_PS3_21rocsparse_index_base_b
    .private_segment_fixed_size: 0
    .sgpr_count:     20
    .sgpr_spill_count: 0
    .symbol:         _ZN9rocsparseL19gebsrmvn_4xn_kernelILj128ELj3ELj64EfEEvi20rocsparse_direction_NS_24const_host_device_scalarIT2_EEPKiS6_PKS3_S8_S4_PS3_21rocsparse_index_base_b.kd
    .uniform_work_group_size: 1
    .uses_dynamic_stack: false
    .vgpr_count:     32
    .vgpr_spill_count: 0
    .wavefront_size: 32
  - .args:
      - .offset:         0
        .size:           4
        .value_kind:     by_value
      - .offset:         4
        .size:           4
        .value_kind:     by_value
      - .offset:         8
        .size:           8
        .value_kind:     by_value
      - .actual_access:  read_only
        .address_space:  global
        .offset:         16
        .size:           8
        .value_kind:     global_buffer
      - .actual_access:  read_only
        .address_space:  global
        .offset:         24
        .size:           8
        .value_kind:     global_buffer
      - .actual_access:  read_only
        .address_space:  global
        .offset:         32
        .size:           8
        .value_kind:     global_buffer
      - .actual_access:  read_only
        .address_space:  global
        .offset:         40
        .size:           8
        .value_kind:     global_buffer
      - .offset:         48
        .size:           8
        .value_kind:     by_value
      - .address_space:  global
        .offset:         56
        .size:           8
        .value_kind:     global_buffer
      - .offset:         64
        .size:           4
        .value_kind:     by_value
      - .offset:         68
        .size:           1
        .value_kind:     by_value
    .group_segment_fixed_size: 0
    .kernarg_segment_align: 8
    .kernarg_segment_size: 72
    .language:       OpenCL C
    .language_version:
      - 2
      - 0
    .max_flat_workgroup_size: 128
    .name:           _ZN9rocsparseL19gebsrmvn_4xn_kernelILj128ELj5ELj4EfEEvi20rocsparse_direction_NS_24const_host_device_scalarIT2_EEPKiS6_PKS3_S8_S4_PS3_21rocsparse_index_base_b
    .private_segment_fixed_size: 0
    .sgpr_count:     20
    .sgpr_spill_count: 0
    .symbol:         _ZN9rocsparseL19gebsrmvn_4xn_kernelILj128ELj5ELj4EfEEvi20rocsparse_direction_NS_24const_host_device_scalarIT2_EEPKiS6_PKS3_S8_S4_PS3_21rocsparse_index_base_b.kd
    .uniform_work_group_size: 1
    .uses_dynamic_stack: false
    .vgpr_count:     44
    .vgpr_spill_count: 0
    .wavefront_size: 32
  - .args:
      - .offset:         0
        .size:           4
        .value_kind:     by_value
      - .offset:         4
        .size:           4
        .value_kind:     by_value
      - .offset:         8
        .size:           8
        .value_kind:     by_value
      - .actual_access:  read_only
        .address_space:  global
        .offset:         16
        .size:           8
        .value_kind:     global_buffer
      - .actual_access:  read_only
        .address_space:  global
        .offset:         24
        .size:           8
        .value_kind:     global_buffer
      - .actual_access:  read_only
        .address_space:  global
        .offset:         32
        .size:           8
        .value_kind:     global_buffer
      - .actual_access:  read_only
        .address_space:  global
        .offset:         40
        .size:           8
        .value_kind:     global_buffer
      - .offset:         48
        .size:           8
        .value_kind:     by_value
      - .address_space:  global
        .offset:         56
        .size:           8
        .value_kind:     global_buffer
      - .offset:         64
        .size:           4
        .value_kind:     by_value
      - .offset:         68
        .size:           1
        .value_kind:     by_value
    .group_segment_fixed_size: 0
    .kernarg_segment_align: 8
    .kernarg_segment_size: 72
    .language:       OpenCL C
    .language_version:
      - 2
      - 0
    .max_flat_workgroup_size: 128
    .name:           _ZN9rocsparseL19gebsrmvn_4xn_kernelILj128ELj5ELj8EfEEvi20rocsparse_direction_NS_24const_host_device_scalarIT2_EEPKiS6_PKS3_S8_S4_PS3_21rocsparse_index_base_b
    .private_segment_fixed_size: 0
    .sgpr_count:     20
    .sgpr_spill_count: 0
    .symbol:         _ZN9rocsparseL19gebsrmvn_4xn_kernelILj128ELj5ELj8EfEEvi20rocsparse_direction_NS_24const_host_device_scalarIT2_EEPKiS6_PKS3_S8_S4_PS3_21rocsparse_index_base_b.kd
    .uniform_work_group_size: 1
    .uses_dynamic_stack: false
    .vgpr_count:     44
    .vgpr_spill_count: 0
    .wavefront_size: 32
  - .args:
      - .offset:         0
        .size:           4
        .value_kind:     by_value
      - .offset:         4
        .size:           4
        .value_kind:     by_value
      - .offset:         8
        .size:           8
        .value_kind:     by_value
      - .actual_access:  read_only
        .address_space:  global
        .offset:         16
        .size:           8
        .value_kind:     global_buffer
      - .actual_access:  read_only
        .address_space:  global
        .offset:         24
        .size:           8
        .value_kind:     global_buffer
      - .actual_access:  read_only
        .address_space:  global
        .offset:         32
        .size:           8
        .value_kind:     global_buffer
      - .actual_access:  read_only
        .address_space:  global
        .offset:         40
        .size:           8
        .value_kind:     global_buffer
      - .offset:         48
        .size:           8
        .value_kind:     by_value
      - .address_space:  global
        .offset:         56
        .size:           8
        .value_kind:     global_buffer
      - .offset:         64
        .size:           4
        .value_kind:     by_value
      - .offset:         68
        .size:           1
        .value_kind:     by_value
    .group_segment_fixed_size: 0
    .kernarg_segment_align: 8
    .kernarg_segment_size: 72
    .language:       OpenCL C
    .language_version:
      - 2
      - 0
    .max_flat_workgroup_size: 128
    .name:           _ZN9rocsparseL19gebsrmvn_4xn_kernelILj128ELj5ELj16EfEEvi20rocsparse_direction_NS_24const_host_device_scalarIT2_EEPKiS6_PKS3_S8_S4_PS3_21rocsparse_index_base_b
    .private_segment_fixed_size: 0
    .sgpr_count:     20
    .sgpr_spill_count: 0
    .symbol:         _ZN9rocsparseL19gebsrmvn_4xn_kernelILj128ELj5ELj16EfEEvi20rocsparse_direction_NS_24const_host_device_scalarIT2_EEPKiS6_PKS3_S8_S4_PS3_21rocsparse_index_base_b.kd
    .uniform_work_group_size: 1
    .uses_dynamic_stack: false
    .vgpr_count:     44
    .vgpr_spill_count: 0
    .wavefront_size: 32
  - .args:
      - .offset:         0
        .size:           4
        .value_kind:     by_value
      - .offset:         4
        .size:           4
        .value_kind:     by_value
      - .offset:         8
        .size:           8
        .value_kind:     by_value
      - .actual_access:  read_only
        .address_space:  global
        .offset:         16
        .size:           8
        .value_kind:     global_buffer
      - .actual_access:  read_only
        .address_space:  global
        .offset:         24
        .size:           8
        .value_kind:     global_buffer
      - .actual_access:  read_only
        .address_space:  global
        .offset:         32
        .size:           8
        .value_kind:     global_buffer
      - .actual_access:  read_only
        .address_space:  global
        .offset:         40
        .size:           8
        .value_kind:     global_buffer
      - .offset:         48
        .size:           8
        .value_kind:     by_value
      - .address_space:  global
        .offset:         56
        .size:           8
        .value_kind:     global_buffer
      - .offset:         64
        .size:           4
        .value_kind:     by_value
      - .offset:         68
        .size:           1
        .value_kind:     by_value
    .group_segment_fixed_size: 0
    .kernarg_segment_align: 8
    .kernarg_segment_size: 72
    .language:       OpenCL C
    .language_version:
      - 2
      - 0
    .max_flat_workgroup_size: 128
    .name:           _ZN9rocsparseL19gebsrmvn_4xn_kernelILj128ELj5ELj32EfEEvi20rocsparse_direction_NS_24const_host_device_scalarIT2_EEPKiS6_PKS3_S8_S4_PS3_21rocsparse_index_base_b
    .private_segment_fixed_size: 0
    .sgpr_count:     20
    .sgpr_spill_count: 0
    .symbol:         _ZN9rocsparseL19gebsrmvn_4xn_kernelILj128ELj5ELj32EfEEvi20rocsparse_direction_NS_24const_host_device_scalarIT2_EEPKiS6_PKS3_S8_S4_PS3_21rocsparse_index_base_b.kd
    .uniform_work_group_size: 1
    .uses_dynamic_stack: false
    .vgpr_count:     44
    .vgpr_spill_count: 0
    .wavefront_size: 32
  - .args:
      - .offset:         0
        .size:           4
        .value_kind:     by_value
      - .offset:         4
        .size:           4
        .value_kind:     by_value
      - .offset:         8
        .size:           8
        .value_kind:     by_value
      - .actual_access:  read_only
        .address_space:  global
        .offset:         16
        .size:           8
        .value_kind:     global_buffer
      - .actual_access:  read_only
        .address_space:  global
        .offset:         24
        .size:           8
        .value_kind:     global_buffer
      - .actual_access:  read_only
        .address_space:  global
        .offset:         32
        .size:           8
        .value_kind:     global_buffer
      - .actual_access:  read_only
        .address_space:  global
        .offset:         40
        .size:           8
        .value_kind:     global_buffer
      - .offset:         48
        .size:           8
        .value_kind:     by_value
      - .address_space:  global
        .offset:         56
        .size:           8
        .value_kind:     global_buffer
      - .offset:         64
        .size:           4
        .value_kind:     by_value
      - .offset:         68
        .size:           1
        .value_kind:     by_value
    .group_segment_fixed_size: 0
    .kernarg_segment_align: 8
    .kernarg_segment_size: 72
    .language:       OpenCL C
    .language_version:
      - 2
      - 0
    .max_flat_workgroup_size: 128
    .name:           _ZN9rocsparseL19gebsrmvn_4xn_kernelILj128ELj5ELj64EfEEvi20rocsparse_direction_NS_24const_host_device_scalarIT2_EEPKiS6_PKS3_S8_S4_PS3_21rocsparse_index_base_b
    .private_segment_fixed_size: 0
    .sgpr_count:     20
    .sgpr_spill_count: 0
    .symbol:         _ZN9rocsparseL19gebsrmvn_4xn_kernelILj128ELj5ELj64EfEEvi20rocsparse_direction_NS_24const_host_device_scalarIT2_EEPKiS6_PKS3_S8_S4_PS3_21rocsparse_index_base_b.kd
    .uniform_work_group_size: 1
    .uses_dynamic_stack: false
    .vgpr_count:     44
    .vgpr_spill_count: 0
    .wavefront_size: 32
  - .args:
      - .offset:         0
        .size:           4
        .value_kind:     by_value
      - .offset:         4
        .size:           4
        .value_kind:     by_value
      - .offset:         8
        .size:           8
        .value_kind:     by_value
      - .actual_access:  read_only
        .address_space:  global
        .offset:         16
        .size:           8
        .value_kind:     global_buffer
      - .actual_access:  read_only
        .address_space:  global
        .offset:         24
        .size:           8
        .value_kind:     global_buffer
      - .actual_access:  read_only
        .address_space:  global
        .offset:         32
        .size:           8
        .value_kind:     global_buffer
      - .actual_access:  read_only
        .address_space:  global
        .offset:         40
        .size:           8
        .value_kind:     global_buffer
      - .offset:         48
        .size:           8
        .value_kind:     by_value
      - .address_space:  global
        .offset:         56
        .size:           8
        .value_kind:     global_buffer
      - .offset:         64
        .size:           4
        .value_kind:     by_value
      - .offset:         68
        .size:           1
        .value_kind:     by_value
    .group_segment_fixed_size: 0
    .kernarg_segment_align: 8
    .kernarg_segment_size: 72
    .language:       OpenCL C
    .language_version:
      - 2
      - 0
    .max_flat_workgroup_size: 128
    .name:           _ZN9rocsparseL19gebsrmvn_4xn_kernelILj128ELj6ELj4EfEEvi20rocsparse_direction_NS_24const_host_device_scalarIT2_EEPKiS6_PKS3_S8_S4_PS3_21rocsparse_index_base_b
    .private_segment_fixed_size: 0
    .sgpr_count:     20
    .sgpr_spill_count: 0
    .symbol:         _ZN9rocsparseL19gebsrmvn_4xn_kernelILj128ELj6ELj4EfEEvi20rocsparse_direction_NS_24const_host_device_scalarIT2_EEPKiS6_PKS3_S8_S4_PS3_21rocsparse_index_base_b.kd
    .uniform_work_group_size: 1
    .uses_dynamic_stack: false
    .vgpr_count:     51
    .vgpr_spill_count: 0
    .wavefront_size: 32
  - .args:
      - .offset:         0
        .size:           4
        .value_kind:     by_value
      - .offset:         4
        .size:           4
        .value_kind:     by_value
      - .offset:         8
        .size:           8
        .value_kind:     by_value
      - .actual_access:  read_only
        .address_space:  global
        .offset:         16
        .size:           8
        .value_kind:     global_buffer
      - .actual_access:  read_only
        .address_space:  global
        .offset:         24
        .size:           8
        .value_kind:     global_buffer
      - .actual_access:  read_only
        .address_space:  global
        .offset:         32
        .size:           8
        .value_kind:     global_buffer
      - .actual_access:  read_only
        .address_space:  global
        .offset:         40
        .size:           8
        .value_kind:     global_buffer
      - .offset:         48
        .size:           8
        .value_kind:     by_value
      - .address_space:  global
        .offset:         56
        .size:           8
        .value_kind:     global_buffer
      - .offset:         64
        .size:           4
        .value_kind:     by_value
      - .offset:         68
        .size:           1
        .value_kind:     by_value
    .group_segment_fixed_size: 0
    .kernarg_segment_align: 8
    .kernarg_segment_size: 72
    .language:       OpenCL C
    .language_version:
      - 2
      - 0
    .max_flat_workgroup_size: 128
    .name:           _ZN9rocsparseL19gebsrmvn_4xn_kernelILj128ELj6ELj8EfEEvi20rocsparse_direction_NS_24const_host_device_scalarIT2_EEPKiS6_PKS3_S8_S4_PS3_21rocsparse_index_base_b
    .private_segment_fixed_size: 0
    .sgpr_count:     20
    .sgpr_spill_count: 0
    .symbol:         _ZN9rocsparseL19gebsrmvn_4xn_kernelILj128ELj6ELj8EfEEvi20rocsparse_direction_NS_24const_host_device_scalarIT2_EEPKiS6_PKS3_S8_S4_PS3_21rocsparse_index_base_b.kd
    .uniform_work_group_size: 1
    .uses_dynamic_stack: false
    .vgpr_count:     51
    .vgpr_spill_count: 0
    .wavefront_size: 32
  - .args:
      - .offset:         0
        .size:           4
        .value_kind:     by_value
      - .offset:         4
        .size:           4
        .value_kind:     by_value
      - .offset:         8
        .size:           8
        .value_kind:     by_value
      - .actual_access:  read_only
        .address_space:  global
        .offset:         16
        .size:           8
        .value_kind:     global_buffer
      - .actual_access:  read_only
        .address_space:  global
        .offset:         24
        .size:           8
        .value_kind:     global_buffer
      - .actual_access:  read_only
        .address_space:  global
        .offset:         32
        .size:           8
        .value_kind:     global_buffer
      - .actual_access:  read_only
        .address_space:  global
        .offset:         40
        .size:           8
        .value_kind:     global_buffer
      - .offset:         48
        .size:           8
        .value_kind:     by_value
      - .address_space:  global
        .offset:         56
        .size:           8
        .value_kind:     global_buffer
      - .offset:         64
        .size:           4
        .value_kind:     by_value
      - .offset:         68
        .size:           1
        .value_kind:     by_value
    .group_segment_fixed_size: 0
    .kernarg_segment_align: 8
    .kernarg_segment_size: 72
    .language:       OpenCL C
    .language_version:
      - 2
      - 0
    .max_flat_workgroup_size: 128
    .name:           _ZN9rocsparseL19gebsrmvn_4xn_kernelILj128ELj6ELj16EfEEvi20rocsparse_direction_NS_24const_host_device_scalarIT2_EEPKiS6_PKS3_S8_S4_PS3_21rocsparse_index_base_b
    .private_segment_fixed_size: 0
    .sgpr_count:     20
    .sgpr_spill_count: 0
    .symbol:         _ZN9rocsparseL19gebsrmvn_4xn_kernelILj128ELj6ELj16EfEEvi20rocsparse_direction_NS_24const_host_device_scalarIT2_EEPKiS6_PKS3_S8_S4_PS3_21rocsparse_index_base_b.kd
    .uniform_work_group_size: 1
    .uses_dynamic_stack: false
    .vgpr_count:     51
    .vgpr_spill_count: 0
    .wavefront_size: 32
  - .args:
      - .offset:         0
        .size:           4
        .value_kind:     by_value
      - .offset:         4
        .size:           4
        .value_kind:     by_value
      - .offset:         8
        .size:           8
        .value_kind:     by_value
      - .actual_access:  read_only
        .address_space:  global
        .offset:         16
        .size:           8
        .value_kind:     global_buffer
      - .actual_access:  read_only
        .address_space:  global
        .offset:         24
        .size:           8
        .value_kind:     global_buffer
      - .actual_access:  read_only
        .address_space:  global
        .offset:         32
        .size:           8
        .value_kind:     global_buffer
      - .actual_access:  read_only
        .address_space:  global
        .offset:         40
        .size:           8
        .value_kind:     global_buffer
      - .offset:         48
        .size:           8
        .value_kind:     by_value
      - .address_space:  global
        .offset:         56
        .size:           8
        .value_kind:     global_buffer
      - .offset:         64
        .size:           4
        .value_kind:     by_value
      - .offset:         68
        .size:           1
        .value_kind:     by_value
    .group_segment_fixed_size: 0
    .kernarg_segment_align: 8
    .kernarg_segment_size: 72
    .language:       OpenCL C
    .language_version:
      - 2
      - 0
    .max_flat_workgroup_size: 128
    .name:           _ZN9rocsparseL19gebsrmvn_4xn_kernelILj128ELj6ELj32EfEEvi20rocsparse_direction_NS_24const_host_device_scalarIT2_EEPKiS6_PKS3_S8_S4_PS3_21rocsparse_index_base_b
    .private_segment_fixed_size: 0
    .sgpr_count:     20
    .sgpr_spill_count: 0
    .symbol:         _ZN9rocsparseL19gebsrmvn_4xn_kernelILj128ELj6ELj32EfEEvi20rocsparse_direction_NS_24const_host_device_scalarIT2_EEPKiS6_PKS3_S8_S4_PS3_21rocsparse_index_base_b.kd
    .uniform_work_group_size: 1
    .uses_dynamic_stack: false
    .vgpr_count:     51
    .vgpr_spill_count: 0
    .wavefront_size: 32
  - .args:
      - .offset:         0
        .size:           4
        .value_kind:     by_value
      - .offset:         4
        .size:           4
        .value_kind:     by_value
      - .offset:         8
        .size:           8
        .value_kind:     by_value
      - .actual_access:  read_only
        .address_space:  global
        .offset:         16
        .size:           8
        .value_kind:     global_buffer
      - .actual_access:  read_only
        .address_space:  global
        .offset:         24
        .size:           8
        .value_kind:     global_buffer
      - .actual_access:  read_only
        .address_space:  global
        .offset:         32
        .size:           8
        .value_kind:     global_buffer
      - .actual_access:  read_only
        .address_space:  global
        .offset:         40
        .size:           8
        .value_kind:     global_buffer
      - .offset:         48
        .size:           8
        .value_kind:     by_value
      - .address_space:  global
        .offset:         56
        .size:           8
        .value_kind:     global_buffer
      - .offset:         64
        .size:           4
        .value_kind:     by_value
      - .offset:         68
        .size:           1
        .value_kind:     by_value
    .group_segment_fixed_size: 0
    .kernarg_segment_align: 8
    .kernarg_segment_size: 72
    .language:       OpenCL C
    .language_version:
      - 2
      - 0
    .max_flat_workgroup_size: 128
    .name:           _ZN9rocsparseL19gebsrmvn_4xn_kernelILj128ELj6ELj64EfEEvi20rocsparse_direction_NS_24const_host_device_scalarIT2_EEPKiS6_PKS3_S8_S4_PS3_21rocsparse_index_base_b
    .private_segment_fixed_size: 0
    .sgpr_count:     20
    .sgpr_spill_count: 0
    .symbol:         _ZN9rocsparseL19gebsrmvn_4xn_kernelILj128ELj6ELj64EfEEvi20rocsparse_direction_NS_24const_host_device_scalarIT2_EEPKiS6_PKS3_S8_S4_PS3_21rocsparse_index_base_b.kd
    .uniform_work_group_size: 1
    .uses_dynamic_stack: false
    .vgpr_count:     51
    .vgpr_spill_count: 0
    .wavefront_size: 32
  - .args:
      - .offset:         0
        .size:           4
        .value_kind:     by_value
      - .offset:         4
        .size:           4
        .value_kind:     by_value
      - .offset:         8
        .size:           8
        .value_kind:     by_value
      - .actual_access:  read_only
        .address_space:  global
        .offset:         16
        .size:           8
        .value_kind:     global_buffer
      - .actual_access:  read_only
        .address_space:  global
        .offset:         24
        .size:           8
        .value_kind:     global_buffer
      - .actual_access:  read_only
        .address_space:  global
        .offset:         32
        .size:           8
        .value_kind:     global_buffer
      - .actual_access:  read_only
        .address_space:  global
        .offset:         40
        .size:           8
        .value_kind:     global_buffer
      - .offset:         48
        .size:           8
        .value_kind:     by_value
      - .address_space:  global
        .offset:         56
        .size:           8
        .value_kind:     global_buffer
      - .offset:         64
        .size:           4
        .value_kind:     by_value
      - .offset:         68
        .size:           1
        .value_kind:     by_value
    .group_segment_fixed_size: 0
    .kernarg_segment_align: 8
    .kernarg_segment_size: 72
    .language:       OpenCL C
    .language_version:
      - 2
      - 0
    .max_flat_workgroup_size: 128
    .name:           _ZN9rocsparseL19gebsrmvn_4xn_kernelILj128ELj7ELj4EfEEvi20rocsparse_direction_NS_24const_host_device_scalarIT2_EEPKiS6_PKS3_S8_S4_PS3_21rocsparse_index_base_b
    .private_segment_fixed_size: 0
    .sgpr_count:     20
    .sgpr_spill_count: 0
    .symbol:         _ZN9rocsparseL19gebsrmvn_4xn_kernelILj128ELj7ELj4EfEEvi20rocsparse_direction_NS_24const_host_device_scalarIT2_EEPKiS6_PKS3_S8_S4_PS3_21rocsparse_index_base_b.kd
    .uniform_work_group_size: 1
    .uses_dynamic_stack: false
    .vgpr_count:     56
    .vgpr_spill_count: 0
    .wavefront_size: 32
  - .args:
      - .offset:         0
        .size:           4
        .value_kind:     by_value
      - .offset:         4
        .size:           4
        .value_kind:     by_value
      - .offset:         8
        .size:           8
        .value_kind:     by_value
      - .actual_access:  read_only
        .address_space:  global
        .offset:         16
        .size:           8
        .value_kind:     global_buffer
      - .actual_access:  read_only
        .address_space:  global
        .offset:         24
        .size:           8
        .value_kind:     global_buffer
      - .actual_access:  read_only
        .address_space:  global
        .offset:         32
        .size:           8
        .value_kind:     global_buffer
      - .actual_access:  read_only
        .address_space:  global
        .offset:         40
        .size:           8
        .value_kind:     global_buffer
      - .offset:         48
        .size:           8
        .value_kind:     by_value
      - .address_space:  global
        .offset:         56
        .size:           8
        .value_kind:     global_buffer
      - .offset:         64
        .size:           4
        .value_kind:     by_value
      - .offset:         68
        .size:           1
        .value_kind:     by_value
    .group_segment_fixed_size: 0
    .kernarg_segment_align: 8
    .kernarg_segment_size: 72
    .language:       OpenCL C
    .language_version:
      - 2
      - 0
    .max_flat_workgroup_size: 128
    .name:           _ZN9rocsparseL19gebsrmvn_4xn_kernelILj128ELj7ELj8EfEEvi20rocsparse_direction_NS_24const_host_device_scalarIT2_EEPKiS6_PKS3_S8_S4_PS3_21rocsparse_index_base_b
    .private_segment_fixed_size: 0
    .sgpr_count:     20
    .sgpr_spill_count: 0
    .symbol:         _ZN9rocsparseL19gebsrmvn_4xn_kernelILj128ELj7ELj8EfEEvi20rocsparse_direction_NS_24const_host_device_scalarIT2_EEPKiS6_PKS3_S8_S4_PS3_21rocsparse_index_base_b.kd
    .uniform_work_group_size: 1
    .uses_dynamic_stack: false
    .vgpr_count:     56
    .vgpr_spill_count: 0
    .wavefront_size: 32
  - .args:
      - .offset:         0
        .size:           4
        .value_kind:     by_value
      - .offset:         4
        .size:           4
        .value_kind:     by_value
      - .offset:         8
        .size:           8
        .value_kind:     by_value
      - .actual_access:  read_only
        .address_space:  global
        .offset:         16
        .size:           8
        .value_kind:     global_buffer
      - .actual_access:  read_only
        .address_space:  global
        .offset:         24
        .size:           8
        .value_kind:     global_buffer
      - .actual_access:  read_only
        .address_space:  global
        .offset:         32
        .size:           8
        .value_kind:     global_buffer
      - .actual_access:  read_only
        .address_space:  global
        .offset:         40
        .size:           8
        .value_kind:     global_buffer
      - .offset:         48
        .size:           8
        .value_kind:     by_value
      - .address_space:  global
        .offset:         56
        .size:           8
        .value_kind:     global_buffer
      - .offset:         64
        .size:           4
        .value_kind:     by_value
      - .offset:         68
        .size:           1
        .value_kind:     by_value
    .group_segment_fixed_size: 0
    .kernarg_segment_align: 8
    .kernarg_segment_size: 72
    .language:       OpenCL C
    .language_version:
      - 2
      - 0
    .max_flat_workgroup_size: 128
    .name:           _ZN9rocsparseL19gebsrmvn_4xn_kernelILj128ELj7ELj16EfEEvi20rocsparse_direction_NS_24const_host_device_scalarIT2_EEPKiS6_PKS3_S8_S4_PS3_21rocsparse_index_base_b
    .private_segment_fixed_size: 0
    .sgpr_count:     20
    .sgpr_spill_count: 0
    .symbol:         _ZN9rocsparseL19gebsrmvn_4xn_kernelILj128ELj7ELj16EfEEvi20rocsparse_direction_NS_24const_host_device_scalarIT2_EEPKiS6_PKS3_S8_S4_PS3_21rocsparse_index_base_b.kd
    .uniform_work_group_size: 1
    .uses_dynamic_stack: false
    .vgpr_count:     56
    .vgpr_spill_count: 0
    .wavefront_size: 32
  - .args:
      - .offset:         0
        .size:           4
        .value_kind:     by_value
      - .offset:         4
        .size:           4
        .value_kind:     by_value
      - .offset:         8
        .size:           8
        .value_kind:     by_value
      - .actual_access:  read_only
        .address_space:  global
        .offset:         16
        .size:           8
        .value_kind:     global_buffer
      - .actual_access:  read_only
        .address_space:  global
        .offset:         24
        .size:           8
        .value_kind:     global_buffer
      - .actual_access:  read_only
        .address_space:  global
        .offset:         32
        .size:           8
        .value_kind:     global_buffer
      - .actual_access:  read_only
        .address_space:  global
        .offset:         40
        .size:           8
        .value_kind:     global_buffer
      - .offset:         48
        .size:           8
        .value_kind:     by_value
      - .address_space:  global
        .offset:         56
        .size:           8
        .value_kind:     global_buffer
      - .offset:         64
        .size:           4
        .value_kind:     by_value
      - .offset:         68
        .size:           1
        .value_kind:     by_value
    .group_segment_fixed_size: 0
    .kernarg_segment_align: 8
    .kernarg_segment_size: 72
    .language:       OpenCL C
    .language_version:
      - 2
      - 0
    .max_flat_workgroup_size: 128
    .name:           _ZN9rocsparseL19gebsrmvn_4xn_kernelILj128ELj7ELj32EfEEvi20rocsparse_direction_NS_24const_host_device_scalarIT2_EEPKiS6_PKS3_S8_S4_PS3_21rocsparse_index_base_b
    .private_segment_fixed_size: 0
    .sgpr_count:     20
    .sgpr_spill_count: 0
    .symbol:         _ZN9rocsparseL19gebsrmvn_4xn_kernelILj128ELj7ELj32EfEEvi20rocsparse_direction_NS_24const_host_device_scalarIT2_EEPKiS6_PKS3_S8_S4_PS3_21rocsparse_index_base_b.kd
    .uniform_work_group_size: 1
    .uses_dynamic_stack: false
    .vgpr_count:     56
    .vgpr_spill_count: 0
    .wavefront_size: 32
  - .args:
      - .offset:         0
        .size:           4
        .value_kind:     by_value
      - .offset:         4
        .size:           4
        .value_kind:     by_value
      - .offset:         8
        .size:           8
        .value_kind:     by_value
      - .actual_access:  read_only
        .address_space:  global
        .offset:         16
        .size:           8
        .value_kind:     global_buffer
      - .actual_access:  read_only
        .address_space:  global
        .offset:         24
        .size:           8
        .value_kind:     global_buffer
      - .actual_access:  read_only
        .address_space:  global
        .offset:         32
        .size:           8
        .value_kind:     global_buffer
      - .actual_access:  read_only
        .address_space:  global
        .offset:         40
        .size:           8
        .value_kind:     global_buffer
      - .offset:         48
        .size:           8
        .value_kind:     by_value
      - .address_space:  global
        .offset:         56
        .size:           8
        .value_kind:     global_buffer
      - .offset:         64
        .size:           4
        .value_kind:     by_value
      - .offset:         68
        .size:           1
        .value_kind:     by_value
    .group_segment_fixed_size: 0
    .kernarg_segment_align: 8
    .kernarg_segment_size: 72
    .language:       OpenCL C
    .language_version:
      - 2
      - 0
    .max_flat_workgroup_size: 128
    .name:           _ZN9rocsparseL19gebsrmvn_4xn_kernelILj128ELj7ELj64EfEEvi20rocsparse_direction_NS_24const_host_device_scalarIT2_EEPKiS6_PKS3_S8_S4_PS3_21rocsparse_index_base_b
    .private_segment_fixed_size: 0
    .sgpr_count:     20
    .sgpr_spill_count: 0
    .symbol:         _ZN9rocsparseL19gebsrmvn_4xn_kernelILj128ELj7ELj64EfEEvi20rocsparse_direction_NS_24const_host_device_scalarIT2_EEPKiS6_PKS3_S8_S4_PS3_21rocsparse_index_base_b.kd
    .uniform_work_group_size: 1
    .uses_dynamic_stack: false
    .vgpr_count:     56
    .vgpr_spill_count: 0
    .wavefront_size: 32
  - .args:
      - .offset:         0
        .size:           4
        .value_kind:     by_value
      - .offset:         4
        .size:           4
        .value_kind:     by_value
      - .offset:         8
        .size:           8
        .value_kind:     by_value
      - .actual_access:  read_only
        .address_space:  global
        .offset:         16
        .size:           8
        .value_kind:     global_buffer
      - .actual_access:  read_only
        .address_space:  global
        .offset:         24
        .size:           8
        .value_kind:     global_buffer
      - .actual_access:  read_only
        .address_space:  global
        .offset:         32
        .size:           8
        .value_kind:     global_buffer
      - .actual_access:  read_only
        .address_space:  global
        .offset:         40
        .size:           8
        .value_kind:     global_buffer
      - .offset:         48
        .size:           8
        .value_kind:     by_value
      - .address_space:  global
        .offset:         56
        .size:           8
        .value_kind:     global_buffer
      - .offset:         64
        .size:           4
        .value_kind:     by_value
      - .offset:         68
        .size:           1
        .value_kind:     by_value
    .group_segment_fixed_size: 0
    .kernarg_segment_align: 8
    .kernarg_segment_size: 72
    .language:       OpenCL C
    .language_version:
      - 2
      - 0
    .max_flat_workgroup_size: 128
    .name:           _ZN9rocsparseL19gebsrmvn_4xn_kernelILj128ELj8ELj4EfEEvi20rocsparse_direction_NS_24const_host_device_scalarIT2_EEPKiS6_PKS3_S8_S4_PS3_21rocsparse_index_base_b
    .private_segment_fixed_size: 0
    .sgpr_count:     20
    .sgpr_spill_count: 0
    .symbol:         _ZN9rocsparseL19gebsrmvn_4xn_kernelILj128ELj8ELj4EfEEvi20rocsparse_direction_NS_24const_host_device_scalarIT2_EEPKiS6_PKS3_S8_S4_PS3_21rocsparse_index_base_b.kd
    .uniform_work_group_size: 1
    .uses_dynamic_stack: false
    .vgpr_count:     56
    .vgpr_spill_count: 0
    .wavefront_size: 32
  - .args:
      - .offset:         0
        .size:           4
        .value_kind:     by_value
      - .offset:         4
        .size:           4
        .value_kind:     by_value
      - .offset:         8
        .size:           8
        .value_kind:     by_value
      - .actual_access:  read_only
        .address_space:  global
        .offset:         16
        .size:           8
        .value_kind:     global_buffer
      - .actual_access:  read_only
        .address_space:  global
        .offset:         24
        .size:           8
        .value_kind:     global_buffer
      - .actual_access:  read_only
        .address_space:  global
        .offset:         32
        .size:           8
        .value_kind:     global_buffer
      - .actual_access:  read_only
        .address_space:  global
        .offset:         40
        .size:           8
        .value_kind:     global_buffer
      - .offset:         48
        .size:           8
        .value_kind:     by_value
      - .address_space:  global
        .offset:         56
        .size:           8
        .value_kind:     global_buffer
      - .offset:         64
        .size:           4
        .value_kind:     by_value
      - .offset:         68
        .size:           1
        .value_kind:     by_value
    .group_segment_fixed_size: 0
    .kernarg_segment_align: 8
    .kernarg_segment_size: 72
    .language:       OpenCL C
    .language_version:
      - 2
      - 0
    .max_flat_workgroup_size: 128
    .name:           _ZN9rocsparseL19gebsrmvn_4xn_kernelILj128ELj8ELj8EfEEvi20rocsparse_direction_NS_24const_host_device_scalarIT2_EEPKiS6_PKS3_S8_S4_PS3_21rocsparse_index_base_b
    .private_segment_fixed_size: 0
    .sgpr_count:     20
    .sgpr_spill_count: 0
    .symbol:         _ZN9rocsparseL19gebsrmvn_4xn_kernelILj128ELj8ELj8EfEEvi20rocsparse_direction_NS_24const_host_device_scalarIT2_EEPKiS6_PKS3_S8_S4_PS3_21rocsparse_index_base_b.kd
    .uniform_work_group_size: 1
    .uses_dynamic_stack: false
    .vgpr_count:     56
    .vgpr_spill_count: 0
    .wavefront_size: 32
  - .args:
      - .offset:         0
        .size:           4
        .value_kind:     by_value
      - .offset:         4
        .size:           4
        .value_kind:     by_value
      - .offset:         8
        .size:           8
        .value_kind:     by_value
      - .actual_access:  read_only
        .address_space:  global
        .offset:         16
        .size:           8
        .value_kind:     global_buffer
      - .actual_access:  read_only
        .address_space:  global
        .offset:         24
        .size:           8
        .value_kind:     global_buffer
      - .actual_access:  read_only
        .address_space:  global
        .offset:         32
        .size:           8
        .value_kind:     global_buffer
      - .actual_access:  read_only
        .address_space:  global
        .offset:         40
        .size:           8
        .value_kind:     global_buffer
      - .offset:         48
        .size:           8
        .value_kind:     by_value
      - .address_space:  global
        .offset:         56
        .size:           8
        .value_kind:     global_buffer
      - .offset:         64
        .size:           4
        .value_kind:     by_value
      - .offset:         68
        .size:           1
        .value_kind:     by_value
    .group_segment_fixed_size: 0
    .kernarg_segment_align: 8
    .kernarg_segment_size: 72
    .language:       OpenCL C
    .language_version:
      - 2
      - 0
    .max_flat_workgroup_size: 128
    .name:           _ZN9rocsparseL19gebsrmvn_4xn_kernelILj128ELj8ELj16EfEEvi20rocsparse_direction_NS_24const_host_device_scalarIT2_EEPKiS6_PKS3_S8_S4_PS3_21rocsparse_index_base_b
    .private_segment_fixed_size: 0
    .sgpr_count:     20
    .sgpr_spill_count: 0
    .symbol:         _ZN9rocsparseL19gebsrmvn_4xn_kernelILj128ELj8ELj16EfEEvi20rocsparse_direction_NS_24const_host_device_scalarIT2_EEPKiS6_PKS3_S8_S4_PS3_21rocsparse_index_base_b.kd
    .uniform_work_group_size: 1
    .uses_dynamic_stack: false
    .vgpr_count:     56
    .vgpr_spill_count: 0
    .wavefront_size: 32
  - .args:
      - .offset:         0
        .size:           4
        .value_kind:     by_value
      - .offset:         4
        .size:           4
        .value_kind:     by_value
      - .offset:         8
        .size:           8
        .value_kind:     by_value
      - .actual_access:  read_only
        .address_space:  global
        .offset:         16
        .size:           8
        .value_kind:     global_buffer
      - .actual_access:  read_only
        .address_space:  global
        .offset:         24
        .size:           8
        .value_kind:     global_buffer
      - .actual_access:  read_only
        .address_space:  global
        .offset:         32
        .size:           8
        .value_kind:     global_buffer
      - .actual_access:  read_only
        .address_space:  global
        .offset:         40
        .size:           8
        .value_kind:     global_buffer
      - .offset:         48
        .size:           8
        .value_kind:     by_value
      - .address_space:  global
        .offset:         56
        .size:           8
        .value_kind:     global_buffer
      - .offset:         64
        .size:           4
        .value_kind:     by_value
      - .offset:         68
        .size:           1
        .value_kind:     by_value
    .group_segment_fixed_size: 0
    .kernarg_segment_align: 8
    .kernarg_segment_size: 72
    .language:       OpenCL C
    .language_version:
      - 2
      - 0
    .max_flat_workgroup_size: 128
    .name:           _ZN9rocsparseL19gebsrmvn_4xn_kernelILj128ELj8ELj32EfEEvi20rocsparse_direction_NS_24const_host_device_scalarIT2_EEPKiS6_PKS3_S8_S4_PS3_21rocsparse_index_base_b
    .private_segment_fixed_size: 0
    .sgpr_count:     20
    .sgpr_spill_count: 0
    .symbol:         _ZN9rocsparseL19gebsrmvn_4xn_kernelILj128ELj8ELj32EfEEvi20rocsparse_direction_NS_24const_host_device_scalarIT2_EEPKiS6_PKS3_S8_S4_PS3_21rocsparse_index_base_b.kd
    .uniform_work_group_size: 1
    .uses_dynamic_stack: false
    .vgpr_count:     56
    .vgpr_spill_count: 0
    .wavefront_size: 32
  - .args:
      - .offset:         0
        .size:           4
        .value_kind:     by_value
      - .offset:         4
        .size:           4
        .value_kind:     by_value
      - .offset:         8
        .size:           8
        .value_kind:     by_value
      - .actual_access:  read_only
        .address_space:  global
        .offset:         16
        .size:           8
        .value_kind:     global_buffer
      - .actual_access:  read_only
        .address_space:  global
        .offset:         24
        .size:           8
        .value_kind:     global_buffer
      - .actual_access:  read_only
        .address_space:  global
        .offset:         32
        .size:           8
        .value_kind:     global_buffer
      - .actual_access:  read_only
        .address_space:  global
        .offset:         40
        .size:           8
        .value_kind:     global_buffer
      - .offset:         48
        .size:           8
        .value_kind:     by_value
      - .address_space:  global
        .offset:         56
        .size:           8
        .value_kind:     global_buffer
      - .offset:         64
        .size:           4
        .value_kind:     by_value
      - .offset:         68
        .size:           1
        .value_kind:     by_value
    .group_segment_fixed_size: 0
    .kernarg_segment_align: 8
    .kernarg_segment_size: 72
    .language:       OpenCL C
    .language_version:
      - 2
      - 0
    .max_flat_workgroup_size: 128
    .name:           _ZN9rocsparseL19gebsrmvn_4xn_kernelILj128ELj8ELj64EfEEvi20rocsparse_direction_NS_24const_host_device_scalarIT2_EEPKiS6_PKS3_S8_S4_PS3_21rocsparse_index_base_b
    .private_segment_fixed_size: 0
    .sgpr_count:     20
    .sgpr_spill_count: 0
    .symbol:         _ZN9rocsparseL19gebsrmvn_4xn_kernelILj128ELj8ELj64EfEEvi20rocsparse_direction_NS_24const_host_device_scalarIT2_EEPKiS6_PKS3_S8_S4_PS3_21rocsparse_index_base_b.kd
    .uniform_work_group_size: 1
    .uses_dynamic_stack: false
    .vgpr_count:     56
    .vgpr_spill_count: 0
    .wavefront_size: 32
  - .args:
      - .offset:         0
        .size:           4
        .value_kind:     by_value
      - .offset:         4
        .size:           4
        .value_kind:     by_value
      - .offset:         8
        .size:           8
        .value_kind:     by_value
      - .actual_access:  read_only
        .address_space:  global
        .offset:         16
        .size:           8
        .value_kind:     global_buffer
      - .actual_access:  read_only
        .address_space:  global
        .offset:         24
        .size:           8
        .value_kind:     global_buffer
      - .actual_access:  read_only
        .address_space:  global
        .offset:         32
        .size:           8
        .value_kind:     global_buffer
      - .offset:         40
        .size:           4
        .value_kind:     by_value
      - .offset:         44
        .size:           4
        .value_kind:     by_value
      - .actual_access:  read_only
        .address_space:  global
        .offset:         48
        .size:           8
        .value_kind:     global_buffer
      - .offset:         56
        .size:           8
        .value_kind:     by_value
      - .address_space:  global
        .offset:         64
        .size:           8
        .value_kind:     global_buffer
      - .offset:         72
        .size:           4
        .value_kind:     by_value
      - .offset:         76
        .size:           1
        .value_kind:     by_value
    .group_segment_fixed_size: 0
    .kernarg_segment_align: 8
    .kernarg_segment_size: 80
    .language:       OpenCL C
    .language_version:
      - 2
      - 0
    .max_flat_workgroup_size: 64
    .name:           _ZN9rocsparseL23gebsrmvn_general_kernelILj64ELj16EfEEvi20rocsparse_direction_NS_24const_host_device_scalarIT1_EEPKiS6_PKS3_iiS8_S4_PS3_21rocsparse_index_base_b
    .private_segment_fixed_size: 0
    .sgpr_count:     32
    .sgpr_spill_count: 0
    .symbol:         _ZN9rocsparseL23gebsrmvn_general_kernelILj64ELj16EfEEvi20rocsparse_direction_NS_24const_host_device_scalarIT1_EEPKiS6_PKS3_iiS8_S4_PS3_21rocsparse_index_base_b.kd
    .uniform_work_group_size: 1
    .uses_dynamic_stack: false
    .vgpr_count:     14
    .vgpr_spill_count: 0
    .wavefront_size: 32
  - .args:
      - .offset:         0
        .size:           4
        .value_kind:     by_value
      - .offset:         4
        .size:           4
        .value_kind:     by_value
      - .offset:         8
        .size:           8
        .value_kind:     by_value
      - .actual_access:  read_only
        .address_space:  global
        .offset:         16
        .size:           8
        .value_kind:     global_buffer
      - .actual_access:  read_only
        .address_space:  global
        .offset:         24
        .size:           8
        .value_kind:     global_buffer
      - .actual_access:  read_only
        .address_space:  global
        .offset:         32
        .size:           8
        .value_kind:     global_buffer
      - .offset:         40
        .size:           4
        .value_kind:     by_value
      - .offset:         44
        .size:           4
        .value_kind:     by_value
      - .actual_access:  read_only
        .address_space:  global
        .offset:         48
        .size:           8
        .value_kind:     global_buffer
      - .offset:         56
        .size:           8
        .value_kind:     by_value
      - .address_space:  global
        .offset:         64
        .size:           8
        .value_kind:     global_buffer
      - .offset:         72
        .size:           4
        .value_kind:     by_value
      - .offset:         76
        .size:           1
        .value_kind:     by_value
    .group_segment_fixed_size: 0
    .kernarg_segment_align: 8
    .kernarg_segment_size: 80
    .language:       OpenCL C
    .language_version:
      - 2
      - 0
    .max_flat_workgroup_size: 128
    .name:           _ZN9rocsparseL23gebsrmvn_general_kernelILj128ELj32EfEEvi20rocsparse_direction_NS_24const_host_device_scalarIT1_EEPKiS6_PKS3_iiS8_S4_PS3_21rocsparse_index_base_b
    .private_segment_fixed_size: 0
    .sgpr_count:     32
    .sgpr_spill_count: 0
    .symbol:         _ZN9rocsparseL23gebsrmvn_general_kernelILj128ELj32EfEEvi20rocsparse_direction_NS_24const_host_device_scalarIT1_EEPKiS6_PKS3_iiS8_S4_PS3_21rocsparse_index_base_b.kd
    .uniform_work_group_size: 1
    .uses_dynamic_stack: false
    .vgpr_count:     15
    .vgpr_spill_count: 0
    .wavefront_size: 32
  - .args:
      - .offset:         0
        .size:           4
        .value_kind:     by_value
      - .offset:         4
        .size:           4
        .value_kind:     by_value
      - .offset:         8
        .size:           8
        .value_kind:     by_value
      - .actual_access:  read_only
        .address_space:  global
        .offset:         16
        .size:           8
        .value_kind:     global_buffer
      - .actual_access:  read_only
        .address_space:  global
        .offset:         24
        .size:           8
        .value_kind:     global_buffer
      - .actual_access:  read_only
        .address_space:  global
        .offset:         32
        .size:           8
        .value_kind:     global_buffer
      - .actual_access:  read_only
        .address_space:  global
        .offset:         40
        .size:           8
        .value_kind:     global_buffer
      - .offset:         48
        .size:           8
        .value_kind:     by_value
      - .address_space:  global
        .offset:         56
        .size:           8
        .value_kind:     global_buffer
      - .offset:         64
        .size:           4
        .value_kind:     by_value
      - .offset:         68
        .size:           1
        .value_kind:     by_value
    .group_segment_fixed_size: 0
    .kernarg_segment_align: 8
    .kernarg_segment_size: 72
    .language:       OpenCL C
    .language_version:
      - 2
      - 0
    .max_flat_workgroup_size: 128
    .name:           _ZN9rocsparseL19gebsrmvn_4xn_kernelILj128ELj1ELj4EdEEvi20rocsparse_direction_NS_24const_host_device_scalarIT2_EEPKiS6_PKS3_S8_S4_PS3_21rocsparse_index_base_b
    .private_segment_fixed_size: 0
    .sgpr_count:     16
    .sgpr_spill_count: 0
    .symbol:         _ZN9rocsparseL19gebsrmvn_4xn_kernelILj128ELj1ELj4EdEEvi20rocsparse_direction_NS_24const_host_device_scalarIT2_EEPKiS6_PKS3_S8_S4_PS3_21rocsparse_index_base_b.kd
    .uniform_work_group_size: 1
    .uses_dynamic_stack: false
    .vgpr_count:     32
    .vgpr_spill_count: 0
    .wavefront_size: 32
  - .args:
      - .offset:         0
        .size:           4
        .value_kind:     by_value
      - .offset:         4
        .size:           4
        .value_kind:     by_value
      - .offset:         8
        .size:           8
        .value_kind:     by_value
      - .actual_access:  read_only
        .address_space:  global
        .offset:         16
        .size:           8
        .value_kind:     global_buffer
      - .actual_access:  read_only
        .address_space:  global
        .offset:         24
        .size:           8
        .value_kind:     global_buffer
      - .actual_access:  read_only
        .address_space:  global
        .offset:         32
        .size:           8
        .value_kind:     global_buffer
      - .actual_access:  read_only
        .address_space:  global
        .offset:         40
        .size:           8
        .value_kind:     global_buffer
      - .offset:         48
        .size:           8
        .value_kind:     by_value
      - .address_space:  global
        .offset:         56
        .size:           8
        .value_kind:     global_buffer
      - .offset:         64
        .size:           4
        .value_kind:     by_value
      - .offset:         68
        .size:           1
        .value_kind:     by_value
    .group_segment_fixed_size: 0
    .kernarg_segment_align: 8
    .kernarg_segment_size: 72
    .language:       OpenCL C
    .language_version:
      - 2
      - 0
    .max_flat_workgroup_size: 128
    .name:           _ZN9rocsparseL19gebsrmvn_4xn_kernelILj128ELj1ELj8EdEEvi20rocsparse_direction_NS_24const_host_device_scalarIT2_EEPKiS6_PKS3_S8_S4_PS3_21rocsparse_index_base_b
    .private_segment_fixed_size: 0
    .sgpr_count:     16
    .sgpr_spill_count: 0
    .symbol:         _ZN9rocsparseL19gebsrmvn_4xn_kernelILj128ELj1ELj8EdEEvi20rocsparse_direction_NS_24const_host_device_scalarIT2_EEPKiS6_PKS3_S8_S4_PS3_21rocsparse_index_base_b.kd
    .uniform_work_group_size: 1
    .uses_dynamic_stack: false
    .vgpr_count:     32
    .vgpr_spill_count: 0
    .wavefront_size: 32
  - .args:
      - .offset:         0
        .size:           4
        .value_kind:     by_value
      - .offset:         4
        .size:           4
        .value_kind:     by_value
      - .offset:         8
        .size:           8
        .value_kind:     by_value
      - .actual_access:  read_only
        .address_space:  global
        .offset:         16
        .size:           8
        .value_kind:     global_buffer
      - .actual_access:  read_only
        .address_space:  global
        .offset:         24
        .size:           8
        .value_kind:     global_buffer
      - .actual_access:  read_only
        .address_space:  global
        .offset:         32
        .size:           8
        .value_kind:     global_buffer
      - .actual_access:  read_only
        .address_space:  global
        .offset:         40
        .size:           8
        .value_kind:     global_buffer
      - .offset:         48
        .size:           8
        .value_kind:     by_value
      - .address_space:  global
        .offset:         56
        .size:           8
        .value_kind:     global_buffer
      - .offset:         64
        .size:           4
        .value_kind:     by_value
      - .offset:         68
        .size:           1
        .value_kind:     by_value
    .group_segment_fixed_size: 0
    .kernarg_segment_align: 8
    .kernarg_segment_size: 72
    .language:       OpenCL C
    .language_version:
      - 2
      - 0
    .max_flat_workgroup_size: 128
    .name:           _ZN9rocsparseL19gebsrmvn_4xn_kernelILj128ELj1ELj16EdEEvi20rocsparse_direction_NS_24const_host_device_scalarIT2_EEPKiS6_PKS3_S8_S4_PS3_21rocsparse_index_base_b
    .private_segment_fixed_size: 0
    .sgpr_count:     16
    .sgpr_spill_count: 0
    .symbol:         _ZN9rocsparseL19gebsrmvn_4xn_kernelILj128ELj1ELj16EdEEvi20rocsparse_direction_NS_24const_host_device_scalarIT2_EEPKiS6_PKS3_S8_S4_PS3_21rocsparse_index_base_b.kd
    .uniform_work_group_size: 1
    .uses_dynamic_stack: false
    .vgpr_count:     32
    .vgpr_spill_count: 0
    .wavefront_size: 32
  - .args:
      - .offset:         0
        .size:           4
        .value_kind:     by_value
      - .offset:         4
        .size:           4
        .value_kind:     by_value
      - .offset:         8
        .size:           8
        .value_kind:     by_value
      - .actual_access:  read_only
        .address_space:  global
        .offset:         16
        .size:           8
        .value_kind:     global_buffer
      - .actual_access:  read_only
        .address_space:  global
        .offset:         24
        .size:           8
        .value_kind:     global_buffer
      - .actual_access:  read_only
        .address_space:  global
        .offset:         32
        .size:           8
        .value_kind:     global_buffer
      - .actual_access:  read_only
        .address_space:  global
        .offset:         40
        .size:           8
        .value_kind:     global_buffer
      - .offset:         48
        .size:           8
        .value_kind:     by_value
      - .address_space:  global
        .offset:         56
        .size:           8
        .value_kind:     global_buffer
      - .offset:         64
        .size:           4
        .value_kind:     by_value
      - .offset:         68
        .size:           1
        .value_kind:     by_value
    .group_segment_fixed_size: 0
    .kernarg_segment_align: 8
    .kernarg_segment_size: 72
    .language:       OpenCL C
    .language_version:
      - 2
      - 0
    .max_flat_workgroup_size: 128
    .name:           _ZN9rocsparseL19gebsrmvn_4xn_kernelILj128ELj1ELj32EdEEvi20rocsparse_direction_NS_24const_host_device_scalarIT2_EEPKiS6_PKS3_S8_S4_PS3_21rocsparse_index_base_b
    .private_segment_fixed_size: 0
    .sgpr_count:     16
    .sgpr_spill_count: 0
    .symbol:         _ZN9rocsparseL19gebsrmvn_4xn_kernelILj128ELj1ELj32EdEEvi20rocsparse_direction_NS_24const_host_device_scalarIT2_EEPKiS6_PKS3_S8_S4_PS3_21rocsparse_index_base_b.kd
    .uniform_work_group_size: 1
    .uses_dynamic_stack: false
    .vgpr_count:     32
    .vgpr_spill_count: 0
    .wavefront_size: 32
  - .args:
      - .offset:         0
        .size:           4
        .value_kind:     by_value
      - .offset:         4
        .size:           4
        .value_kind:     by_value
      - .offset:         8
        .size:           8
        .value_kind:     by_value
      - .actual_access:  read_only
        .address_space:  global
        .offset:         16
        .size:           8
        .value_kind:     global_buffer
      - .actual_access:  read_only
        .address_space:  global
        .offset:         24
        .size:           8
        .value_kind:     global_buffer
      - .actual_access:  read_only
        .address_space:  global
        .offset:         32
        .size:           8
        .value_kind:     global_buffer
      - .actual_access:  read_only
        .address_space:  global
        .offset:         40
        .size:           8
        .value_kind:     global_buffer
      - .offset:         48
        .size:           8
        .value_kind:     by_value
      - .address_space:  global
        .offset:         56
        .size:           8
        .value_kind:     global_buffer
      - .offset:         64
        .size:           4
        .value_kind:     by_value
      - .offset:         68
        .size:           1
        .value_kind:     by_value
    .group_segment_fixed_size: 0
    .kernarg_segment_align: 8
    .kernarg_segment_size: 72
    .language:       OpenCL C
    .language_version:
      - 2
      - 0
    .max_flat_workgroup_size: 128
    .name:           _ZN9rocsparseL19gebsrmvn_4xn_kernelILj128ELj1ELj64EdEEvi20rocsparse_direction_NS_24const_host_device_scalarIT2_EEPKiS6_PKS3_S8_S4_PS3_21rocsparse_index_base_b
    .private_segment_fixed_size: 0
    .sgpr_count:     16
    .sgpr_spill_count: 0
    .symbol:         _ZN9rocsparseL19gebsrmvn_4xn_kernelILj128ELj1ELj64EdEEvi20rocsparse_direction_NS_24const_host_device_scalarIT2_EEPKiS6_PKS3_S8_S4_PS3_21rocsparse_index_base_b.kd
    .uniform_work_group_size: 1
    .uses_dynamic_stack: false
    .vgpr_count:     32
    .vgpr_spill_count: 0
    .wavefront_size: 32
  - .args:
      - .offset:         0
        .size:           4
        .value_kind:     by_value
      - .offset:         4
        .size:           4
        .value_kind:     by_value
      - .offset:         8
        .size:           8
        .value_kind:     by_value
      - .actual_access:  read_only
        .address_space:  global
        .offset:         16
        .size:           8
        .value_kind:     global_buffer
      - .actual_access:  read_only
        .address_space:  global
        .offset:         24
        .size:           8
        .value_kind:     global_buffer
      - .actual_access:  read_only
        .address_space:  global
        .offset:         32
        .size:           8
        .value_kind:     global_buffer
      - .actual_access:  read_only
        .address_space:  global
        .offset:         40
        .size:           8
        .value_kind:     global_buffer
      - .offset:         48
        .size:           8
        .value_kind:     by_value
      - .address_space:  global
        .offset:         56
        .size:           8
        .value_kind:     global_buffer
      - .offset:         64
        .size:           4
        .value_kind:     by_value
      - .offset:         68
        .size:           1
        .value_kind:     by_value
    .group_segment_fixed_size: 0
    .kernarg_segment_align: 8
    .kernarg_segment_size: 72
    .language:       OpenCL C
    .language_version:
      - 2
      - 0
    .max_flat_workgroup_size: 128
    .name:           _ZN9rocsparseL19gebsrmvn_4xn_kernelILj128ELj2ELj4EdEEvi20rocsparse_direction_NS_24const_host_device_scalarIT2_EEPKiS6_PKS3_S8_S4_PS3_21rocsparse_index_base_b
    .private_segment_fixed_size: 0
    .sgpr_count:     16
    .sgpr_spill_count: 0
    .symbol:         _ZN9rocsparseL19gebsrmvn_4xn_kernelILj128ELj2ELj4EdEEvi20rocsparse_direction_NS_24const_host_device_scalarIT2_EEPKiS6_PKS3_S8_S4_PS3_21rocsparse_index_base_b.kd
    .uniform_work_group_size: 1
    .uses_dynamic_stack: false
    .vgpr_count:     44
    .vgpr_spill_count: 0
    .wavefront_size: 32
  - .args:
      - .offset:         0
        .size:           4
        .value_kind:     by_value
      - .offset:         4
        .size:           4
        .value_kind:     by_value
      - .offset:         8
        .size:           8
        .value_kind:     by_value
      - .actual_access:  read_only
        .address_space:  global
        .offset:         16
        .size:           8
        .value_kind:     global_buffer
      - .actual_access:  read_only
        .address_space:  global
        .offset:         24
        .size:           8
        .value_kind:     global_buffer
      - .actual_access:  read_only
        .address_space:  global
        .offset:         32
        .size:           8
        .value_kind:     global_buffer
      - .actual_access:  read_only
        .address_space:  global
        .offset:         40
        .size:           8
        .value_kind:     global_buffer
      - .offset:         48
        .size:           8
        .value_kind:     by_value
      - .address_space:  global
        .offset:         56
        .size:           8
        .value_kind:     global_buffer
      - .offset:         64
        .size:           4
        .value_kind:     by_value
      - .offset:         68
        .size:           1
        .value_kind:     by_value
    .group_segment_fixed_size: 0
    .kernarg_segment_align: 8
    .kernarg_segment_size: 72
    .language:       OpenCL C
    .language_version:
      - 2
      - 0
    .max_flat_workgroup_size: 128
    .name:           _ZN9rocsparseL19gebsrmvn_4xn_kernelILj128ELj2ELj8EdEEvi20rocsparse_direction_NS_24const_host_device_scalarIT2_EEPKiS6_PKS3_S8_S4_PS3_21rocsparse_index_base_b
    .private_segment_fixed_size: 0
    .sgpr_count:     16
    .sgpr_spill_count: 0
    .symbol:         _ZN9rocsparseL19gebsrmvn_4xn_kernelILj128ELj2ELj8EdEEvi20rocsparse_direction_NS_24const_host_device_scalarIT2_EEPKiS6_PKS3_S8_S4_PS3_21rocsparse_index_base_b.kd
    .uniform_work_group_size: 1
    .uses_dynamic_stack: false
    .vgpr_count:     44
    .vgpr_spill_count: 0
    .wavefront_size: 32
  - .args:
      - .offset:         0
        .size:           4
        .value_kind:     by_value
      - .offset:         4
        .size:           4
        .value_kind:     by_value
      - .offset:         8
        .size:           8
        .value_kind:     by_value
      - .actual_access:  read_only
        .address_space:  global
        .offset:         16
        .size:           8
        .value_kind:     global_buffer
      - .actual_access:  read_only
        .address_space:  global
        .offset:         24
        .size:           8
        .value_kind:     global_buffer
      - .actual_access:  read_only
        .address_space:  global
        .offset:         32
        .size:           8
        .value_kind:     global_buffer
      - .actual_access:  read_only
        .address_space:  global
        .offset:         40
        .size:           8
        .value_kind:     global_buffer
      - .offset:         48
        .size:           8
        .value_kind:     by_value
      - .address_space:  global
        .offset:         56
        .size:           8
        .value_kind:     global_buffer
      - .offset:         64
        .size:           4
        .value_kind:     by_value
      - .offset:         68
        .size:           1
        .value_kind:     by_value
    .group_segment_fixed_size: 0
    .kernarg_segment_align: 8
    .kernarg_segment_size: 72
    .language:       OpenCL C
    .language_version:
      - 2
      - 0
    .max_flat_workgroup_size: 128
    .name:           _ZN9rocsparseL19gebsrmvn_4xn_kernelILj128ELj2ELj16EdEEvi20rocsparse_direction_NS_24const_host_device_scalarIT2_EEPKiS6_PKS3_S8_S4_PS3_21rocsparse_index_base_b
    .private_segment_fixed_size: 0
    .sgpr_count:     16
    .sgpr_spill_count: 0
    .symbol:         _ZN9rocsparseL19gebsrmvn_4xn_kernelILj128ELj2ELj16EdEEvi20rocsparse_direction_NS_24const_host_device_scalarIT2_EEPKiS6_PKS3_S8_S4_PS3_21rocsparse_index_base_b.kd
    .uniform_work_group_size: 1
    .uses_dynamic_stack: false
    .vgpr_count:     44
    .vgpr_spill_count: 0
    .wavefront_size: 32
  - .args:
      - .offset:         0
        .size:           4
        .value_kind:     by_value
      - .offset:         4
        .size:           4
        .value_kind:     by_value
      - .offset:         8
        .size:           8
        .value_kind:     by_value
      - .actual_access:  read_only
        .address_space:  global
        .offset:         16
        .size:           8
        .value_kind:     global_buffer
      - .actual_access:  read_only
        .address_space:  global
        .offset:         24
        .size:           8
        .value_kind:     global_buffer
      - .actual_access:  read_only
        .address_space:  global
        .offset:         32
        .size:           8
        .value_kind:     global_buffer
      - .actual_access:  read_only
        .address_space:  global
        .offset:         40
        .size:           8
        .value_kind:     global_buffer
      - .offset:         48
        .size:           8
        .value_kind:     by_value
      - .address_space:  global
        .offset:         56
        .size:           8
        .value_kind:     global_buffer
      - .offset:         64
        .size:           4
        .value_kind:     by_value
      - .offset:         68
        .size:           1
        .value_kind:     by_value
    .group_segment_fixed_size: 0
    .kernarg_segment_align: 8
    .kernarg_segment_size: 72
    .language:       OpenCL C
    .language_version:
      - 2
      - 0
    .max_flat_workgroup_size: 128
    .name:           _ZN9rocsparseL19gebsrmvn_4xn_kernelILj128ELj2ELj32EdEEvi20rocsparse_direction_NS_24const_host_device_scalarIT2_EEPKiS6_PKS3_S8_S4_PS3_21rocsparse_index_base_b
    .private_segment_fixed_size: 0
    .sgpr_count:     16
    .sgpr_spill_count: 0
    .symbol:         _ZN9rocsparseL19gebsrmvn_4xn_kernelILj128ELj2ELj32EdEEvi20rocsparse_direction_NS_24const_host_device_scalarIT2_EEPKiS6_PKS3_S8_S4_PS3_21rocsparse_index_base_b.kd
    .uniform_work_group_size: 1
    .uses_dynamic_stack: false
    .vgpr_count:     44
    .vgpr_spill_count: 0
    .wavefront_size: 32
  - .args:
      - .offset:         0
        .size:           4
        .value_kind:     by_value
      - .offset:         4
        .size:           4
        .value_kind:     by_value
      - .offset:         8
        .size:           8
        .value_kind:     by_value
      - .actual_access:  read_only
        .address_space:  global
        .offset:         16
        .size:           8
        .value_kind:     global_buffer
      - .actual_access:  read_only
        .address_space:  global
        .offset:         24
        .size:           8
        .value_kind:     global_buffer
      - .actual_access:  read_only
        .address_space:  global
        .offset:         32
        .size:           8
        .value_kind:     global_buffer
      - .actual_access:  read_only
        .address_space:  global
        .offset:         40
        .size:           8
        .value_kind:     global_buffer
      - .offset:         48
        .size:           8
        .value_kind:     by_value
      - .address_space:  global
        .offset:         56
        .size:           8
        .value_kind:     global_buffer
      - .offset:         64
        .size:           4
        .value_kind:     by_value
      - .offset:         68
        .size:           1
        .value_kind:     by_value
    .group_segment_fixed_size: 0
    .kernarg_segment_align: 8
    .kernarg_segment_size: 72
    .language:       OpenCL C
    .language_version:
      - 2
      - 0
    .max_flat_workgroup_size: 128
    .name:           _ZN9rocsparseL19gebsrmvn_4xn_kernelILj128ELj2ELj64EdEEvi20rocsparse_direction_NS_24const_host_device_scalarIT2_EEPKiS6_PKS3_S8_S4_PS3_21rocsparse_index_base_b
    .private_segment_fixed_size: 0
    .sgpr_count:     16
    .sgpr_spill_count: 0
    .symbol:         _ZN9rocsparseL19gebsrmvn_4xn_kernelILj128ELj2ELj64EdEEvi20rocsparse_direction_NS_24const_host_device_scalarIT2_EEPKiS6_PKS3_S8_S4_PS3_21rocsparse_index_base_b.kd
    .uniform_work_group_size: 1
    .uses_dynamic_stack: false
    .vgpr_count:     44
    .vgpr_spill_count: 0
    .wavefront_size: 32
  - .args:
      - .offset:         0
        .size:           4
        .value_kind:     by_value
      - .offset:         4
        .size:           4
        .value_kind:     by_value
      - .offset:         8
        .size:           8
        .value_kind:     by_value
      - .actual_access:  read_only
        .address_space:  global
        .offset:         16
        .size:           8
        .value_kind:     global_buffer
      - .actual_access:  read_only
        .address_space:  global
        .offset:         24
        .size:           8
        .value_kind:     global_buffer
      - .actual_access:  read_only
        .address_space:  global
        .offset:         32
        .size:           8
        .value_kind:     global_buffer
      - .actual_access:  read_only
        .address_space:  global
        .offset:         40
        .size:           8
        .value_kind:     global_buffer
      - .offset:         48
        .size:           8
        .value_kind:     by_value
      - .address_space:  global
        .offset:         56
        .size:           8
        .value_kind:     global_buffer
      - .offset:         64
        .size:           4
        .value_kind:     by_value
      - .offset:         68
        .size:           1
        .value_kind:     by_value
    .group_segment_fixed_size: 0
    .kernarg_segment_align: 8
    .kernarg_segment_size: 72
    .language:       OpenCL C
    .language_version:
      - 2
      - 0
    .max_flat_workgroup_size: 128
    .name:           _ZN9rocsparseL19gebsrmvn_4xn_kernelILj128ELj3ELj4EdEEvi20rocsparse_direction_NS_24const_host_device_scalarIT2_EEPKiS6_PKS3_S8_S4_PS3_21rocsparse_index_base_b
    .private_segment_fixed_size: 0
    .sgpr_count:     16
    .sgpr_spill_count: 0
    .symbol:         _ZN9rocsparseL19gebsrmvn_4xn_kernelILj128ELj3ELj4EdEEvi20rocsparse_direction_NS_24const_host_device_scalarIT2_EEPKiS6_PKS3_S8_S4_PS3_21rocsparse_index_base_b.kd
    .uniform_work_group_size: 1
    .uses_dynamic_stack: false
    .vgpr_count:     52
    .vgpr_spill_count: 0
    .wavefront_size: 32
  - .args:
      - .offset:         0
        .size:           4
        .value_kind:     by_value
      - .offset:         4
        .size:           4
        .value_kind:     by_value
      - .offset:         8
        .size:           8
        .value_kind:     by_value
      - .actual_access:  read_only
        .address_space:  global
        .offset:         16
        .size:           8
        .value_kind:     global_buffer
      - .actual_access:  read_only
        .address_space:  global
        .offset:         24
        .size:           8
        .value_kind:     global_buffer
      - .actual_access:  read_only
        .address_space:  global
        .offset:         32
        .size:           8
        .value_kind:     global_buffer
      - .actual_access:  read_only
        .address_space:  global
        .offset:         40
        .size:           8
        .value_kind:     global_buffer
      - .offset:         48
        .size:           8
        .value_kind:     by_value
      - .address_space:  global
        .offset:         56
        .size:           8
        .value_kind:     global_buffer
      - .offset:         64
        .size:           4
        .value_kind:     by_value
      - .offset:         68
        .size:           1
        .value_kind:     by_value
    .group_segment_fixed_size: 0
    .kernarg_segment_align: 8
    .kernarg_segment_size: 72
    .language:       OpenCL C
    .language_version:
      - 2
      - 0
    .max_flat_workgroup_size: 128
    .name:           _ZN9rocsparseL19gebsrmvn_4xn_kernelILj128ELj3ELj8EdEEvi20rocsparse_direction_NS_24const_host_device_scalarIT2_EEPKiS6_PKS3_S8_S4_PS3_21rocsparse_index_base_b
    .private_segment_fixed_size: 0
    .sgpr_count:     16
    .sgpr_spill_count: 0
    .symbol:         _ZN9rocsparseL19gebsrmvn_4xn_kernelILj128ELj3ELj8EdEEvi20rocsparse_direction_NS_24const_host_device_scalarIT2_EEPKiS6_PKS3_S8_S4_PS3_21rocsparse_index_base_b.kd
    .uniform_work_group_size: 1
    .uses_dynamic_stack: false
    .vgpr_count:     52
    .vgpr_spill_count: 0
    .wavefront_size: 32
  - .args:
      - .offset:         0
        .size:           4
        .value_kind:     by_value
      - .offset:         4
        .size:           4
        .value_kind:     by_value
      - .offset:         8
        .size:           8
        .value_kind:     by_value
      - .actual_access:  read_only
        .address_space:  global
        .offset:         16
        .size:           8
        .value_kind:     global_buffer
      - .actual_access:  read_only
        .address_space:  global
        .offset:         24
        .size:           8
        .value_kind:     global_buffer
      - .actual_access:  read_only
        .address_space:  global
        .offset:         32
        .size:           8
        .value_kind:     global_buffer
      - .actual_access:  read_only
        .address_space:  global
        .offset:         40
        .size:           8
        .value_kind:     global_buffer
      - .offset:         48
        .size:           8
        .value_kind:     by_value
      - .address_space:  global
        .offset:         56
        .size:           8
        .value_kind:     global_buffer
      - .offset:         64
        .size:           4
        .value_kind:     by_value
      - .offset:         68
        .size:           1
        .value_kind:     by_value
    .group_segment_fixed_size: 0
    .kernarg_segment_align: 8
    .kernarg_segment_size: 72
    .language:       OpenCL C
    .language_version:
      - 2
      - 0
    .max_flat_workgroup_size: 128
    .name:           _ZN9rocsparseL19gebsrmvn_4xn_kernelILj128ELj3ELj16EdEEvi20rocsparse_direction_NS_24const_host_device_scalarIT2_EEPKiS6_PKS3_S8_S4_PS3_21rocsparse_index_base_b
    .private_segment_fixed_size: 0
    .sgpr_count:     16
    .sgpr_spill_count: 0
    .symbol:         _ZN9rocsparseL19gebsrmvn_4xn_kernelILj128ELj3ELj16EdEEvi20rocsparse_direction_NS_24const_host_device_scalarIT2_EEPKiS6_PKS3_S8_S4_PS3_21rocsparse_index_base_b.kd
    .uniform_work_group_size: 1
    .uses_dynamic_stack: false
    .vgpr_count:     52
    .vgpr_spill_count: 0
    .wavefront_size: 32
  - .args:
      - .offset:         0
        .size:           4
        .value_kind:     by_value
      - .offset:         4
        .size:           4
        .value_kind:     by_value
      - .offset:         8
        .size:           8
        .value_kind:     by_value
      - .actual_access:  read_only
        .address_space:  global
        .offset:         16
        .size:           8
        .value_kind:     global_buffer
      - .actual_access:  read_only
        .address_space:  global
        .offset:         24
        .size:           8
        .value_kind:     global_buffer
      - .actual_access:  read_only
        .address_space:  global
        .offset:         32
        .size:           8
        .value_kind:     global_buffer
      - .actual_access:  read_only
        .address_space:  global
        .offset:         40
        .size:           8
        .value_kind:     global_buffer
      - .offset:         48
        .size:           8
        .value_kind:     by_value
      - .address_space:  global
        .offset:         56
        .size:           8
        .value_kind:     global_buffer
      - .offset:         64
        .size:           4
        .value_kind:     by_value
      - .offset:         68
        .size:           1
        .value_kind:     by_value
    .group_segment_fixed_size: 0
    .kernarg_segment_align: 8
    .kernarg_segment_size: 72
    .language:       OpenCL C
    .language_version:
      - 2
      - 0
    .max_flat_workgroup_size: 128
    .name:           _ZN9rocsparseL19gebsrmvn_4xn_kernelILj128ELj3ELj32EdEEvi20rocsparse_direction_NS_24const_host_device_scalarIT2_EEPKiS6_PKS3_S8_S4_PS3_21rocsparse_index_base_b
    .private_segment_fixed_size: 0
    .sgpr_count:     16
    .sgpr_spill_count: 0
    .symbol:         _ZN9rocsparseL19gebsrmvn_4xn_kernelILj128ELj3ELj32EdEEvi20rocsparse_direction_NS_24const_host_device_scalarIT2_EEPKiS6_PKS3_S8_S4_PS3_21rocsparse_index_base_b.kd
    .uniform_work_group_size: 1
    .uses_dynamic_stack: false
    .vgpr_count:     52
    .vgpr_spill_count: 0
    .wavefront_size: 32
  - .args:
      - .offset:         0
        .size:           4
        .value_kind:     by_value
      - .offset:         4
        .size:           4
        .value_kind:     by_value
      - .offset:         8
        .size:           8
        .value_kind:     by_value
      - .actual_access:  read_only
        .address_space:  global
        .offset:         16
        .size:           8
        .value_kind:     global_buffer
      - .actual_access:  read_only
        .address_space:  global
        .offset:         24
        .size:           8
        .value_kind:     global_buffer
      - .actual_access:  read_only
        .address_space:  global
        .offset:         32
        .size:           8
        .value_kind:     global_buffer
      - .actual_access:  read_only
        .address_space:  global
        .offset:         40
        .size:           8
        .value_kind:     global_buffer
      - .offset:         48
        .size:           8
        .value_kind:     by_value
      - .address_space:  global
        .offset:         56
        .size:           8
        .value_kind:     global_buffer
      - .offset:         64
        .size:           4
        .value_kind:     by_value
      - .offset:         68
        .size:           1
        .value_kind:     by_value
    .group_segment_fixed_size: 0
    .kernarg_segment_align: 8
    .kernarg_segment_size: 72
    .language:       OpenCL C
    .language_version:
      - 2
      - 0
    .max_flat_workgroup_size: 128
    .name:           _ZN9rocsparseL19gebsrmvn_4xn_kernelILj128ELj3ELj64EdEEvi20rocsparse_direction_NS_24const_host_device_scalarIT2_EEPKiS6_PKS3_S8_S4_PS3_21rocsparse_index_base_b
    .private_segment_fixed_size: 0
    .sgpr_count:     16
    .sgpr_spill_count: 0
    .symbol:         _ZN9rocsparseL19gebsrmvn_4xn_kernelILj128ELj3ELj64EdEEvi20rocsparse_direction_NS_24const_host_device_scalarIT2_EEPKiS6_PKS3_S8_S4_PS3_21rocsparse_index_base_b.kd
    .uniform_work_group_size: 1
    .uses_dynamic_stack: false
    .vgpr_count:     52
    .vgpr_spill_count: 0
    .wavefront_size: 32
  - .args:
      - .offset:         0
        .size:           4
        .value_kind:     by_value
      - .offset:         4
        .size:           4
        .value_kind:     by_value
      - .offset:         8
        .size:           8
        .value_kind:     by_value
      - .actual_access:  read_only
        .address_space:  global
        .offset:         16
        .size:           8
        .value_kind:     global_buffer
      - .actual_access:  read_only
        .address_space:  global
        .offset:         24
        .size:           8
        .value_kind:     global_buffer
      - .actual_access:  read_only
        .address_space:  global
        .offset:         32
        .size:           8
        .value_kind:     global_buffer
      - .actual_access:  read_only
        .address_space:  global
        .offset:         40
        .size:           8
        .value_kind:     global_buffer
      - .offset:         48
        .size:           8
        .value_kind:     by_value
      - .address_space:  global
        .offset:         56
        .size:           8
        .value_kind:     global_buffer
      - .offset:         64
        .size:           4
        .value_kind:     by_value
      - .offset:         68
        .size:           1
        .value_kind:     by_value
    .group_segment_fixed_size: 0
    .kernarg_segment_align: 8
    .kernarg_segment_size: 72
    .language:       OpenCL C
    .language_version:
      - 2
      - 0
    .max_flat_workgroup_size: 128
    .name:           _ZN9rocsparseL19gebsrmvn_4xn_kernelILj128ELj5ELj4EdEEvi20rocsparse_direction_NS_24const_host_device_scalarIT2_EEPKiS6_PKS3_S8_S4_PS3_21rocsparse_index_base_b
    .private_segment_fixed_size: 0
    .sgpr_count:     16
    .sgpr_spill_count: 0
    .symbol:         _ZN9rocsparseL19gebsrmvn_4xn_kernelILj128ELj5ELj4EdEEvi20rocsparse_direction_NS_24const_host_device_scalarIT2_EEPKiS6_PKS3_S8_S4_PS3_21rocsparse_index_base_b.kd
    .uniform_work_group_size: 1
    .uses_dynamic_stack: false
    .vgpr_count:     74
    .vgpr_spill_count: 0
    .wavefront_size: 32
  - .args:
      - .offset:         0
        .size:           4
        .value_kind:     by_value
      - .offset:         4
        .size:           4
        .value_kind:     by_value
      - .offset:         8
        .size:           8
        .value_kind:     by_value
      - .actual_access:  read_only
        .address_space:  global
        .offset:         16
        .size:           8
        .value_kind:     global_buffer
      - .actual_access:  read_only
        .address_space:  global
        .offset:         24
        .size:           8
        .value_kind:     global_buffer
      - .actual_access:  read_only
        .address_space:  global
        .offset:         32
        .size:           8
        .value_kind:     global_buffer
      - .actual_access:  read_only
        .address_space:  global
        .offset:         40
        .size:           8
        .value_kind:     global_buffer
      - .offset:         48
        .size:           8
        .value_kind:     by_value
      - .address_space:  global
        .offset:         56
        .size:           8
        .value_kind:     global_buffer
      - .offset:         64
        .size:           4
        .value_kind:     by_value
      - .offset:         68
        .size:           1
        .value_kind:     by_value
    .group_segment_fixed_size: 0
    .kernarg_segment_align: 8
    .kernarg_segment_size: 72
    .language:       OpenCL C
    .language_version:
      - 2
      - 0
    .max_flat_workgroup_size: 128
    .name:           _ZN9rocsparseL19gebsrmvn_4xn_kernelILj128ELj5ELj8EdEEvi20rocsparse_direction_NS_24const_host_device_scalarIT2_EEPKiS6_PKS3_S8_S4_PS3_21rocsparse_index_base_b
    .private_segment_fixed_size: 0
    .sgpr_count:     16
    .sgpr_spill_count: 0
    .symbol:         _ZN9rocsparseL19gebsrmvn_4xn_kernelILj128ELj5ELj8EdEEvi20rocsparse_direction_NS_24const_host_device_scalarIT2_EEPKiS6_PKS3_S8_S4_PS3_21rocsparse_index_base_b.kd
    .uniform_work_group_size: 1
    .uses_dynamic_stack: false
    .vgpr_count:     74
    .vgpr_spill_count: 0
    .wavefront_size: 32
  - .args:
      - .offset:         0
        .size:           4
        .value_kind:     by_value
      - .offset:         4
        .size:           4
        .value_kind:     by_value
      - .offset:         8
        .size:           8
        .value_kind:     by_value
      - .actual_access:  read_only
        .address_space:  global
        .offset:         16
        .size:           8
        .value_kind:     global_buffer
      - .actual_access:  read_only
        .address_space:  global
        .offset:         24
        .size:           8
        .value_kind:     global_buffer
      - .actual_access:  read_only
        .address_space:  global
        .offset:         32
        .size:           8
        .value_kind:     global_buffer
      - .actual_access:  read_only
        .address_space:  global
        .offset:         40
        .size:           8
        .value_kind:     global_buffer
      - .offset:         48
        .size:           8
        .value_kind:     by_value
      - .address_space:  global
        .offset:         56
        .size:           8
        .value_kind:     global_buffer
      - .offset:         64
        .size:           4
        .value_kind:     by_value
      - .offset:         68
        .size:           1
        .value_kind:     by_value
    .group_segment_fixed_size: 0
    .kernarg_segment_align: 8
    .kernarg_segment_size: 72
    .language:       OpenCL C
    .language_version:
      - 2
      - 0
    .max_flat_workgroup_size: 128
    .name:           _ZN9rocsparseL19gebsrmvn_4xn_kernelILj128ELj5ELj16EdEEvi20rocsparse_direction_NS_24const_host_device_scalarIT2_EEPKiS6_PKS3_S8_S4_PS3_21rocsparse_index_base_b
    .private_segment_fixed_size: 0
    .sgpr_count:     16
    .sgpr_spill_count: 0
    .symbol:         _ZN9rocsparseL19gebsrmvn_4xn_kernelILj128ELj5ELj16EdEEvi20rocsparse_direction_NS_24const_host_device_scalarIT2_EEPKiS6_PKS3_S8_S4_PS3_21rocsparse_index_base_b.kd
    .uniform_work_group_size: 1
    .uses_dynamic_stack: false
    .vgpr_count:     74
    .vgpr_spill_count: 0
    .wavefront_size: 32
  - .args:
      - .offset:         0
        .size:           4
        .value_kind:     by_value
      - .offset:         4
        .size:           4
        .value_kind:     by_value
      - .offset:         8
        .size:           8
        .value_kind:     by_value
      - .actual_access:  read_only
        .address_space:  global
        .offset:         16
        .size:           8
        .value_kind:     global_buffer
      - .actual_access:  read_only
        .address_space:  global
        .offset:         24
        .size:           8
        .value_kind:     global_buffer
      - .actual_access:  read_only
        .address_space:  global
        .offset:         32
        .size:           8
        .value_kind:     global_buffer
      - .actual_access:  read_only
        .address_space:  global
        .offset:         40
        .size:           8
        .value_kind:     global_buffer
      - .offset:         48
        .size:           8
        .value_kind:     by_value
      - .address_space:  global
        .offset:         56
        .size:           8
        .value_kind:     global_buffer
      - .offset:         64
        .size:           4
        .value_kind:     by_value
      - .offset:         68
        .size:           1
        .value_kind:     by_value
    .group_segment_fixed_size: 0
    .kernarg_segment_align: 8
    .kernarg_segment_size: 72
    .language:       OpenCL C
    .language_version:
      - 2
      - 0
    .max_flat_workgroup_size: 128
    .name:           _ZN9rocsparseL19gebsrmvn_4xn_kernelILj128ELj5ELj32EdEEvi20rocsparse_direction_NS_24const_host_device_scalarIT2_EEPKiS6_PKS3_S8_S4_PS3_21rocsparse_index_base_b
    .private_segment_fixed_size: 0
    .sgpr_count:     16
    .sgpr_spill_count: 0
    .symbol:         _ZN9rocsparseL19gebsrmvn_4xn_kernelILj128ELj5ELj32EdEEvi20rocsparse_direction_NS_24const_host_device_scalarIT2_EEPKiS6_PKS3_S8_S4_PS3_21rocsparse_index_base_b.kd
    .uniform_work_group_size: 1
    .uses_dynamic_stack: false
    .vgpr_count:     74
    .vgpr_spill_count: 0
    .wavefront_size: 32
  - .args:
      - .offset:         0
        .size:           4
        .value_kind:     by_value
      - .offset:         4
        .size:           4
        .value_kind:     by_value
      - .offset:         8
        .size:           8
        .value_kind:     by_value
      - .actual_access:  read_only
        .address_space:  global
        .offset:         16
        .size:           8
        .value_kind:     global_buffer
      - .actual_access:  read_only
        .address_space:  global
        .offset:         24
        .size:           8
        .value_kind:     global_buffer
      - .actual_access:  read_only
        .address_space:  global
        .offset:         32
        .size:           8
        .value_kind:     global_buffer
      - .actual_access:  read_only
        .address_space:  global
        .offset:         40
        .size:           8
        .value_kind:     global_buffer
      - .offset:         48
        .size:           8
        .value_kind:     by_value
      - .address_space:  global
        .offset:         56
        .size:           8
        .value_kind:     global_buffer
      - .offset:         64
        .size:           4
        .value_kind:     by_value
      - .offset:         68
        .size:           1
        .value_kind:     by_value
    .group_segment_fixed_size: 0
    .kernarg_segment_align: 8
    .kernarg_segment_size: 72
    .language:       OpenCL C
    .language_version:
      - 2
      - 0
    .max_flat_workgroup_size: 128
    .name:           _ZN9rocsparseL19gebsrmvn_4xn_kernelILj128ELj5ELj64EdEEvi20rocsparse_direction_NS_24const_host_device_scalarIT2_EEPKiS6_PKS3_S8_S4_PS3_21rocsparse_index_base_b
    .private_segment_fixed_size: 0
    .sgpr_count:     16
    .sgpr_spill_count: 0
    .symbol:         _ZN9rocsparseL19gebsrmvn_4xn_kernelILj128ELj5ELj64EdEEvi20rocsparse_direction_NS_24const_host_device_scalarIT2_EEPKiS6_PKS3_S8_S4_PS3_21rocsparse_index_base_b.kd
    .uniform_work_group_size: 1
    .uses_dynamic_stack: false
    .vgpr_count:     74
    .vgpr_spill_count: 0
    .wavefront_size: 32
  - .args:
      - .offset:         0
        .size:           4
        .value_kind:     by_value
      - .offset:         4
        .size:           4
        .value_kind:     by_value
      - .offset:         8
        .size:           8
        .value_kind:     by_value
      - .actual_access:  read_only
        .address_space:  global
        .offset:         16
        .size:           8
        .value_kind:     global_buffer
      - .actual_access:  read_only
        .address_space:  global
        .offset:         24
        .size:           8
        .value_kind:     global_buffer
      - .actual_access:  read_only
        .address_space:  global
        .offset:         32
        .size:           8
        .value_kind:     global_buffer
      - .actual_access:  read_only
        .address_space:  global
        .offset:         40
        .size:           8
        .value_kind:     global_buffer
      - .offset:         48
        .size:           8
        .value_kind:     by_value
      - .address_space:  global
        .offset:         56
        .size:           8
        .value_kind:     global_buffer
      - .offset:         64
        .size:           4
        .value_kind:     by_value
      - .offset:         68
        .size:           1
        .value_kind:     by_value
    .group_segment_fixed_size: 0
    .kernarg_segment_align: 8
    .kernarg_segment_size: 72
    .language:       OpenCL C
    .language_version:
      - 2
      - 0
    .max_flat_workgroup_size: 128
    .name:           _ZN9rocsparseL19gebsrmvn_4xn_kernelILj128ELj6ELj4EdEEvi20rocsparse_direction_NS_24const_host_device_scalarIT2_EEPKiS6_PKS3_S8_S4_PS3_21rocsparse_index_base_b
    .private_segment_fixed_size: 0
    .sgpr_count:     16
    .sgpr_spill_count: 0
    .symbol:         _ZN9rocsparseL19gebsrmvn_4xn_kernelILj128ELj6ELj4EdEEvi20rocsparse_direction_NS_24const_host_device_scalarIT2_EEPKiS6_PKS3_S8_S4_PS3_21rocsparse_index_base_b.kd
    .uniform_work_group_size: 1
    .uses_dynamic_stack: false
    .vgpr_count:     84
    .vgpr_spill_count: 0
    .wavefront_size: 32
  - .args:
      - .offset:         0
        .size:           4
        .value_kind:     by_value
      - .offset:         4
        .size:           4
        .value_kind:     by_value
      - .offset:         8
        .size:           8
        .value_kind:     by_value
      - .actual_access:  read_only
        .address_space:  global
        .offset:         16
        .size:           8
        .value_kind:     global_buffer
      - .actual_access:  read_only
        .address_space:  global
        .offset:         24
        .size:           8
        .value_kind:     global_buffer
      - .actual_access:  read_only
        .address_space:  global
        .offset:         32
        .size:           8
        .value_kind:     global_buffer
      - .actual_access:  read_only
        .address_space:  global
        .offset:         40
        .size:           8
        .value_kind:     global_buffer
      - .offset:         48
        .size:           8
        .value_kind:     by_value
      - .address_space:  global
        .offset:         56
        .size:           8
        .value_kind:     global_buffer
      - .offset:         64
        .size:           4
        .value_kind:     by_value
      - .offset:         68
        .size:           1
        .value_kind:     by_value
    .group_segment_fixed_size: 0
    .kernarg_segment_align: 8
    .kernarg_segment_size: 72
    .language:       OpenCL C
    .language_version:
      - 2
      - 0
    .max_flat_workgroup_size: 128
    .name:           _ZN9rocsparseL19gebsrmvn_4xn_kernelILj128ELj6ELj8EdEEvi20rocsparse_direction_NS_24const_host_device_scalarIT2_EEPKiS6_PKS3_S8_S4_PS3_21rocsparse_index_base_b
    .private_segment_fixed_size: 0
    .sgpr_count:     16
    .sgpr_spill_count: 0
    .symbol:         _ZN9rocsparseL19gebsrmvn_4xn_kernelILj128ELj6ELj8EdEEvi20rocsparse_direction_NS_24const_host_device_scalarIT2_EEPKiS6_PKS3_S8_S4_PS3_21rocsparse_index_base_b.kd
    .uniform_work_group_size: 1
    .uses_dynamic_stack: false
    .vgpr_count:     84
    .vgpr_spill_count: 0
    .wavefront_size: 32
  - .args:
      - .offset:         0
        .size:           4
        .value_kind:     by_value
      - .offset:         4
        .size:           4
        .value_kind:     by_value
      - .offset:         8
        .size:           8
        .value_kind:     by_value
      - .actual_access:  read_only
        .address_space:  global
        .offset:         16
        .size:           8
        .value_kind:     global_buffer
      - .actual_access:  read_only
        .address_space:  global
        .offset:         24
        .size:           8
        .value_kind:     global_buffer
      - .actual_access:  read_only
        .address_space:  global
        .offset:         32
        .size:           8
        .value_kind:     global_buffer
      - .actual_access:  read_only
        .address_space:  global
        .offset:         40
        .size:           8
        .value_kind:     global_buffer
      - .offset:         48
        .size:           8
        .value_kind:     by_value
      - .address_space:  global
        .offset:         56
        .size:           8
        .value_kind:     global_buffer
      - .offset:         64
        .size:           4
        .value_kind:     by_value
      - .offset:         68
        .size:           1
        .value_kind:     by_value
    .group_segment_fixed_size: 0
    .kernarg_segment_align: 8
    .kernarg_segment_size: 72
    .language:       OpenCL C
    .language_version:
      - 2
      - 0
    .max_flat_workgroup_size: 128
    .name:           _ZN9rocsparseL19gebsrmvn_4xn_kernelILj128ELj6ELj16EdEEvi20rocsparse_direction_NS_24const_host_device_scalarIT2_EEPKiS6_PKS3_S8_S4_PS3_21rocsparse_index_base_b
    .private_segment_fixed_size: 0
    .sgpr_count:     16
    .sgpr_spill_count: 0
    .symbol:         _ZN9rocsparseL19gebsrmvn_4xn_kernelILj128ELj6ELj16EdEEvi20rocsparse_direction_NS_24const_host_device_scalarIT2_EEPKiS6_PKS3_S8_S4_PS3_21rocsparse_index_base_b.kd
    .uniform_work_group_size: 1
    .uses_dynamic_stack: false
    .vgpr_count:     84
    .vgpr_spill_count: 0
    .wavefront_size: 32
  - .args:
      - .offset:         0
        .size:           4
        .value_kind:     by_value
      - .offset:         4
        .size:           4
        .value_kind:     by_value
      - .offset:         8
        .size:           8
        .value_kind:     by_value
      - .actual_access:  read_only
        .address_space:  global
        .offset:         16
        .size:           8
        .value_kind:     global_buffer
      - .actual_access:  read_only
        .address_space:  global
        .offset:         24
        .size:           8
        .value_kind:     global_buffer
      - .actual_access:  read_only
        .address_space:  global
        .offset:         32
        .size:           8
        .value_kind:     global_buffer
      - .actual_access:  read_only
        .address_space:  global
        .offset:         40
        .size:           8
        .value_kind:     global_buffer
      - .offset:         48
        .size:           8
        .value_kind:     by_value
      - .address_space:  global
        .offset:         56
        .size:           8
        .value_kind:     global_buffer
      - .offset:         64
        .size:           4
        .value_kind:     by_value
      - .offset:         68
        .size:           1
        .value_kind:     by_value
    .group_segment_fixed_size: 0
    .kernarg_segment_align: 8
    .kernarg_segment_size: 72
    .language:       OpenCL C
    .language_version:
      - 2
      - 0
    .max_flat_workgroup_size: 128
    .name:           _ZN9rocsparseL19gebsrmvn_4xn_kernelILj128ELj6ELj32EdEEvi20rocsparse_direction_NS_24const_host_device_scalarIT2_EEPKiS6_PKS3_S8_S4_PS3_21rocsparse_index_base_b
    .private_segment_fixed_size: 0
    .sgpr_count:     16
    .sgpr_spill_count: 0
    .symbol:         _ZN9rocsparseL19gebsrmvn_4xn_kernelILj128ELj6ELj32EdEEvi20rocsparse_direction_NS_24const_host_device_scalarIT2_EEPKiS6_PKS3_S8_S4_PS3_21rocsparse_index_base_b.kd
    .uniform_work_group_size: 1
    .uses_dynamic_stack: false
    .vgpr_count:     84
    .vgpr_spill_count: 0
    .wavefront_size: 32
  - .args:
      - .offset:         0
        .size:           4
        .value_kind:     by_value
      - .offset:         4
        .size:           4
        .value_kind:     by_value
      - .offset:         8
        .size:           8
        .value_kind:     by_value
      - .actual_access:  read_only
        .address_space:  global
        .offset:         16
        .size:           8
        .value_kind:     global_buffer
      - .actual_access:  read_only
        .address_space:  global
        .offset:         24
        .size:           8
        .value_kind:     global_buffer
      - .actual_access:  read_only
        .address_space:  global
        .offset:         32
        .size:           8
        .value_kind:     global_buffer
      - .actual_access:  read_only
        .address_space:  global
        .offset:         40
        .size:           8
        .value_kind:     global_buffer
      - .offset:         48
        .size:           8
        .value_kind:     by_value
      - .address_space:  global
        .offset:         56
        .size:           8
        .value_kind:     global_buffer
      - .offset:         64
        .size:           4
        .value_kind:     by_value
      - .offset:         68
        .size:           1
        .value_kind:     by_value
    .group_segment_fixed_size: 0
    .kernarg_segment_align: 8
    .kernarg_segment_size: 72
    .language:       OpenCL C
    .language_version:
      - 2
      - 0
    .max_flat_workgroup_size: 128
    .name:           _ZN9rocsparseL19gebsrmvn_4xn_kernelILj128ELj6ELj64EdEEvi20rocsparse_direction_NS_24const_host_device_scalarIT2_EEPKiS6_PKS3_S8_S4_PS3_21rocsparse_index_base_b
    .private_segment_fixed_size: 0
    .sgpr_count:     16
    .sgpr_spill_count: 0
    .symbol:         _ZN9rocsparseL19gebsrmvn_4xn_kernelILj128ELj6ELj64EdEEvi20rocsparse_direction_NS_24const_host_device_scalarIT2_EEPKiS6_PKS3_S8_S4_PS3_21rocsparse_index_base_b.kd
    .uniform_work_group_size: 1
    .uses_dynamic_stack: false
    .vgpr_count:     84
    .vgpr_spill_count: 0
    .wavefront_size: 32
  - .args:
      - .offset:         0
        .size:           4
        .value_kind:     by_value
      - .offset:         4
        .size:           4
        .value_kind:     by_value
      - .offset:         8
        .size:           8
        .value_kind:     by_value
      - .actual_access:  read_only
        .address_space:  global
        .offset:         16
        .size:           8
        .value_kind:     global_buffer
      - .actual_access:  read_only
        .address_space:  global
        .offset:         24
        .size:           8
        .value_kind:     global_buffer
      - .actual_access:  read_only
        .address_space:  global
        .offset:         32
        .size:           8
        .value_kind:     global_buffer
      - .actual_access:  read_only
        .address_space:  global
        .offset:         40
        .size:           8
        .value_kind:     global_buffer
      - .offset:         48
        .size:           8
        .value_kind:     by_value
      - .address_space:  global
        .offset:         56
        .size:           8
        .value_kind:     global_buffer
      - .offset:         64
        .size:           4
        .value_kind:     by_value
      - .offset:         68
        .size:           1
        .value_kind:     by_value
    .group_segment_fixed_size: 0
    .kernarg_segment_align: 8
    .kernarg_segment_size: 72
    .language:       OpenCL C
    .language_version:
      - 2
      - 0
    .max_flat_workgroup_size: 128
    .name:           _ZN9rocsparseL19gebsrmvn_4xn_kernelILj128ELj7ELj4EdEEvi20rocsparse_direction_NS_24const_host_device_scalarIT2_EEPKiS6_PKS3_S8_S4_PS3_21rocsparse_index_base_b
    .private_segment_fixed_size: 0
    .sgpr_count:     16
    .sgpr_spill_count: 0
    .symbol:         _ZN9rocsparseL19gebsrmvn_4xn_kernelILj128ELj7ELj4EdEEvi20rocsparse_direction_NS_24const_host_device_scalarIT2_EEPKiS6_PKS3_S8_S4_PS3_21rocsparse_index_base_b.kd
    .uniform_work_group_size: 1
    .uses_dynamic_stack: false
    .vgpr_count:     94
    .vgpr_spill_count: 0
    .wavefront_size: 32
  - .args:
      - .offset:         0
        .size:           4
        .value_kind:     by_value
      - .offset:         4
        .size:           4
        .value_kind:     by_value
      - .offset:         8
        .size:           8
        .value_kind:     by_value
      - .actual_access:  read_only
        .address_space:  global
        .offset:         16
        .size:           8
        .value_kind:     global_buffer
      - .actual_access:  read_only
        .address_space:  global
        .offset:         24
        .size:           8
        .value_kind:     global_buffer
      - .actual_access:  read_only
        .address_space:  global
        .offset:         32
        .size:           8
        .value_kind:     global_buffer
      - .actual_access:  read_only
        .address_space:  global
        .offset:         40
        .size:           8
        .value_kind:     global_buffer
      - .offset:         48
        .size:           8
        .value_kind:     by_value
      - .address_space:  global
        .offset:         56
        .size:           8
        .value_kind:     global_buffer
      - .offset:         64
        .size:           4
        .value_kind:     by_value
      - .offset:         68
        .size:           1
        .value_kind:     by_value
    .group_segment_fixed_size: 0
    .kernarg_segment_align: 8
    .kernarg_segment_size: 72
    .language:       OpenCL C
    .language_version:
      - 2
      - 0
    .max_flat_workgroup_size: 128
    .name:           _ZN9rocsparseL19gebsrmvn_4xn_kernelILj128ELj7ELj8EdEEvi20rocsparse_direction_NS_24const_host_device_scalarIT2_EEPKiS6_PKS3_S8_S4_PS3_21rocsparse_index_base_b
    .private_segment_fixed_size: 0
    .sgpr_count:     16
    .sgpr_spill_count: 0
    .symbol:         _ZN9rocsparseL19gebsrmvn_4xn_kernelILj128ELj7ELj8EdEEvi20rocsparse_direction_NS_24const_host_device_scalarIT2_EEPKiS6_PKS3_S8_S4_PS3_21rocsparse_index_base_b.kd
    .uniform_work_group_size: 1
    .uses_dynamic_stack: false
    .vgpr_count:     94
    .vgpr_spill_count: 0
    .wavefront_size: 32
  - .args:
      - .offset:         0
        .size:           4
        .value_kind:     by_value
      - .offset:         4
        .size:           4
        .value_kind:     by_value
      - .offset:         8
        .size:           8
        .value_kind:     by_value
      - .actual_access:  read_only
        .address_space:  global
        .offset:         16
        .size:           8
        .value_kind:     global_buffer
      - .actual_access:  read_only
        .address_space:  global
        .offset:         24
        .size:           8
        .value_kind:     global_buffer
      - .actual_access:  read_only
        .address_space:  global
        .offset:         32
        .size:           8
        .value_kind:     global_buffer
      - .actual_access:  read_only
        .address_space:  global
        .offset:         40
        .size:           8
        .value_kind:     global_buffer
      - .offset:         48
        .size:           8
        .value_kind:     by_value
      - .address_space:  global
        .offset:         56
        .size:           8
        .value_kind:     global_buffer
      - .offset:         64
        .size:           4
        .value_kind:     by_value
      - .offset:         68
        .size:           1
        .value_kind:     by_value
    .group_segment_fixed_size: 0
    .kernarg_segment_align: 8
    .kernarg_segment_size: 72
    .language:       OpenCL C
    .language_version:
      - 2
      - 0
    .max_flat_workgroup_size: 128
    .name:           _ZN9rocsparseL19gebsrmvn_4xn_kernelILj128ELj7ELj16EdEEvi20rocsparse_direction_NS_24const_host_device_scalarIT2_EEPKiS6_PKS3_S8_S4_PS3_21rocsparse_index_base_b
    .private_segment_fixed_size: 0
    .sgpr_count:     16
    .sgpr_spill_count: 0
    .symbol:         _ZN9rocsparseL19gebsrmvn_4xn_kernelILj128ELj7ELj16EdEEvi20rocsparse_direction_NS_24const_host_device_scalarIT2_EEPKiS6_PKS3_S8_S4_PS3_21rocsparse_index_base_b.kd
    .uniform_work_group_size: 1
    .uses_dynamic_stack: false
    .vgpr_count:     94
    .vgpr_spill_count: 0
    .wavefront_size: 32
  - .args:
      - .offset:         0
        .size:           4
        .value_kind:     by_value
      - .offset:         4
        .size:           4
        .value_kind:     by_value
      - .offset:         8
        .size:           8
        .value_kind:     by_value
      - .actual_access:  read_only
        .address_space:  global
        .offset:         16
        .size:           8
        .value_kind:     global_buffer
      - .actual_access:  read_only
        .address_space:  global
        .offset:         24
        .size:           8
        .value_kind:     global_buffer
      - .actual_access:  read_only
        .address_space:  global
        .offset:         32
        .size:           8
        .value_kind:     global_buffer
      - .actual_access:  read_only
        .address_space:  global
        .offset:         40
        .size:           8
        .value_kind:     global_buffer
      - .offset:         48
        .size:           8
        .value_kind:     by_value
      - .address_space:  global
        .offset:         56
        .size:           8
        .value_kind:     global_buffer
      - .offset:         64
        .size:           4
        .value_kind:     by_value
      - .offset:         68
        .size:           1
        .value_kind:     by_value
    .group_segment_fixed_size: 0
    .kernarg_segment_align: 8
    .kernarg_segment_size: 72
    .language:       OpenCL C
    .language_version:
      - 2
      - 0
    .max_flat_workgroup_size: 128
    .name:           _ZN9rocsparseL19gebsrmvn_4xn_kernelILj128ELj7ELj32EdEEvi20rocsparse_direction_NS_24const_host_device_scalarIT2_EEPKiS6_PKS3_S8_S4_PS3_21rocsparse_index_base_b
    .private_segment_fixed_size: 0
    .sgpr_count:     16
    .sgpr_spill_count: 0
    .symbol:         _ZN9rocsparseL19gebsrmvn_4xn_kernelILj128ELj7ELj32EdEEvi20rocsparse_direction_NS_24const_host_device_scalarIT2_EEPKiS6_PKS3_S8_S4_PS3_21rocsparse_index_base_b.kd
    .uniform_work_group_size: 1
    .uses_dynamic_stack: false
    .vgpr_count:     94
    .vgpr_spill_count: 0
    .wavefront_size: 32
  - .args:
      - .offset:         0
        .size:           4
        .value_kind:     by_value
      - .offset:         4
        .size:           4
        .value_kind:     by_value
      - .offset:         8
        .size:           8
        .value_kind:     by_value
      - .actual_access:  read_only
        .address_space:  global
        .offset:         16
        .size:           8
        .value_kind:     global_buffer
      - .actual_access:  read_only
        .address_space:  global
        .offset:         24
        .size:           8
        .value_kind:     global_buffer
      - .actual_access:  read_only
        .address_space:  global
        .offset:         32
        .size:           8
        .value_kind:     global_buffer
      - .actual_access:  read_only
        .address_space:  global
        .offset:         40
        .size:           8
        .value_kind:     global_buffer
      - .offset:         48
        .size:           8
        .value_kind:     by_value
      - .address_space:  global
        .offset:         56
        .size:           8
        .value_kind:     global_buffer
      - .offset:         64
        .size:           4
        .value_kind:     by_value
      - .offset:         68
        .size:           1
        .value_kind:     by_value
    .group_segment_fixed_size: 0
    .kernarg_segment_align: 8
    .kernarg_segment_size: 72
    .language:       OpenCL C
    .language_version:
      - 2
      - 0
    .max_flat_workgroup_size: 128
    .name:           _ZN9rocsparseL19gebsrmvn_4xn_kernelILj128ELj7ELj64EdEEvi20rocsparse_direction_NS_24const_host_device_scalarIT2_EEPKiS6_PKS3_S8_S4_PS3_21rocsparse_index_base_b
    .private_segment_fixed_size: 0
    .sgpr_count:     16
    .sgpr_spill_count: 0
    .symbol:         _ZN9rocsparseL19gebsrmvn_4xn_kernelILj128ELj7ELj64EdEEvi20rocsparse_direction_NS_24const_host_device_scalarIT2_EEPKiS6_PKS3_S8_S4_PS3_21rocsparse_index_base_b.kd
    .uniform_work_group_size: 1
    .uses_dynamic_stack: false
    .vgpr_count:     94
    .vgpr_spill_count: 0
    .wavefront_size: 32
  - .args:
      - .offset:         0
        .size:           4
        .value_kind:     by_value
      - .offset:         4
        .size:           4
        .value_kind:     by_value
      - .offset:         8
        .size:           8
        .value_kind:     by_value
      - .actual_access:  read_only
        .address_space:  global
        .offset:         16
        .size:           8
        .value_kind:     global_buffer
      - .actual_access:  read_only
        .address_space:  global
        .offset:         24
        .size:           8
        .value_kind:     global_buffer
      - .actual_access:  read_only
        .address_space:  global
        .offset:         32
        .size:           8
        .value_kind:     global_buffer
      - .actual_access:  read_only
        .address_space:  global
        .offset:         40
        .size:           8
        .value_kind:     global_buffer
      - .offset:         48
        .size:           8
        .value_kind:     by_value
      - .address_space:  global
        .offset:         56
        .size:           8
        .value_kind:     global_buffer
      - .offset:         64
        .size:           4
        .value_kind:     by_value
      - .offset:         68
        .size:           1
        .value_kind:     by_value
    .group_segment_fixed_size: 0
    .kernarg_segment_align: 8
    .kernarg_segment_size: 72
    .language:       OpenCL C
    .language_version:
      - 2
      - 0
    .max_flat_workgroup_size: 128
    .name:           _ZN9rocsparseL19gebsrmvn_4xn_kernelILj128ELj8ELj4EdEEvi20rocsparse_direction_NS_24const_host_device_scalarIT2_EEPKiS6_PKS3_S8_S4_PS3_21rocsparse_index_base_b
    .private_segment_fixed_size: 0
    .sgpr_count:     16
    .sgpr_spill_count: 0
    .symbol:         _ZN9rocsparseL19gebsrmvn_4xn_kernelILj128ELj8ELj4EdEEvi20rocsparse_direction_NS_24const_host_device_scalarIT2_EEPKiS6_PKS3_S8_S4_PS3_21rocsparse_index_base_b.kd
    .uniform_work_group_size: 1
    .uses_dynamic_stack: false
    .vgpr_count:     104
    .vgpr_spill_count: 0
    .wavefront_size: 32
  - .args:
      - .offset:         0
        .size:           4
        .value_kind:     by_value
      - .offset:         4
        .size:           4
        .value_kind:     by_value
      - .offset:         8
        .size:           8
        .value_kind:     by_value
      - .actual_access:  read_only
        .address_space:  global
        .offset:         16
        .size:           8
        .value_kind:     global_buffer
      - .actual_access:  read_only
        .address_space:  global
        .offset:         24
        .size:           8
        .value_kind:     global_buffer
      - .actual_access:  read_only
        .address_space:  global
        .offset:         32
        .size:           8
        .value_kind:     global_buffer
      - .actual_access:  read_only
        .address_space:  global
        .offset:         40
        .size:           8
        .value_kind:     global_buffer
      - .offset:         48
        .size:           8
        .value_kind:     by_value
      - .address_space:  global
        .offset:         56
        .size:           8
        .value_kind:     global_buffer
      - .offset:         64
        .size:           4
        .value_kind:     by_value
      - .offset:         68
        .size:           1
        .value_kind:     by_value
    .group_segment_fixed_size: 0
    .kernarg_segment_align: 8
    .kernarg_segment_size: 72
    .language:       OpenCL C
    .language_version:
      - 2
      - 0
    .max_flat_workgroup_size: 128
    .name:           _ZN9rocsparseL19gebsrmvn_4xn_kernelILj128ELj8ELj8EdEEvi20rocsparse_direction_NS_24const_host_device_scalarIT2_EEPKiS6_PKS3_S8_S4_PS3_21rocsparse_index_base_b
    .private_segment_fixed_size: 0
    .sgpr_count:     16
    .sgpr_spill_count: 0
    .symbol:         _ZN9rocsparseL19gebsrmvn_4xn_kernelILj128ELj8ELj8EdEEvi20rocsparse_direction_NS_24const_host_device_scalarIT2_EEPKiS6_PKS3_S8_S4_PS3_21rocsparse_index_base_b.kd
    .uniform_work_group_size: 1
    .uses_dynamic_stack: false
    .vgpr_count:     104
    .vgpr_spill_count: 0
    .wavefront_size: 32
  - .args:
      - .offset:         0
        .size:           4
        .value_kind:     by_value
      - .offset:         4
        .size:           4
        .value_kind:     by_value
      - .offset:         8
        .size:           8
        .value_kind:     by_value
      - .actual_access:  read_only
        .address_space:  global
        .offset:         16
        .size:           8
        .value_kind:     global_buffer
      - .actual_access:  read_only
        .address_space:  global
        .offset:         24
        .size:           8
        .value_kind:     global_buffer
      - .actual_access:  read_only
        .address_space:  global
        .offset:         32
        .size:           8
        .value_kind:     global_buffer
      - .actual_access:  read_only
        .address_space:  global
        .offset:         40
        .size:           8
        .value_kind:     global_buffer
      - .offset:         48
        .size:           8
        .value_kind:     by_value
      - .address_space:  global
        .offset:         56
        .size:           8
        .value_kind:     global_buffer
      - .offset:         64
        .size:           4
        .value_kind:     by_value
      - .offset:         68
        .size:           1
        .value_kind:     by_value
    .group_segment_fixed_size: 0
    .kernarg_segment_align: 8
    .kernarg_segment_size: 72
    .language:       OpenCL C
    .language_version:
      - 2
      - 0
    .max_flat_workgroup_size: 128
    .name:           _ZN9rocsparseL19gebsrmvn_4xn_kernelILj128ELj8ELj16EdEEvi20rocsparse_direction_NS_24const_host_device_scalarIT2_EEPKiS6_PKS3_S8_S4_PS3_21rocsparse_index_base_b
    .private_segment_fixed_size: 0
    .sgpr_count:     16
    .sgpr_spill_count: 0
    .symbol:         _ZN9rocsparseL19gebsrmvn_4xn_kernelILj128ELj8ELj16EdEEvi20rocsparse_direction_NS_24const_host_device_scalarIT2_EEPKiS6_PKS3_S8_S4_PS3_21rocsparse_index_base_b.kd
    .uniform_work_group_size: 1
    .uses_dynamic_stack: false
    .vgpr_count:     104
    .vgpr_spill_count: 0
    .wavefront_size: 32
  - .args:
      - .offset:         0
        .size:           4
        .value_kind:     by_value
      - .offset:         4
        .size:           4
        .value_kind:     by_value
      - .offset:         8
        .size:           8
        .value_kind:     by_value
      - .actual_access:  read_only
        .address_space:  global
        .offset:         16
        .size:           8
        .value_kind:     global_buffer
      - .actual_access:  read_only
        .address_space:  global
        .offset:         24
        .size:           8
        .value_kind:     global_buffer
      - .actual_access:  read_only
        .address_space:  global
        .offset:         32
        .size:           8
        .value_kind:     global_buffer
      - .actual_access:  read_only
        .address_space:  global
        .offset:         40
        .size:           8
        .value_kind:     global_buffer
      - .offset:         48
        .size:           8
        .value_kind:     by_value
      - .address_space:  global
        .offset:         56
        .size:           8
        .value_kind:     global_buffer
      - .offset:         64
        .size:           4
        .value_kind:     by_value
      - .offset:         68
        .size:           1
        .value_kind:     by_value
    .group_segment_fixed_size: 0
    .kernarg_segment_align: 8
    .kernarg_segment_size: 72
    .language:       OpenCL C
    .language_version:
      - 2
      - 0
    .max_flat_workgroup_size: 128
    .name:           _ZN9rocsparseL19gebsrmvn_4xn_kernelILj128ELj8ELj32EdEEvi20rocsparse_direction_NS_24const_host_device_scalarIT2_EEPKiS6_PKS3_S8_S4_PS3_21rocsparse_index_base_b
    .private_segment_fixed_size: 0
    .sgpr_count:     16
    .sgpr_spill_count: 0
    .symbol:         _ZN9rocsparseL19gebsrmvn_4xn_kernelILj128ELj8ELj32EdEEvi20rocsparse_direction_NS_24const_host_device_scalarIT2_EEPKiS6_PKS3_S8_S4_PS3_21rocsparse_index_base_b.kd
    .uniform_work_group_size: 1
    .uses_dynamic_stack: false
    .vgpr_count:     104
    .vgpr_spill_count: 0
    .wavefront_size: 32
  - .args:
      - .offset:         0
        .size:           4
        .value_kind:     by_value
      - .offset:         4
        .size:           4
        .value_kind:     by_value
      - .offset:         8
        .size:           8
        .value_kind:     by_value
      - .actual_access:  read_only
        .address_space:  global
        .offset:         16
        .size:           8
        .value_kind:     global_buffer
      - .actual_access:  read_only
        .address_space:  global
        .offset:         24
        .size:           8
        .value_kind:     global_buffer
      - .actual_access:  read_only
        .address_space:  global
        .offset:         32
        .size:           8
        .value_kind:     global_buffer
      - .actual_access:  read_only
        .address_space:  global
        .offset:         40
        .size:           8
        .value_kind:     global_buffer
      - .offset:         48
        .size:           8
        .value_kind:     by_value
      - .address_space:  global
        .offset:         56
        .size:           8
        .value_kind:     global_buffer
      - .offset:         64
        .size:           4
        .value_kind:     by_value
      - .offset:         68
        .size:           1
        .value_kind:     by_value
    .group_segment_fixed_size: 0
    .kernarg_segment_align: 8
    .kernarg_segment_size: 72
    .language:       OpenCL C
    .language_version:
      - 2
      - 0
    .max_flat_workgroup_size: 128
    .name:           _ZN9rocsparseL19gebsrmvn_4xn_kernelILj128ELj8ELj64EdEEvi20rocsparse_direction_NS_24const_host_device_scalarIT2_EEPKiS6_PKS3_S8_S4_PS3_21rocsparse_index_base_b
    .private_segment_fixed_size: 0
    .sgpr_count:     16
    .sgpr_spill_count: 0
    .symbol:         _ZN9rocsparseL19gebsrmvn_4xn_kernelILj128ELj8ELj64EdEEvi20rocsparse_direction_NS_24const_host_device_scalarIT2_EEPKiS6_PKS3_S8_S4_PS3_21rocsparse_index_base_b.kd
    .uniform_work_group_size: 1
    .uses_dynamic_stack: false
    .vgpr_count:     104
    .vgpr_spill_count: 0
    .wavefront_size: 32
  - .args:
      - .offset:         0
        .size:           4
        .value_kind:     by_value
      - .offset:         4
        .size:           4
        .value_kind:     by_value
      - .offset:         8
        .size:           8
        .value_kind:     by_value
      - .actual_access:  read_only
        .address_space:  global
        .offset:         16
        .size:           8
        .value_kind:     global_buffer
      - .actual_access:  read_only
        .address_space:  global
        .offset:         24
        .size:           8
        .value_kind:     global_buffer
      - .actual_access:  read_only
        .address_space:  global
        .offset:         32
        .size:           8
        .value_kind:     global_buffer
      - .offset:         40
        .size:           4
        .value_kind:     by_value
      - .offset:         44
        .size:           4
        .value_kind:     by_value
      - .actual_access:  read_only
        .address_space:  global
        .offset:         48
        .size:           8
        .value_kind:     global_buffer
      - .offset:         56
        .size:           8
        .value_kind:     by_value
      - .address_space:  global
        .offset:         64
        .size:           8
        .value_kind:     global_buffer
      - .offset:         72
        .size:           4
        .value_kind:     by_value
      - .offset:         76
        .size:           1
        .value_kind:     by_value
    .group_segment_fixed_size: 0
    .kernarg_segment_align: 8
    .kernarg_segment_size: 80
    .language:       OpenCL C
    .language_version:
      - 2
      - 0
    .max_flat_workgroup_size: 64
    .name:           _ZN9rocsparseL23gebsrmvn_general_kernelILj64ELj16EdEEvi20rocsparse_direction_NS_24const_host_device_scalarIT1_EEPKiS6_PKS3_iiS8_S4_PS3_21rocsparse_index_base_b
    .private_segment_fixed_size: 0
    .sgpr_count:     30
    .sgpr_spill_count: 0
    .symbol:         _ZN9rocsparseL23gebsrmvn_general_kernelILj64ELj16EdEEvi20rocsparse_direction_NS_24const_host_device_scalarIT1_EEPKiS6_PKS3_iiS8_S4_PS3_21rocsparse_index_base_b.kd
    .uniform_work_group_size: 1
    .uses_dynamic_stack: false
    .vgpr_count:     21
    .vgpr_spill_count: 0
    .wavefront_size: 32
  - .args:
      - .offset:         0
        .size:           4
        .value_kind:     by_value
      - .offset:         4
        .size:           4
        .value_kind:     by_value
      - .offset:         8
        .size:           8
        .value_kind:     by_value
      - .actual_access:  read_only
        .address_space:  global
        .offset:         16
        .size:           8
        .value_kind:     global_buffer
      - .actual_access:  read_only
        .address_space:  global
        .offset:         24
        .size:           8
        .value_kind:     global_buffer
      - .actual_access:  read_only
        .address_space:  global
        .offset:         32
        .size:           8
        .value_kind:     global_buffer
      - .offset:         40
        .size:           4
        .value_kind:     by_value
      - .offset:         44
        .size:           4
        .value_kind:     by_value
      - .actual_access:  read_only
        .address_space:  global
        .offset:         48
        .size:           8
        .value_kind:     global_buffer
      - .offset:         56
        .size:           8
        .value_kind:     by_value
      - .address_space:  global
        .offset:         64
        .size:           8
        .value_kind:     global_buffer
      - .offset:         72
        .size:           4
        .value_kind:     by_value
      - .offset:         76
        .size:           1
        .value_kind:     by_value
    .group_segment_fixed_size: 0
    .kernarg_segment_align: 8
    .kernarg_segment_size: 80
    .language:       OpenCL C
    .language_version:
      - 2
      - 0
    .max_flat_workgroup_size: 128
    .name:           _ZN9rocsparseL23gebsrmvn_general_kernelILj128ELj32EdEEvi20rocsparse_direction_NS_24const_host_device_scalarIT1_EEPKiS6_PKS3_iiS8_S4_PS3_21rocsparse_index_base_b
    .private_segment_fixed_size: 0
    .sgpr_count:     30
    .sgpr_spill_count: 0
    .symbol:         _ZN9rocsparseL23gebsrmvn_general_kernelILj128ELj32EdEEvi20rocsparse_direction_NS_24const_host_device_scalarIT1_EEPKiS6_PKS3_iiS8_S4_PS3_21rocsparse_index_base_b.kd
    .uniform_work_group_size: 1
    .uses_dynamic_stack: false
    .vgpr_count:     22
    .vgpr_spill_count: 0
    .wavefront_size: 32
  - .args:
      - .offset:         0
        .size:           4
        .value_kind:     by_value
      - .offset:         4
        .size:           4
        .value_kind:     by_value
      - .offset:         8
        .size:           8
        .value_kind:     by_value
      - .actual_access:  read_only
        .address_space:  global
        .offset:         16
        .size:           8
        .value_kind:     global_buffer
      - .actual_access:  read_only
        .address_space:  global
        .offset:         24
        .size:           8
        .value_kind:     global_buffer
      - .actual_access:  read_only
        .address_space:  global
        .offset:         32
        .size:           8
        .value_kind:     global_buffer
      - .actual_access:  read_only
        .address_space:  global
        .offset:         40
        .size:           8
        .value_kind:     global_buffer
      - .offset:         48
        .size:           8
        .value_kind:     by_value
      - .address_space:  global
        .offset:         56
        .size:           8
        .value_kind:     global_buffer
      - .offset:         64
        .size:           4
        .value_kind:     by_value
      - .offset:         68
        .size:           1
        .value_kind:     by_value
    .group_segment_fixed_size: 0
    .kernarg_segment_align: 8
    .kernarg_segment_size: 72
    .language:       OpenCL C
    .language_version:
      - 2
      - 0
    .max_flat_workgroup_size: 128
    .name:           _ZN9rocsparseL19gebsrmvn_4xn_kernelILj128ELj1ELj4E21rocsparse_complex_numIfEEEvi20rocsparse_direction_NS_24const_host_device_scalarIT2_EEPKiS8_PKS5_SA_S6_PS5_21rocsparse_index_base_b
    .private_segment_fixed_size: 0
    .sgpr_count:     16
    .sgpr_spill_count: 0
    .symbol:         _ZN9rocsparseL19gebsrmvn_4xn_kernelILj128ELj1ELj4E21rocsparse_complex_numIfEEEvi20rocsparse_direction_NS_24const_host_device_scalarIT2_EEPKiS8_PKS5_SA_S6_PS5_21rocsparse_index_base_b.kd
    .uniform_work_group_size: 1
    .uses_dynamic_stack: false
    .vgpr_count:     34
    .vgpr_spill_count: 0
    .wavefront_size: 32
  - .args:
      - .offset:         0
        .size:           4
        .value_kind:     by_value
      - .offset:         4
        .size:           4
        .value_kind:     by_value
      - .offset:         8
        .size:           8
        .value_kind:     by_value
      - .actual_access:  read_only
        .address_space:  global
        .offset:         16
        .size:           8
        .value_kind:     global_buffer
      - .actual_access:  read_only
        .address_space:  global
        .offset:         24
        .size:           8
        .value_kind:     global_buffer
      - .actual_access:  read_only
        .address_space:  global
        .offset:         32
        .size:           8
        .value_kind:     global_buffer
      - .actual_access:  read_only
        .address_space:  global
        .offset:         40
        .size:           8
        .value_kind:     global_buffer
      - .offset:         48
        .size:           8
        .value_kind:     by_value
      - .address_space:  global
        .offset:         56
        .size:           8
        .value_kind:     global_buffer
      - .offset:         64
        .size:           4
        .value_kind:     by_value
      - .offset:         68
        .size:           1
        .value_kind:     by_value
    .group_segment_fixed_size: 0
    .kernarg_segment_align: 8
    .kernarg_segment_size: 72
    .language:       OpenCL C
    .language_version:
      - 2
      - 0
    .max_flat_workgroup_size: 128
    .name:           _ZN9rocsparseL19gebsrmvn_4xn_kernelILj128ELj1ELj8E21rocsparse_complex_numIfEEEvi20rocsparse_direction_NS_24const_host_device_scalarIT2_EEPKiS8_PKS5_SA_S6_PS5_21rocsparse_index_base_b
    .private_segment_fixed_size: 0
    .sgpr_count:     16
    .sgpr_spill_count: 0
    .symbol:         _ZN9rocsparseL19gebsrmvn_4xn_kernelILj128ELj1ELj8E21rocsparse_complex_numIfEEEvi20rocsparse_direction_NS_24const_host_device_scalarIT2_EEPKiS8_PKS5_SA_S6_PS5_21rocsparse_index_base_b.kd
    .uniform_work_group_size: 1
    .uses_dynamic_stack: false
    .vgpr_count:     34
    .vgpr_spill_count: 0
    .wavefront_size: 32
  - .args:
      - .offset:         0
        .size:           4
        .value_kind:     by_value
      - .offset:         4
        .size:           4
        .value_kind:     by_value
      - .offset:         8
        .size:           8
        .value_kind:     by_value
      - .actual_access:  read_only
        .address_space:  global
        .offset:         16
        .size:           8
        .value_kind:     global_buffer
      - .actual_access:  read_only
        .address_space:  global
        .offset:         24
        .size:           8
        .value_kind:     global_buffer
      - .actual_access:  read_only
        .address_space:  global
        .offset:         32
        .size:           8
        .value_kind:     global_buffer
      - .actual_access:  read_only
        .address_space:  global
        .offset:         40
        .size:           8
        .value_kind:     global_buffer
      - .offset:         48
        .size:           8
        .value_kind:     by_value
      - .address_space:  global
        .offset:         56
        .size:           8
        .value_kind:     global_buffer
      - .offset:         64
        .size:           4
        .value_kind:     by_value
      - .offset:         68
        .size:           1
        .value_kind:     by_value
    .group_segment_fixed_size: 0
    .kernarg_segment_align: 8
    .kernarg_segment_size: 72
    .language:       OpenCL C
    .language_version:
      - 2
      - 0
    .max_flat_workgroup_size: 128
    .name:           _ZN9rocsparseL19gebsrmvn_4xn_kernelILj128ELj1ELj16E21rocsparse_complex_numIfEEEvi20rocsparse_direction_NS_24const_host_device_scalarIT2_EEPKiS8_PKS5_SA_S6_PS5_21rocsparse_index_base_b
    .private_segment_fixed_size: 0
    .sgpr_count:     16
    .sgpr_spill_count: 0
    .symbol:         _ZN9rocsparseL19gebsrmvn_4xn_kernelILj128ELj1ELj16E21rocsparse_complex_numIfEEEvi20rocsparse_direction_NS_24const_host_device_scalarIT2_EEPKiS8_PKS5_SA_S6_PS5_21rocsparse_index_base_b.kd
    .uniform_work_group_size: 1
    .uses_dynamic_stack: false
    .vgpr_count:     34
    .vgpr_spill_count: 0
    .wavefront_size: 32
  - .args:
      - .offset:         0
        .size:           4
        .value_kind:     by_value
      - .offset:         4
        .size:           4
        .value_kind:     by_value
      - .offset:         8
        .size:           8
        .value_kind:     by_value
      - .actual_access:  read_only
        .address_space:  global
        .offset:         16
        .size:           8
        .value_kind:     global_buffer
      - .actual_access:  read_only
        .address_space:  global
        .offset:         24
        .size:           8
        .value_kind:     global_buffer
      - .actual_access:  read_only
        .address_space:  global
        .offset:         32
        .size:           8
        .value_kind:     global_buffer
      - .actual_access:  read_only
        .address_space:  global
        .offset:         40
        .size:           8
        .value_kind:     global_buffer
      - .offset:         48
        .size:           8
        .value_kind:     by_value
      - .address_space:  global
        .offset:         56
        .size:           8
        .value_kind:     global_buffer
      - .offset:         64
        .size:           4
        .value_kind:     by_value
      - .offset:         68
        .size:           1
        .value_kind:     by_value
    .group_segment_fixed_size: 0
    .kernarg_segment_align: 8
    .kernarg_segment_size: 72
    .language:       OpenCL C
    .language_version:
      - 2
      - 0
    .max_flat_workgroup_size: 128
    .name:           _ZN9rocsparseL19gebsrmvn_4xn_kernelILj128ELj1ELj32E21rocsparse_complex_numIfEEEvi20rocsparse_direction_NS_24const_host_device_scalarIT2_EEPKiS8_PKS5_SA_S6_PS5_21rocsparse_index_base_b
    .private_segment_fixed_size: 0
    .sgpr_count:     16
    .sgpr_spill_count: 0
    .symbol:         _ZN9rocsparseL19gebsrmvn_4xn_kernelILj128ELj1ELj32E21rocsparse_complex_numIfEEEvi20rocsparse_direction_NS_24const_host_device_scalarIT2_EEPKiS8_PKS5_SA_S6_PS5_21rocsparse_index_base_b.kd
    .uniform_work_group_size: 1
    .uses_dynamic_stack: false
    .vgpr_count:     34
    .vgpr_spill_count: 0
    .wavefront_size: 32
  - .args:
      - .offset:         0
        .size:           4
        .value_kind:     by_value
      - .offset:         4
        .size:           4
        .value_kind:     by_value
      - .offset:         8
        .size:           8
        .value_kind:     by_value
      - .actual_access:  read_only
        .address_space:  global
        .offset:         16
        .size:           8
        .value_kind:     global_buffer
      - .actual_access:  read_only
        .address_space:  global
        .offset:         24
        .size:           8
        .value_kind:     global_buffer
      - .actual_access:  read_only
        .address_space:  global
        .offset:         32
        .size:           8
        .value_kind:     global_buffer
      - .actual_access:  read_only
        .address_space:  global
        .offset:         40
        .size:           8
        .value_kind:     global_buffer
      - .offset:         48
        .size:           8
        .value_kind:     by_value
      - .address_space:  global
        .offset:         56
        .size:           8
        .value_kind:     global_buffer
      - .offset:         64
        .size:           4
        .value_kind:     by_value
      - .offset:         68
        .size:           1
        .value_kind:     by_value
    .group_segment_fixed_size: 0
    .kernarg_segment_align: 8
    .kernarg_segment_size: 72
    .language:       OpenCL C
    .language_version:
      - 2
      - 0
    .max_flat_workgroup_size: 128
    .name:           _ZN9rocsparseL19gebsrmvn_4xn_kernelILj128ELj1ELj64E21rocsparse_complex_numIfEEEvi20rocsparse_direction_NS_24const_host_device_scalarIT2_EEPKiS8_PKS5_SA_S6_PS5_21rocsparse_index_base_b
    .private_segment_fixed_size: 0
    .sgpr_count:     16
    .sgpr_spill_count: 0
    .symbol:         _ZN9rocsparseL19gebsrmvn_4xn_kernelILj128ELj1ELj64E21rocsparse_complex_numIfEEEvi20rocsparse_direction_NS_24const_host_device_scalarIT2_EEPKiS8_PKS5_SA_S6_PS5_21rocsparse_index_base_b.kd
    .uniform_work_group_size: 1
    .uses_dynamic_stack: false
    .vgpr_count:     34
    .vgpr_spill_count: 0
    .wavefront_size: 32
  - .args:
      - .offset:         0
        .size:           4
        .value_kind:     by_value
      - .offset:         4
        .size:           4
        .value_kind:     by_value
      - .offset:         8
        .size:           8
        .value_kind:     by_value
      - .actual_access:  read_only
        .address_space:  global
        .offset:         16
        .size:           8
        .value_kind:     global_buffer
      - .actual_access:  read_only
        .address_space:  global
        .offset:         24
        .size:           8
        .value_kind:     global_buffer
      - .actual_access:  read_only
        .address_space:  global
        .offset:         32
        .size:           8
        .value_kind:     global_buffer
      - .actual_access:  read_only
        .address_space:  global
        .offset:         40
        .size:           8
        .value_kind:     global_buffer
      - .offset:         48
        .size:           8
        .value_kind:     by_value
      - .address_space:  global
        .offset:         56
        .size:           8
        .value_kind:     global_buffer
      - .offset:         64
        .size:           4
        .value_kind:     by_value
      - .offset:         68
        .size:           1
        .value_kind:     by_value
    .group_segment_fixed_size: 0
    .kernarg_segment_align: 8
    .kernarg_segment_size: 72
    .language:       OpenCL C
    .language_version:
      - 2
      - 0
    .max_flat_workgroup_size: 128
    .name:           _ZN9rocsparseL19gebsrmvn_4xn_kernelILj128ELj2ELj4E21rocsparse_complex_numIfEEEvi20rocsparse_direction_NS_24const_host_device_scalarIT2_EEPKiS8_PKS5_SA_S6_PS5_21rocsparse_index_base_b
    .private_segment_fixed_size: 0
    .sgpr_count:     16
    .sgpr_spill_count: 0
    .symbol:         _ZN9rocsparseL19gebsrmvn_4xn_kernelILj128ELj2ELj4E21rocsparse_complex_numIfEEEvi20rocsparse_direction_NS_24const_host_device_scalarIT2_EEPKiS8_PKS5_SA_S6_PS5_21rocsparse_index_base_b.kd
    .uniform_work_group_size: 1
    .uses_dynamic_stack: false
    .vgpr_count:     48
    .vgpr_spill_count: 0
    .wavefront_size: 32
  - .args:
      - .offset:         0
        .size:           4
        .value_kind:     by_value
      - .offset:         4
        .size:           4
        .value_kind:     by_value
      - .offset:         8
        .size:           8
        .value_kind:     by_value
      - .actual_access:  read_only
        .address_space:  global
        .offset:         16
        .size:           8
        .value_kind:     global_buffer
      - .actual_access:  read_only
        .address_space:  global
        .offset:         24
        .size:           8
        .value_kind:     global_buffer
      - .actual_access:  read_only
        .address_space:  global
        .offset:         32
        .size:           8
        .value_kind:     global_buffer
      - .actual_access:  read_only
        .address_space:  global
        .offset:         40
        .size:           8
        .value_kind:     global_buffer
      - .offset:         48
        .size:           8
        .value_kind:     by_value
      - .address_space:  global
        .offset:         56
        .size:           8
        .value_kind:     global_buffer
      - .offset:         64
        .size:           4
        .value_kind:     by_value
      - .offset:         68
        .size:           1
        .value_kind:     by_value
    .group_segment_fixed_size: 0
    .kernarg_segment_align: 8
    .kernarg_segment_size: 72
    .language:       OpenCL C
    .language_version:
      - 2
      - 0
    .max_flat_workgroup_size: 128
    .name:           _ZN9rocsparseL19gebsrmvn_4xn_kernelILj128ELj2ELj8E21rocsparse_complex_numIfEEEvi20rocsparse_direction_NS_24const_host_device_scalarIT2_EEPKiS8_PKS5_SA_S6_PS5_21rocsparse_index_base_b
    .private_segment_fixed_size: 0
    .sgpr_count:     16
    .sgpr_spill_count: 0
    .symbol:         _ZN9rocsparseL19gebsrmvn_4xn_kernelILj128ELj2ELj8E21rocsparse_complex_numIfEEEvi20rocsparse_direction_NS_24const_host_device_scalarIT2_EEPKiS8_PKS5_SA_S6_PS5_21rocsparse_index_base_b.kd
    .uniform_work_group_size: 1
    .uses_dynamic_stack: false
    .vgpr_count:     48
    .vgpr_spill_count: 0
    .wavefront_size: 32
  - .args:
      - .offset:         0
        .size:           4
        .value_kind:     by_value
      - .offset:         4
        .size:           4
        .value_kind:     by_value
      - .offset:         8
        .size:           8
        .value_kind:     by_value
      - .actual_access:  read_only
        .address_space:  global
        .offset:         16
        .size:           8
        .value_kind:     global_buffer
      - .actual_access:  read_only
        .address_space:  global
        .offset:         24
        .size:           8
        .value_kind:     global_buffer
      - .actual_access:  read_only
        .address_space:  global
        .offset:         32
        .size:           8
        .value_kind:     global_buffer
      - .actual_access:  read_only
        .address_space:  global
        .offset:         40
        .size:           8
        .value_kind:     global_buffer
      - .offset:         48
        .size:           8
        .value_kind:     by_value
      - .address_space:  global
        .offset:         56
        .size:           8
        .value_kind:     global_buffer
      - .offset:         64
        .size:           4
        .value_kind:     by_value
      - .offset:         68
        .size:           1
        .value_kind:     by_value
    .group_segment_fixed_size: 0
    .kernarg_segment_align: 8
    .kernarg_segment_size: 72
    .language:       OpenCL C
    .language_version:
      - 2
      - 0
    .max_flat_workgroup_size: 128
    .name:           _ZN9rocsparseL19gebsrmvn_4xn_kernelILj128ELj2ELj16E21rocsparse_complex_numIfEEEvi20rocsparse_direction_NS_24const_host_device_scalarIT2_EEPKiS8_PKS5_SA_S6_PS5_21rocsparse_index_base_b
    .private_segment_fixed_size: 0
    .sgpr_count:     16
    .sgpr_spill_count: 0
    .symbol:         _ZN9rocsparseL19gebsrmvn_4xn_kernelILj128ELj2ELj16E21rocsparse_complex_numIfEEEvi20rocsparse_direction_NS_24const_host_device_scalarIT2_EEPKiS8_PKS5_SA_S6_PS5_21rocsparse_index_base_b.kd
    .uniform_work_group_size: 1
    .uses_dynamic_stack: false
    .vgpr_count:     48
    .vgpr_spill_count: 0
    .wavefront_size: 32
  - .args:
      - .offset:         0
        .size:           4
        .value_kind:     by_value
      - .offset:         4
        .size:           4
        .value_kind:     by_value
      - .offset:         8
        .size:           8
        .value_kind:     by_value
      - .actual_access:  read_only
        .address_space:  global
        .offset:         16
        .size:           8
        .value_kind:     global_buffer
      - .actual_access:  read_only
        .address_space:  global
        .offset:         24
        .size:           8
        .value_kind:     global_buffer
      - .actual_access:  read_only
        .address_space:  global
        .offset:         32
        .size:           8
        .value_kind:     global_buffer
      - .actual_access:  read_only
        .address_space:  global
        .offset:         40
        .size:           8
        .value_kind:     global_buffer
      - .offset:         48
        .size:           8
        .value_kind:     by_value
      - .address_space:  global
        .offset:         56
        .size:           8
        .value_kind:     global_buffer
      - .offset:         64
        .size:           4
        .value_kind:     by_value
      - .offset:         68
        .size:           1
        .value_kind:     by_value
    .group_segment_fixed_size: 0
    .kernarg_segment_align: 8
    .kernarg_segment_size: 72
    .language:       OpenCL C
    .language_version:
      - 2
      - 0
    .max_flat_workgroup_size: 128
    .name:           _ZN9rocsparseL19gebsrmvn_4xn_kernelILj128ELj2ELj32E21rocsparse_complex_numIfEEEvi20rocsparse_direction_NS_24const_host_device_scalarIT2_EEPKiS8_PKS5_SA_S6_PS5_21rocsparse_index_base_b
    .private_segment_fixed_size: 0
    .sgpr_count:     16
    .sgpr_spill_count: 0
    .symbol:         _ZN9rocsparseL19gebsrmvn_4xn_kernelILj128ELj2ELj32E21rocsparse_complex_numIfEEEvi20rocsparse_direction_NS_24const_host_device_scalarIT2_EEPKiS8_PKS5_SA_S6_PS5_21rocsparse_index_base_b.kd
    .uniform_work_group_size: 1
    .uses_dynamic_stack: false
    .vgpr_count:     48
    .vgpr_spill_count: 0
    .wavefront_size: 32
  - .args:
      - .offset:         0
        .size:           4
        .value_kind:     by_value
      - .offset:         4
        .size:           4
        .value_kind:     by_value
      - .offset:         8
        .size:           8
        .value_kind:     by_value
      - .actual_access:  read_only
        .address_space:  global
        .offset:         16
        .size:           8
        .value_kind:     global_buffer
      - .actual_access:  read_only
        .address_space:  global
        .offset:         24
        .size:           8
        .value_kind:     global_buffer
      - .actual_access:  read_only
        .address_space:  global
        .offset:         32
        .size:           8
        .value_kind:     global_buffer
      - .actual_access:  read_only
        .address_space:  global
        .offset:         40
        .size:           8
        .value_kind:     global_buffer
      - .offset:         48
        .size:           8
        .value_kind:     by_value
      - .address_space:  global
        .offset:         56
        .size:           8
        .value_kind:     global_buffer
      - .offset:         64
        .size:           4
        .value_kind:     by_value
      - .offset:         68
        .size:           1
        .value_kind:     by_value
    .group_segment_fixed_size: 0
    .kernarg_segment_align: 8
    .kernarg_segment_size: 72
    .language:       OpenCL C
    .language_version:
      - 2
      - 0
    .max_flat_workgroup_size: 128
    .name:           _ZN9rocsparseL19gebsrmvn_4xn_kernelILj128ELj2ELj64E21rocsparse_complex_numIfEEEvi20rocsparse_direction_NS_24const_host_device_scalarIT2_EEPKiS8_PKS5_SA_S6_PS5_21rocsparse_index_base_b
    .private_segment_fixed_size: 0
    .sgpr_count:     16
    .sgpr_spill_count: 0
    .symbol:         _ZN9rocsparseL19gebsrmvn_4xn_kernelILj128ELj2ELj64E21rocsparse_complex_numIfEEEvi20rocsparse_direction_NS_24const_host_device_scalarIT2_EEPKiS8_PKS5_SA_S6_PS5_21rocsparse_index_base_b.kd
    .uniform_work_group_size: 1
    .uses_dynamic_stack: false
    .vgpr_count:     48
    .vgpr_spill_count: 0
    .wavefront_size: 32
  - .args:
      - .offset:         0
        .size:           4
        .value_kind:     by_value
      - .offset:         4
        .size:           4
        .value_kind:     by_value
      - .offset:         8
        .size:           8
        .value_kind:     by_value
      - .actual_access:  read_only
        .address_space:  global
        .offset:         16
        .size:           8
        .value_kind:     global_buffer
      - .actual_access:  read_only
        .address_space:  global
        .offset:         24
        .size:           8
        .value_kind:     global_buffer
      - .actual_access:  read_only
        .address_space:  global
        .offset:         32
        .size:           8
        .value_kind:     global_buffer
      - .actual_access:  read_only
        .address_space:  global
        .offset:         40
        .size:           8
        .value_kind:     global_buffer
      - .offset:         48
        .size:           8
        .value_kind:     by_value
      - .address_space:  global
        .offset:         56
        .size:           8
        .value_kind:     global_buffer
      - .offset:         64
        .size:           4
        .value_kind:     by_value
      - .offset:         68
        .size:           1
        .value_kind:     by_value
    .group_segment_fixed_size: 0
    .kernarg_segment_align: 8
    .kernarg_segment_size: 72
    .language:       OpenCL C
    .language_version:
      - 2
      - 0
    .max_flat_workgroup_size: 128
    .name:           _ZN9rocsparseL19gebsrmvn_4xn_kernelILj128ELj3ELj4E21rocsparse_complex_numIfEEEvi20rocsparse_direction_NS_24const_host_device_scalarIT2_EEPKiS8_PKS5_SA_S6_PS5_21rocsparse_index_base_b
    .private_segment_fixed_size: 0
    .sgpr_count:     16
    .sgpr_spill_count: 0
    .symbol:         _ZN9rocsparseL19gebsrmvn_4xn_kernelILj128ELj3ELj4E21rocsparse_complex_numIfEEEvi20rocsparse_direction_NS_24const_host_device_scalarIT2_EEPKiS8_PKS5_SA_S6_PS5_21rocsparse_index_base_b.kd
    .uniform_work_group_size: 1
    .uses_dynamic_stack: false
    .vgpr_count:     58
    .vgpr_spill_count: 0
    .wavefront_size: 32
  - .args:
      - .offset:         0
        .size:           4
        .value_kind:     by_value
      - .offset:         4
        .size:           4
        .value_kind:     by_value
      - .offset:         8
        .size:           8
        .value_kind:     by_value
      - .actual_access:  read_only
        .address_space:  global
        .offset:         16
        .size:           8
        .value_kind:     global_buffer
      - .actual_access:  read_only
        .address_space:  global
        .offset:         24
        .size:           8
        .value_kind:     global_buffer
      - .actual_access:  read_only
        .address_space:  global
        .offset:         32
        .size:           8
        .value_kind:     global_buffer
      - .actual_access:  read_only
        .address_space:  global
        .offset:         40
        .size:           8
        .value_kind:     global_buffer
      - .offset:         48
        .size:           8
        .value_kind:     by_value
      - .address_space:  global
        .offset:         56
        .size:           8
        .value_kind:     global_buffer
      - .offset:         64
        .size:           4
        .value_kind:     by_value
      - .offset:         68
        .size:           1
        .value_kind:     by_value
    .group_segment_fixed_size: 0
    .kernarg_segment_align: 8
    .kernarg_segment_size: 72
    .language:       OpenCL C
    .language_version:
      - 2
      - 0
    .max_flat_workgroup_size: 128
    .name:           _ZN9rocsparseL19gebsrmvn_4xn_kernelILj128ELj3ELj8E21rocsparse_complex_numIfEEEvi20rocsparse_direction_NS_24const_host_device_scalarIT2_EEPKiS8_PKS5_SA_S6_PS5_21rocsparse_index_base_b
    .private_segment_fixed_size: 0
    .sgpr_count:     16
    .sgpr_spill_count: 0
    .symbol:         _ZN9rocsparseL19gebsrmvn_4xn_kernelILj128ELj3ELj8E21rocsparse_complex_numIfEEEvi20rocsparse_direction_NS_24const_host_device_scalarIT2_EEPKiS8_PKS5_SA_S6_PS5_21rocsparse_index_base_b.kd
    .uniform_work_group_size: 1
    .uses_dynamic_stack: false
    .vgpr_count:     58
    .vgpr_spill_count: 0
    .wavefront_size: 32
  - .args:
      - .offset:         0
        .size:           4
        .value_kind:     by_value
      - .offset:         4
        .size:           4
        .value_kind:     by_value
      - .offset:         8
        .size:           8
        .value_kind:     by_value
      - .actual_access:  read_only
        .address_space:  global
        .offset:         16
        .size:           8
        .value_kind:     global_buffer
      - .actual_access:  read_only
        .address_space:  global
        .offset:         24
        .size:           8
        .value_kind:     global_buffer
      - .actual_access:  read_only
        .address_space:  global
        .offset:         32
        .size:           8
        .value_kind:     global_buffer
      - .actual_access:  read_only
        .address_space:  global
        .offset:         40
        .size:           8
        .value_kind:     global_buffer
      - .offset:         48
        .size:           8
        .value_kind:     by_value
      - .address_space:  global
        .offset:         56
        .size:           8
        .value_kind:     global_buffer
      - .offset:         64
        .size:           4
        .value_kind:     by_value
      - .offset:         68
        .size:           1
        .value_kind:     by_value
    .group_segment_fixed_size: 0
    .kernarg_segment_align: 8
    .kernarg_segment_size: 72
    .language:       OpenCL C
    .language_version:
      - 2
      - 0
    .max_flat_workgroup_size: 128
    .name:           _ZN9rocsparseL19gebsrmvn_4xn_kernelILj128ELj3ELj16E21rocsparse_complex_numIfEEEvi20rocsparse_direction_NS_24const_host_device_scalarIT2_EEPKiS8_PKS5_SA_S6_PS5_21rocsparse_index_base_b
    .private_segment_fixed_size: 0
    .sgpr_count:     16
    .sgpr_spill_count: 0
    .symbol:         _ZN9rocsparseL19gebsrmvn_4xn_kernelILj128ELj3ELj16E21rocsparse_complex_numIfEEEvi20rocsparse_direction_NS_24const_host_device_scalarIT2_EEPKiS8_PKS5_SA_S6_PS5_21rocsparse_index_base_b.kd
    .uniform_work_group_size: 1
    .uses_dynamic_stack: false
    .vgpr_count:     58
    .vgpr_spill_count: 0
    .wavefront_size: 32
  - .args:
      - .offset:         0
        .size:           4
        .value_kind:     by_value
      - .offset:         4
        .size:           4
        .value_kind:     by_value
      - .offset:         8
        .size:           8
        .value_kind:     by_value
      - .actual_access:  read_only
        .address_space:  global
        .offset:         16
        .size:           8
        .value_kind:     global_buffer
      - .actual_access:  read_only
        .address_space:  global
        .offset:         24
        .size:           8
        .value_kind:     global_buffer
      - .actual_access:  read_only
        .address_space:  global
        .offset:         32
        .size:           8
        .value_kind:     global_buffer
      - .actual_access:  read_only
        .address_space:  global
        .offset:         40
        .size:           8
        .value_kind:     global_buffer
      - .offset:         48
        .size:           8
        .value_kind:     by_value
      - .address_space:  global
        .offset:         56
        .size:           8
        .value_kind:     global_buffer
      - .offset:         64
        .size:           4
        .value_kind:     by_value
      - .offset:         68
        .size:           1
        .value_kind:     by_value
    .group_segment_fixed_size: 0
    .kernarg_segment_align: 8
    .kernarg_segment_size: 72
    .language:       OpenCL C
    .language_version:
      - 2
      - 0
    .max_flat_workgroup_size: 128
    .name:           _ZN9rocsparseL19gebsrmvn_4xn_kernelILj128ELj3ELj32E21rocsparse_complex_numIfEEEvi20rocsparse_direction_NS_24const_host_device_scalarIT2_EEPKiS8_PKS5_SA_S6_PS5_21rocsparse_index_base_b
    .private_segment_fixed_size: 0
    .sgpr_count:     16
    .sgpr_spill_count: 0
    .symbol:         _ZN9rocsparseL19gebsrmvn_4xn_kernelILj128ELj3ELj32E21rocsparse_complex_numIfEEEvi20rocsparse_direction_NS_24const_host_device_scalarIT2_EEPKiS8_PKS5_SA_S6_PS5_21rocsparse_index_base_b.kd
    .uniform_work_group_size: 1
    .uses_dynamic_stack: false
    .vgpr_count:     58
    .vgpr_spill_count: 0
    .wavefront_size: 32
  - .args:
      - .offset:         0
        .size:           4
        .value_kind:     by_value
      - .offset:         4
        .size:           4
        .value_kind:     by_value
      - .offset:         8
        .size:           8
        .value_kind:     by_value
      - .actual_access:  read_only
        .address_space:  global
        .offset:         16
        .size:           8
        .value_kind:     global_buffer
      - .actual_access:  read_only
        .address_space:  global
        .offset:         24
        .size:           8
        .value_kind:     global_buffer
      - .actual_access:  read_only
        .address_space:  global
        .offset:         32
        .size:           8
        .value_kind:     global_buffer
      - .actual_access:  read_only
        .address_space:  global
        .offset:         40
        .size:           8
        .value_kind:     global_buffer
      - .offset:         48
        .size:           8
        .value_kind:     by_value
      - .address_space:  global
        .offset:         56
        .size:           8
        .value_kind:     global_buffer
      - .offset:         64
        .size:           4
        .value_kind:     by_value
      - .offset:         68
        .size:           1
        .value_kind:     by_value
    .group_segment_fixed_size: 0
    .kernarg_segment_align: 8
    .kernarg_segment_size: 72
    .language:       OpenCL C
    .language_version:
      - 2
      - 0
    .max_flat_workgroup_size: 128
    .name:           _ZN9rocsparseL19gebsrmvn_4xn_kernelILj128ELj3ELj64E21rocsparse_complex_numIfEEEvi20rocsparse_direction_NS_24const_host_device_scalarIT2_EEPKiS8_PKS5_SA_S6_PS5_21rocsparse_index_base_b
    .private_segment_fixed_size: 0
    .sgpr_count:     16
    .sgpr_spill_count: 0
    .symbol:         _ZN9rocsparseL19gebsrmvn_4xn_kernelILj128ELj3ELj64E21rocsparse_complex_numIfEEEvi20rocsparse_direction_NS_24const_host_device_scalarIT2_EEPKiS8_PKS5_SA_S6_PS5_21rocsparse_index_base_b.kd
    .uniform_work_group_size: 1
    .uses_dynamic_stack: false
    .vgpr_count:     58
    .vgpr_spill_count: 0
    .wavefront_size: 32
  - .args:
      - .offset:         0
        .size:           4
        .value_kind:     by_value
      - .offset:         4
        .size:           4
        .value_kind:     by_value
      - .offset:         8
        .size:           8
        .value_kind:     by_value
      - .actual_access:  read_only
        .address_space:  global
        .offset:         16
        .size:           8
        .value_kind:     global_buffer
      - .actual_access:  read_only
        .address_space:  global
        .offset:         24
        .size:           8
        .value_kind:     global_buffer
      - .actual_access:  read_only
        .address_space:  global
        .offset:         32
        .size:           8
        .value_kind:     global_buffer
      - .actual_access:  read_only
        .address_space:  global
        .offset:         40
        .size:           8
        .value_kind:     global_buffer
      - .offset:         48
        .size:           8
        .value_kind:     by_value
      - .address_space:  global
        .offset:         56
        .size:           8
        .value_kind:     global_buffer
      - .offset:         64
        .size:           4
        .value_kind:     by_value
      - .offset:         68
        .size:           1
        .value_kind:     by_value
    .group_segment_fixed_size: 0
    .kernarg_segment_align: 8
    .kernarg_segment_size: 72
    .language:       OpenCL C
    .language_version:
      - 2
      - 0
    .max_flat_workgroup_size: 128
    .name:           _ZN9rocsparseL19gebsrmvn_4xn_kernelILj128ELj5ELj4E21rocsparse_complex_numIfEEEvi20rocsparse_direction_NS_24const_host_device_scalarIT2_EEPKiS8_PKS5_SA_S6_PS5_21rocsparse_index_base_b
    .private_segment_fixed_size: 0
    .sgpr_count:     16
    .sgpr_spill_count: 0
    .symbol:         _ZN9rocsparseL19gebsrmvn_4xn_kernelILj128ELj5ELj4E21rocsparse_complex_numIfEEEvi20rocsparse_direction_NS_24const_host_device_scalarIT2_EEPKiS8_PKS5_SA_S6_PS5_21rocsparse_index_base_b.kd
    .uniform_work_group_size: 1
    .uses_dynamic_stack: false
    .vgpr_count:     84
    .vgpr_spill_count: 0
    .wavefront_size: 32
  - .args:
      - .offset:         0
        .size:           4
        .value_kind:     by_value
      - .offset:         4
        .size:           4
        .value_kind:     by_value
      - .offset:         8
        .size:           8
        .value_kind:     by_value
      - .actual_access:  read_only
        .address_space:  global
        .offset:         16
        .size:           8
        .value_kind:     global_buffer
      - .actual_access:  read_only
        .address_space:  global
        .offset:         24
        .size:           8
        .value_kind:     global_buffer
      - .actual_access:  read_only
        .address_space:  global
        .offset:         32
        .size:           8
        .value_kind:     global_buffer
      - .actual_access:  read_only
        .address_space:  global
        .offset:         40
        .size:           8
        .value_kind:     global_buffer
      - .offset:         48
        .size:           8
        .value_kind:     by_value
      - .address_space:  global
        .offset:         56
        .size:           8
        .value_kind:     global_buffer
      - .offset:         64
        .size:           4
        .value_kind:     by_value
      - .offset:         68
        .size:           1
        .value_kind:     by_value
    .group_segment_fixed_size: 0
    .kernarg_segment_align: 8
    .kernarg_segment_size: 72
    .language:       OpenCL C
    .language_version:
      - 2
      - 0
    .max_flat_workgroup_size: 128
    .name:           _ZN9rocsparseL19gebsrmvn_4xn_kernelILj128ELj5ELj8E21rocsparse_complex_numIfEEEvi20rocsparse_direction_NS_24const_host_device_scalarIT2_EEPKiS8_PKS5_SA_S6_PS5_21rocsparse_index_base_b
    .private_segment_fixed_size: 0
    .sgpr_count:     16
    .sgpr_spill_count: 0
    .symbol:         _ZN9rocsparseL19gebsrmvn_4xn_kernelILj128ELj5ELj8E21rocsparse_complex_numIfEEEvi20rocsparse_direction_NS_24const_host_device_scalarIT2_EEPKiS8_PKS5_SA_S6_PS5_21rocsparse_index_base_b.kd
    .uniform_work_group_size: 1
    .uses_dynamic_stack: false
    .vgpr_count:     84
    .vgpr_spill_count: 0
    .wavefront_size: 32
  - .args:
      - .offset:         0
        .size:           4
        .value_kind:     by_value
      - .offset:         4
        .size:           4
        .value_kind:     by_value
      - .offset:         8
        .size:           8
        .value_kind:     by_value
      - .actual_access:  read_only
        .address_space:  global
        .offset:         16
        .size:           8
        .value_kind:     global_buffer
      - .actual_access:  read_only
        .address_space:  global
        .offset:         24
        .size:           8
        .value_kind:     global_buffer
      - .actual_access:  read_only
        .address_space:  global
        .offset:         32
        .size:           8
        .value_kind:     global_buffer
      - .actual_access:  read_only
        .address_space:  global
        .offset:         40
        .size:           8
        .value_kind:     global_buffer
      - .offset:         48
        .size:           8
        .value_kind:     by_value
      - .address_space:  global
        .offset:         56
        .size:           8
        .value_kind:     global_buffer
      - .offset:         64
        .size:           4
        .value_kind:     by_value
      - .offset:         68
        .size:           1
        .value_kind:     by_value
    .group_segment_fixed_size: 0
    .kernarg_segment_align: 8
    .kernarg_segment_size: 72
    .language:       OpenCL C
    .language_version:
      - 2
      - 0
    .max_flat_workgroup_size: 128
    .name:           _ZN9rocsparseL19gebsrmvn_4xn_kernelILj128ELj5ELj16E21rocsparse_complex_numIfEEEvi20rocsparse_direction_NS_24const_host_device_scalarIT2_EEPKiS8_PKS5_SA_S6_PS5_21rocsparse_index_base_b
    .private_segment_fixed_size: 0
    .sgpr_count:     16
    .sgpr_spill_count: 0
    .symbol:         _ZN9rocsparseL19gebsrmvn_4xn_kernelILj128ELj5ELj16E21rocsparse_complex_numIfEEEvi20rocsparse_direction_NS_24const_host_device_scalarIT2_EEPKiS8_PKS5_SA_S6_PS5_21rocsparse_index_base_b.kd
    .uniform_work_group_size: 1
    .uses_dynamic_stack: false
    .vgpr_count:     84
    .vgpr_spill_count: 0
    .wavefront_size: 32
  - .args:
      - .offset:         0
        .size:           4
        .value_kind:     by_value
      - .offset:         4
        .size:           4
        .value_kind:     by_value
      - .offset:         8
        .size:           8
        .value_kind:     by_value
      - .actual_access:  read_only
        .address_space:  global
        .offset:         16
        .size:           8
        .value_kind:     global_buffer
      - .actual_access:  read_only
        .address_space:  global
        .offset:         24
        .size:           8
        .value_kind:     global_buffer
      - .actual_access:  read_only
        .address_space:  global
        .offset:         32
        .size:           8
        .value_kind:     global_buffer
      - .actual_access:  read_only
        .address_space:  global
        .offset:         40
        .size:           8
        .value_kind:     global_buffer
      - .offset:         48
        .size:           8
        .value_kind:     by_value
      - .address_space:  global
        .offset:         56
        .size:           8
        .value_kind:     global_buffer
      - .offset:         64
        .size:           4
        .value_kind:     by_value
      - .offset:         68
        .size:           1
        .value_kind:     by_value
    .group_segment_fixed_size: 0
    .kernarg_segment_align: 8
    .kernarg_segment_size: 72
    .language:       OpenCL C
    .language_version:
      - 2
      - 0
    .max_flat_workgroup_size: 128
    .name:           _ZN9rocsparseL19gebsrmvn_4xn_kernelILj128ELj5ELj32E21rocsparse_complex_numIfEEEvi20rocsparse_direction_NS_24const_host_device_scalarIT2_EEPKiS8_PKS5_SA_S6_PS5_21rocsparse_index_base_b
    .private_segment_fixed_size: 0
    .sgpr_count:     16
    .sgpr_spill_count: 0
    .symbol:         _ZN9rocsparseL19gebsrmvn_4xn_kernelILj128ELj5ELj32E21rocsparse_complex_numIfEEEvi20rocsparse_direction_NS_24const_host_device_scalarIT2_EEPKiS8_PKS5_SA_S6_PS5_21rocsparse_index_base_b.kd
    .uniform_work_group_size: 1
    .uses_dynamic_stack: false
    .vgpr_count:     84
    .vgpr_spill_count: 0
    .wavefront_size: 32
  - .args:
      - .offset:         0
        .size:           4
        .value_kind:     by_value
      - .offset:         4
        .size:           4
        .value_kind:     by_value
      - .offset:         8
        .size:           8
        .value_kind:     by_value
      - .actual_access:  read_only
        .address_space:  global
        .offset:         16
        .size:           8
        .value_kind:     global_buffer
      - .actual_access:  read_only
        .address_space:  global
        .offset:         24
        .size:           8
        .value_kind:     global_buffer
      - .actual_access:  read_only
        .address_space:  global
        .offset:         32
        .size:           8
        .value_kind:     global_buffer
      - .actual_access:  read_only
        .address_space:  global
        .offset:         40
        .size:           8
        .value_kind:     global_buffer
      - .offset:         48
        .size:           8
        .value_kind:     by_value
      - .address_space:  global
        .offset:         56
        .size:           8
        .value_kind:     global_buffer
      - .offset:         64
        .size:           4
        .value_kind:     by_value
      - .offset:         68
        .size:           1
        .value_kind:     by_value
    .group_segment_fixed_size: 0
    .kernarg_segment_align: 8
    .kernarg_segment_size: 72
    .language:       OpenCL C
    .language_version:
      - 2
      - 0
    .max_flat_workgroup_size: 128
    .name:           _ZN9rocsparseL19gebsrmvn_4xn_kernelILj128ELj5ELj64E21rocsparse_complex_numIfEEEvi20rocsparse_direction_NS_24const_host_device_scalarIT2_EEPKiS8_PKS5_SA_S6_PS5_21rocsparse_index_base_b
    .private_segment_fixed_size: 0
    .sgpr_count:     16
    .sgpr_spill_count: 0
    .symbol:         _ZN9rocsparseL19gebsrmvn_4xn_kernelILj128ELj5ELj64E21rocsparse_complex_numIfEEEvi20rocsparse_direction_NS_24const_host_device_scalarIT2_EEPKiS8_PKS5_SA_S6_PS5_21rocsparse_index_base_b.kd
    .uniform_work_group_size: 1
    .uses_dynamic_stack: false
    .vgpr_count:     84
    .vgpr_spill_count: 0
    .wavefront_size: 32
  - .args:
      - .offset:         0
        .size:           4
        .value_kind:     by_value
      - .offset:         4
        .size:           4
        .value_kind:     by_value
      - .offset:         8
        .size:           8
        .value_kind:     by_value
      - .actual_access:  read_only
        .address_space:  global
        .offset:         16
        .size:           8
        .value_kind:     global_buffer
      - .actual_access:  read_only
        .address_space:  global
        .offset:         24
        .size:           8
        .value_kind:     global_buffer
      - .actual_access:  read_only
        .address_space:  global
        .offset:         32
        .size:           8
        .value_kind:     global_buffer
      - .actual_access:  read_only
        .address_space:  global
        .offset:         40
        .size:           8
        .value_kind:     global_buffer
      - .offset:         48
        .size:           8
        .value_kind:     by_value
      - .address_space:  global
        .offset:         56
        .size:           8
        .value_kind:     global_buffer
      - .offset:         64
        .size:           4
        .value_kind:     by_value
      - .offset:         68
        .size:           1
        .value_kind:     by_value
    .group_segment_fixed_size: 0
    .kernarg_segment_align: 8
    .kernarg_segment_size: 72
    .language:       OpenCL C
    .language_version:
      - 2
      - 0
    .max_flat_workgroup_size: 128
    .name:           _ZN9rocsparseL19gebsrmvn_4xn_kernelILj128ELj6ELj4E21rocsparse_complex_numIfEEEvi20rocsparse_direction_NS_24const_host_device_scalarIT2_EEPKiS8_PKS5_SA_S6_PS5_21rocsparse_index_base_b
    .private_segment_fixed_size: 0
    .sgpr_count:     16
    .sgpr_spill_count: 0
    .symbol:         _ZN9rocsparseL19gebsrmvn_4xn_kernelILj128ELj6ELj4E21rocsparse_complex_numIfEEEvi20rocsparse_direction_NS_24const_host_device_scalarIT2_EEPKiS8_PKS5_SA_S6_PS5_21rocsparse_index_base_b.kd
    .uniform_work_group_size: 1
    .uses_dynamic_stack: false
    .vgpr_count:     98
    .vgpr_spill_count: 0
    .wavefront_size: 32
  - .args:
      - .offset:         0
        .size:           4
        .value_kind:     by_value
      - .offset:         4
        .size:           4
        .value_kind:     by_value
      - .offset:         8
        .size:           8
        .value_kind:     by_value
      - .actual_access:  read_only
        .address_space:  global
        .offset:         16
        .size:           8
        .value_kind:     global_buffer
      - .actual_access:  read_only
        .address_space:  global
        .offset:         24
        .size:           8
        .value_kind:     global_buffer
      - .actual_access:  read_only
        .address_space:  global
        .offset:         32
        .size:           8
        .value_kind:     global_buffer
      - .actual_access:  read_only
        .address_space:  global
        .offset:         40
        .size:           8
        .value_kind:     global_buffer
      - .offset:         48
        .size:           8
        .value_kind:     by_value
      - .address_space:  global
        .offset:         56
        .size:           8
        .value_kind:     global_buffer
      - .offset:         64
        .size:           4
        .value_kind:     by_value
      - .offset:         68
        .size:           1
        .value_kind:     by_value
    .group_segment_fixed_size: 0
    .kernarg_segment_align: 8
    .kernarg_segment_size: 72
    .language:       OpenCL C
    .language_version:
      - 2
      - 0
    .max_flat_workgroup_size: 128
    .name:           _ZN9rocsparseL19gebsrmvn_4xn_kernelILj128ELj6ELj8E21rocsparse_complex_numIfEEEvi20rocsparse_direction_NS_24const_host_device_scalarIT2_EEPKiS8_PKS5_SA_S6_PS5_21rocsparse_index_base_b
    .private_segment_fixed_size: 0
    .sgpr_count:     16
    .sgpr_spill_count: 0
    .symbol:         _ZN9rocsparseL19gebsrmvn_4xn_kernelILj128ELj6ELj8E21rocsparse_complex_numIfEEEvi20rocsparse_direction_NS_24const_host_device_scalarIT2_EEPKiS8_PKS5_SA_S6_PS5_21rocsparse_index_base_b.kd
    .uniform_work_group_size: 1
    .uses_dynamic_stack: false
    .vgpr_count:     98
    .vgpr_spill_count: 0
    .wavefront_size: 32
  - .args:
      - .offset:         0
        .size:           4
        .value_kind:     by_value
      - .offset:         4
        .size:           4
        .value_kind:     by_value
      - .offset:         8
        .size:           8
        .value_kind:     by_value
      - .actual_access:  read_only
        .address_space:  global
        .offset:         16
        .size:           8
        .value_kind:     global_buffer
      - .actual_access:  read_only
        .address_space:  global
        .offset:         24
        .size:           8
        .value_kind:     global_buffer
      - .actual_access:  read_only
        .address_space:  global
        .offset:         32
        .size:           8
        .value_kind:     global_buffer
      - .actual_access:  read_only
        .address_space:  global
        .offset:         40
        .size:           8
        .value_kind:     global_buffer
      - .offset:         48
        .size:           8
        .value_kind:     by_value
      - .address_space:  global
        .offset:         56
        .size:           8
        .value_kind:     global_buffer
      - .offset:         64
        .size:           4
        .value_kind:     by_value
      - .offset:         68
        .size:           1
        .value_kind:     by_value
    .group_segment_fixed_size: 0
    .kernarg_segment_align: 8
    .kernarg_segment_size: 72
    .language:       OpenCL C
    .language_version:
      - 2
      - 0
    .max_flat_workgroup_size: 128
    .name:           _ZN9rocsparseL19gebsrmvn_4xn_kernelILj128ELj6ELj16E21rocsparse_complex_numIfEEEvi20rocsparse_direction_NS_24const_host_device_scalarIT2_EEPKiS8_PKS5_SA_S6_PS5_21rocsparse_index_base_b
    .private_segment_fixed_size: 0
    .sgpr_count:     16
    .sgpr_spill_count: 0
    .symbol:         _ZN9rocsparseL19gebsrmvn_4xn_kernelILj128ELj6ELj16E21rocsparse_complex_numIfEEEvi20rocsparse_direction_NS_24const_host_device_scalarIT2_EEPKiS8_PKS5_SA_S6_PS5_21rocsparse_index_base_b.kd
    .uniform_work_group_size: 1
    .uses_dynamic_stack: false
    .vgpr_count:     98
    .vgpr_spill_count: 0
    .wavefront_size: 32
  - .args:
      - .offset:         0
        .size:           4
        .value_kind:     by_value
      - .offset:         4
        .size:           4
        .value_kind:     by_value
      - .offset:         8
        .size:           8
        .value_kind:     by_value
      - .actual_access:  read_only
        .address_space:  global
        .offset:         16
        .size:           8
        .value_kind:     global_buffer
      - .actual_access:  read_only
        .address_space:  global
        .offset:         24
        .size:           8
        .value_kind:     global_buffer
      - .actual_access:  read_only
        .address_space:  global
        .offset:         32
        .size:           8
        .value_kind:     global_buffer
      - .actual_access:  read_only
        .address_space:  global
        .offset:         40
        .size:           8
        .value_kind:     global_buffer
      - .offset:         48
        .size:           8
        .value_kind:     by_value
      - .address_space:  global
        .offset:         56
        .size:           8
        .value_kind:     global_buffer
      - .offset:         64
        .size:           4
        .value_kind:     by_value
      - .offset:         68
        .size:           1
        .value_kind:     by_value
    .group_segment_fixed_size: 0
    .kernarg_segment_align: 8
    .kernarg_segment_size: 72
    .language:       OpenCL C
    .language_version:
      - 2
      - 0
    .max_flat_workgroup_size: 128
    .name:           _ZN9rocsparseL19gebsrmvn_4xn_kernelILj128ELj6ELj32E21rocsparse_complex_numIfEEEvi20rocsparse_direction_NS_24const_host_device_scalarIT2_EEPKiS8_PKS5_SA_S6_PS5_21rocsparse_index_base_b
    .private_segment_fixed_size: 0
    .sgpr_count:     16
    .sgpr_spill_count: 0
    .symbol:         _ZN9rocsparseL19gebsrmvn_4xn_kernelILj128ELj6ELj32E21rocsparse_complex_numIfEEEvi20rocsparse_direction_NS_24const_host_device_scalarIT2_EEPKiS8_PKS5_SA_S6_PS5_21rocsparse_index_base_b.kd
    .uniform_work_group_size: 1
    .uses_dynamic_stack: false
    .vgpr_count:     98
    .vgpr_spill_count: 0
    .wavefront_size: 32
  - .args:
      - .offset:         0
        .size:           4
        .value_kind:     by_value
      - .offset:         4
        .size:           4
        .value_kind:     by_value
      - .offset:         8
        .size:           8
        .value_kind:     by_value
      - .actual_access:  read_only
        .address_space:  global
        .offset:         16
        .size:           8
        .value_kind:     global_buffer
      - .actual_access:  read_only
        .address_space:  global
        .offset:         24
        .size:           8
        .value_kind:     global_buffer
      - .actual_access:  read_only
        .address_space:  global
        .offset:         32
        .size:           8
        .value_kind:     global_buffer
      - .actual_access:  read_only
        .address_space:  global
        .offset:         40
        .size:           8
        .value_kind:     global_buffer
      - .offset:         48
        .size:           8
        .value_kind:     by_value
      - .address_space:  global
        .offset:         56
        .size:           8
        .value_kind:     global_buffer
      - .offset:         64
        .size:           4
        .value_kind:     by_value
      - .offset:         68
        .size:           1
        .value_kind:     by_value
    .group_segment_fixed_size: 0
    .kernarg_segment_align: 8
    .kernarg_segment_size: 72
    .language:       OpenCL C
    .language_version:
      - 2
      - 0
    .max_flat_workgroup_size: 128
    .name:           _ZN9rocsparseL19gebsrmvn_4xn_kernelILj128ELj6ELj64E21rocsparse_complex_numIfEEEvi20rocsparse_direction_NS_24const_host_device_scalarIT2_EEPKiS8_PKS5_SA_S6_PS5_21rocsparse_index_base_b
    .private_segment_fixed_size: 0
    .sgpr_count:     16
    .sgpr_spill_count: 0
    .symbol:         _ZN9rocsparseL19gebsrmvn_4xn_kernelILj128ELj6ELj64E21rocsparse_complex_numIfEEEvi20rocsparse_direction_NS_24const_host_device_scalarIT2_EEPKiS8_PKS5_SA_S6_PS5_21rocsparse_index_base_b.kd
    .uniform_work_group_size: 1
    .uses_dynamic_stack: false
    .vgpr_count:     98
    .vgpr_spill_count: 0
    .wavefront_size: 32
  - .args:
      - .offset:         0
        .size:           4
        .value_kind:     by_value
      - .offset:         4
        .size:           4
        .value_kind:     by_value
      - .offset:         8
        .size:           8
        .value_kind:     by_value
      - .actual_access:  read_only
        .address_space:  global
        .offset:         16
        .size:           8
        .value_kind:     global_buffer
      - .actual_access:  read_only
        .address_space:  global
        .offset:         24
        .size:           8
        .value_kind:     global_buffer
      - .actual_access:  read_only
        .address_space:  global
        .offset:         32
        .size:           8
        .value_kind:     global_buffer
      - .actual_access:  read_only
        .address_space:  global
        .offset:         40
        .size:           8
        .value_kind:     global_buffer
      - .offset:         48
        .size:           8
        .value_kind:     by_value
      - .address_space:  global
        .offset:         56
        .size:           8
        .value_kind:     global_buffer
      - .offset:         64
        .size:           4
        .value_kind:     by_value
      - .offset:         68
        .size:           1
        .value_kind:     by_value
    .group_segment_fixed_size: 0
    .kernarg_segment_align: 8
    .kernarg_segment_size: 72
    .language:       OpenCL C
    .language_version:
      - 2
      - 0
    .max_flat_workgroup_size: 128
    .name:           _ZN9rocsparseL19gebsrmvn_4xn_kernelILj128ELj7ELj4E21rocsparse_complex_numIfEEEvi20rocsparse_direction_NS_24const_host_device_scalarIT2_EEPKiS8_PKS5_SA_S6_PS5_21rocsparse_index_base_b
    .private_segment_fixed_size: 0
    .sgpr_count:     16
    .sgpr_spill_count: 0
    .symbol:         _ZN9rocsparseL19gebsrmvn_4xn_kernelILj128ELj7ELj4E21rocsparse_complex_numIfEEEvi20rocsparse_direction_NS_24const_host_device_scalarIT2_EEPKiS8_PKS5_SA_S6_PS5_21rocsparse_index_base_b.kd
    .uniform_work_group_size: 1
    .uses_dynamic_stack: false
    .vgpr_count:     100
    .vgpr_spill_count: 0
    .wavefront_size: 32
  - .args:
      - .offset:         0
        .size:           4
        .value_kind:     by_value
      - .offset:         4
        .size:           4
        .value_kind:     by_value
      - .offset:         8
        .size:           8
        .value_kind:     by_value
      - .actual_access:  read_only
        .address_space:  global
        .offset:         16
        .size:           8
        .value_kind:     global_buffer
      - .actual_access:  read_only
        .address_space:  global
        .offset:         24
        .size:           8
        .value_kind:     global_buffer
      - .actual_access:  read_only
        .address_space:  global
        .offset:         32
        .size:           8
        .value_kind:     global_buffer
      - .actual_access:  read_only
        .address_space:  global
        .offset:         40
        .size:           8
        .value_kind:     global_buffer
      - .offset:         48
        .size:           8
        .value_kind:     by_value
      - .address_space:  global
        .offset:         56
        .size:           8
        .value_kind:     global_buffer
      - .offset:         64
        .size:           4
        .value_kind:     by_value
      - .offset:         68
        .size:           1
        .value_kind:     by_value
    .group_segment_fixed_size: 0
    .kernarg_segment_align: 8
    .kernarg_segment_size: 72
    .language:       OpenCL C
    .language_version:
      - 2
      - 0
    .max_flat_workgroup_size: 128
    .name:           _ZN9rocsparseL19gebsrmvn_4xn_kernelILj128ELj7ELj8E21rocsparse_complex_numIfEEEvi20rocsparse_direction_NS_24const_host_device_scalarIT2_EEPKiS8_PKS5_SA_S6_PS5_21rocsparse_index_base_b
    .private_segment_fixed_size: 0
    .sgpr_count:     16
    .sgpr_spill_count: 0
    .symbol:         _ZN9rocsparseL19gebsrmvn_4xn_kernelILj128ELj7ELj8E21rocsparse_complex_numIfEEEvi20rocsparse_direction_NS_24const_host_device_scalarIT2_EEPKiS8_PKS5_SA_S6_PS5_21rocsparse_index_base_b.kd
    .uniform_work_group_size: 1
    .uses_dynamic_stack: false
    .vgpr_count:     100
    .vgpr_spill_count: 0
    .wavefront_size: 32
  - .args:
      - .offset:         0
        .size:           4
        .value_kind:     by_value
      - .offset:         4
        .size:           4
        .value_kind:     by_value
      - .offset:         8
        .size:           8
        .value_kind:     by_value
      - .actual_access:  read_only
        .address_space:  global
        .offset:         16
        .size:           8
        .value_kind:     global_buffer
      - .actual_access:  read_only
        .address_space:  global
        .offset:         24
        .size:           8
        .value_kind:     global_buffer
      - .actual_access:  read_only
        .address_space:  global
        .offset:         32
        .size:           8
        .value_kind:     global_buffer
      - .actual_access:  read_only
        .address_space:  global
        .offset:         40
        .size:           8
        .value_kind:     global_buffer
      - .offset:         48
        .size:           8
        .value_kind:     by_value
      - .address_space:  global
        .offset:         56
        .size:           8
        .value_kind:     global_buffer
      - .offset:         64
        .size:           4
        .value_kind:     by_value
      - .offset:         68
        .size:           1
        .value_kind:     by_value
    .group_segment_fixed_size: 0
    .kernarg_segment_align: 8
    .kernarg_segment_size: 72
    .language:       OpenCL C
    .language_version:
      - 2
      - 0
    .max_flat_workgroup_size: 128
    .name:           _ZN9rocsparseL19gebsrmvn_4xn_kernelILj128ELj7ELj16E21rocsparse_complex_numIfEEEvi20rocsparse_direction_NS_24const_host_device_scalarIT2_EEPKiS8_PKS5_SA_S6_PS5_21rocsparse_index_base_b
    .private_segment_fixed_size: 0
    .sgpr_count:     16
    .sgpr_spill_count: 0
    .symbol:         _ZN9rocsparseL19gebsrmvn_4xn_kernelILj128ELj7ELj16E21rocsparse_complex_numIfEEEvi20rocsparse_direction_NS_24const_host_device_scalarIT2_EEPKiS8_PKS5_SA_S6_PS5_21rocsparse_index_base_b.kd
    .uniform_work_group_size: 1
    .uses_dynamic_stack: false
    .vgpr_count:     100
    .vgpr_spill_count: 0
    .wavefront_size: 32
  - .args:
      - .offset:         0
        .size:           4
        .value_kind:     by_value
      - .offset:         4
        .size:           4
        .value_kind:     by_value
      - .offset:         8
        .size:           8
        .value_kind:     by_value
      - .actual_access:  read_only
        .address_space:  global
        .offset:         16
        .size:           8
        .value_kind:     global_buffer
      - .actual_access:  read_only
        .address_space:  global
        .offset:         24
        .size:           8
        .value_kind:     global_buffer
      - .actual_access:  read_only
        .address_space:  global
        .offset:         32
        .size:           8
        .value_kind:     global_buffer
      - .actual_access:  read_only
        .address_space:  global
        .offset:         40
        .size:           8
        .value_kind:     global_buffer
      - .offset:         48
        .size:           8
        .value_kind:     by_value
      - .address_space:  global
        .offset:         56
        .size:           8
        .value_kind:     global_buffer
      - .offset:         64
        .size:           4
        .value_kind:     by_value
      - .offset:         68
        .size:           1
        .value_kind:     by_value
    .group_segment_fixed_size: 0
    .kernarg_segment_align: 8
    .kernarg_segment_size: 72
    .language:       OpenCL C
    .language_version:
      - 2
      - 0
    .max_flat_workgroup_size: 128
    .name:           _ZN9rocsparseL19gebsrmvn_4xn_kernelILj128ELj7ELj32E21rocsparse_complex_numIfEEEvi20rocsparse_direction_NS_24const_host_device_scalarIT2_EEPKiS8_PKS5_SA_S6_PS5_21rocsparse_index_base_b
    .private_segment_fixed_size: 0
    .sgpr_count:     16
    .sgpr_spill_count: 0
    .symbol:         _ZN9rocsparseL19gebsrmvn_4xn_kernelILj128ELj7ELj32E21rocsparse_complex_numIfEEEvi20rocsparse_direction_NS_24const_host_device_scalarIT2_EEPKiS8_PKS5_SA_S6_PS5_21rocsparse_index_base_b.kd
    .uniform_work_group_size: 1
    .uses_dynamic_stack: false
    .vgpr_count:     100
    .vgpr_spill_count: 0
    .wavefront_size: 32
  - .args:
      - .offset:         0
        .size:           4
        .value_kind:     by_value
      - .offset:         4
        .size:           4
        .value_kind:     by_value
      - .offset:         8
        .size:           8
        .value_kind:     by_value
      - .actual_access:  read_only
        .address_space:  global
        .offset:         16
        .size:           8
        .value_kind:     global_buffer
      - .actual_access:  read_only
        .address_space:  global
        .offset:         24
        .size:           8
        .value_kind:     global_buffer
      - .actual_access:  read_only
        .address_space:  global
        .offset:         32
        .size:           8
        .value_kind:     global_buffer
      - .actual_access:  read_only
        .address_space:  global
        .offset:         40
        .size:           8
        .value_kind:     global_buffer
      - .offset:         48
        .size:           8
        .value_kind:     by_value
      - .address_space:  global
        .offset:         56
        .size:           8
        .value_kind:     global_buffer
      - .offset:         64
        .size:           4
        .value_kind:     by_value
      - .offset:         68
        .size:           1
        .value_kind:     by_value
    .group_segment_fixed_size: 0
    .kernarg_segment_align: 8
    .kernarg_segment_size: 72
    .language:       OpenCL C
    .language_version:
      - 2
      - 0
    .max_flat_workgroup_size: 128
    .name:           _ZN9rocsparseL19gebsrmvn_4xn_kernelILj128ELj7ELj64E21rocsparse_complex_numIfEEEvi20rocsparse_direction_NS_24const_host_device_scalarIT2_EEPKiS8_PKS5_SA_S6_PS5_21rocsparse_index_base_b
    .private_segment_fixed_size: 0
    .sgpr_count:     16
    .sgpr_spill_count: 0
    .symbol:         _ZN9rocsparseL19gebsrmvn_4xn_kernelILj128ELj7ELj64E21rocsparse_complex_numIfEEEvi20rocsparse_direction_NS_24const_host_device_scalarIT2_EEPKiS8_PKS5_SA_S6_PS5_21rocsparse_index_base_b.kd
    .uniform_work_group_size: 1
    .uses_dynamic_stack: false
    .vgpr_count:     100
    .vgpr_spill_count: 0
    .wavefront_size: 32
  - .args:
      - .offset:         0
        .size:           4
        .value_kind:     by_value
      - .offset:         4
        .size:           4
        .value_kind:     by_value
      - .offset:         8
        .size:           8
        .value_kind:     by_value
      - .actual_access:  read_only
        .address_space:  global
        .offset:         16
        .size:           8
        .value_kind:     global_buffer
      - .actual_access:  read_only
        .address_space:  global
        .offset:         24
        .size:           8
        .value_kind:     global_buffer
      - .actual_access:  read_only
        .address_space:  global
        .offset:         32
        .size:           8
        .value_kind:     global_buffer
      - .actual_access:  read_only
        .address_space:  global
        .offset:         40
        .size:           8
        .value_kind:     global_buffer
      - .offset:         48
        .size:           8
        .value_kind:     by_value
      - .address_space:  global
        .offset:         56
        .size:           8
        .value_kind:     global_buffer
      - .offset:         64
        .size:           4
        .value_kind:     by_value
      - .offset:         68
        .size:           1
        .value_kind:     by_value
    .group_segment_fixed_size: 0
    .kernarg_segment_align: 8
    .kernarg_segment_size: 72
    .language:       OpenCL C
    .language_version:
      - 2
      - 0
    .max_flat_workgroup_size: 128
    .name:           _ZN9rocsparseL19gebsrmvn_4xn_kernelILj128ELj8ELj4E21rocsparse_complex_numIfEEEvi20rocsparse_direction_NS_24const_host_device_scalarIT2_EEPKiS8_PKS5_SA_S6_PS5_21rocsparse_index_base_b
    .private_segment_fixed_size: 0
    .sgpr_count:     16
    .sgpr_spill_count: 0
    .symbol:         _ZN9rocsparseL19gebsrmvn_4xn_kernelILj128ELj8ELj4E21rocsparse_complex_numIfEEEvi20rocsparse_direction_NS_24const_host_device_scalarIT2_EEPKiS8_PKS5_SA_S6_PS5_21rocsparse_index_base_b.kd
    .uniform_work_group_size: 1
    .uses_dynamic_stack: false
    .vgpr_count:     100
    .vgpr_spill_count: 0
    .wavefront_size: 32
  - .args:
      - .offset:         0
        .size:           4
        .value_kind:     by_value
      - .offset:         4
        .size:           4
        .value_kind:     by_value
      - .offset:         8
        .size:           8
        .value_kind:     by_value
      - .actual_access:  read_only
        .address_space:  global
        .offset:         16
        .size:           8
        .value_kind:     global_buffer
      - .actual_access:  read_only
        .address_space:  global
        .offset:         24
        .size:           8
        .value_kind:     global_buffer
      - .actual_access:  read_only
        .address_space:  global
        .offset:         32
        .size:           8
        .value_kind:     global_buffer
      - .actual_access:  read_only
        .address_space:  global
        .offset:         40
        .size:           8
        .value_kind:     global_buffer
      - .offset:         48
        .size:           8
        .value_kind:     by_value
      - .address_space:  global
        .offset:         56
        .size:           8
        .value_kind:     global_buffer
      - .offset:         64
        .size:           4
        .value_kind:     by_value
      - .offset:         68
        .size:           1
        .value_kind:     by_value
    .group_segment_fixed_size: 0
    .kernarg_segment_align: 8
    .kernarg_segment_size: 72
    .language:       OpenCL C
    .language_version:
      - 2
      - 0
    .max_flat_workgroup_size: 128
    .name:           _ZN9rocsparseL19gebsrmvn_4xn_kernelILj128ELj8ELj8E21rocsparse_complex_numIfEEEvi20rocsparse_direction_NS_24const_host_device_scalarIT2_EEPKiS8_PKS5_SA_S6_PS5_21rocsparse_index_base_b
    .private_segment_fixed_size: 0
    .sgpr_count:     16
    .sgpr_spill_count: 0
    .symbol:         _ZN9rocsparseL19gebsrmvn_4xn_kernelILj128ELj8ELj8E21rocsparse_complex_numIfEEEvi20rocsparse_direction_NS_24const_host_device_scalarIT2_EEPKiS8_PKS5_SA_S6_PS5_21rocsparse_index_base_b.kd
    .uniform_work_group_size: 1
    .uses_dynamic_stack: false
    .vgpr_count:     100
    .vgpr_spill_count: 0
    .wavefront_size: 32
  - .args:
      - .offset:         0
        .size:           4
        .value_kind:     by_value
      - .offset:         4
        .size:           4
        .value_kind:     by_value
      - .offset:         8
        .size:           8
        .value_kind:     by_value
      - .actual_access:  read_only
        .address_space:  global
        .offset:         16
        .size:           8
        .value_kind:     global_buffer
      - .actual_access:  read_only
        .address_space:  global
        .offset:         24
        .size:           8
        .value_kind:     global_buffer
      - .actual_access:  read_only
        .address_space:  global
        .offset:         32
        .size:           8
        .value_kind:     global_buffer
      - .actual_access:  read_only
        .address_space:  global
        .offset:         40
        .size:           8
        .value_kind:     global_buffer
      - .offset:         48
        .size:           8
        .value_kind:     by_value
      - .address_space:  global
        .offset:         56
        .size:           8
        .value_kind:     global_buffer
      - .offset:         64
        .size:           4
        .value_kind:     by_value
      - .offset:         68
        .size:           1
        .value_kind:     by_value
    .group_segment_fixed_size: 0
    .kernarg_segment_align: 8
    .kernarg_segment_size: 72
    .language:       OpenCL C
    .language_version:
      - 2
      - 0
    .max_flat_workgroup_size: 128
    .name:           _ZN9rocsparseL19gebsrmvn_4xn_kernelILj128ELj8ELj16E21rocsparse_complex_numIfEEEvi20rocsparse_direction_NS_24const_host_device_scalarIT2_EEPKiS8_PKS5_SA_S6_PS5_21rocsparse_index_base_b
    .private_segment_fixed_size: 0
    .sgpr_count:     16
    .sgpr_spill_count: 0
    .symbol:         _ZN9rocsparseL19gebsrmvn_4xn_kernelILj128ELj8ELj16E21rocsparse_complex_numIfEEEvi20rocsparse_direction_NS_24const_host_device_scalarIT2_EEPKiS8_PKS5_SA_S6_PS5_21rocsparse_index_base_b.kd
    .uniform_work_group_size: 1
    .uses_dynamic_stack: false
    .vgpr_count:     100
    .vgpr_spill_count: 0
    .wavefront_size: 32
  - .args:
      - .offset:         0
        .size:           4
        .value_kind:     by_value
      - .offset:         4
        .size:           4
        .value_kind:     by_value
      - .offset:         8
        .size:           8
        .value_kind:     by_value
      - .actual_access:  read_only
        .address_space:  global
        .offset:         16
        .size:           8
        .value_kind:     global_buffer
      - .actual_access:  read_only
        .address_space:  global
        .offset:         24
        .size:           8
        .value_kind:     global_buffer
      - .actual_access:  read_only
        .address_space:  global
        .offset:         32
        .size:           8
        .value_kind:     global_buffer
      - .actual_access:  read_only
        .address_space:  global
        .offset:         40
        .size:           8
        .value_kind:     global_buffer
      - .offset:         48
        .size:           8
        .value_kind:     by_value
      - .address_space:  global
        .offset:         56
        .size:           8
        .value_kind:     global_buffer
      - .offset:         64
        .size:           4
        .value_kind:     by_value
      - .offset:         68
        .size:           1
        .value_kind:     by_value
    .group_segment_fixed_size: 0
    .kernarg_segment_align: 8
    .kernarg_segment_size: 72
    .language:       OpenCL C
    .language_version:
      - 2
      - 0
    .max_flat_workgroup_size: 128
    .name:           _ZN9rocsparseL19gebsrmvn_4xn_kernelILj128ELj8ELj32E21rocsparse_complex_numIfEEEvi20rocsparse_direction_NS_24const_host_device_scalarIT2_EEPKiS8_PKS5_SA_S6_PS5_21rocsparse_index_base_b
    .private_segment_fixed_size: 0
    .sgpr_count:     16
    .sgpr_spill_count: 0
    .symbol:         _ZN9rocsparseL19gebsrmvn_4xn_kernelILj128ELj8ELj32E21rocsparse_complex_numIfEEEvi20rocsparse_direction_NS_24const_host_device_scalarIT2_EEPKiS8_PKS5_SA_S6_PS5_21rocsparse_index_base_b.kd
    .uniform_work_group_size: 1
    .uses_dynamic_stack: false
    .vgpr_count:     100
    .vgpr_spill_count: 0
    .wavefront_size: 32
  - .args:
      - .offset:         0
        .size:           4
        .value_kind:     by_value
      - .offset:         4
        .size:           4
        .value_kind:     by_value
      - .offset:         8
        .size:           8
        .value_kind:     by_value
      - .actual_access:  read_only
        .address_space:  global
        .offset:         16
        .size:           8
        .value_kind:     global_buffer
      - .actual_access:  read_only
        .address_space:  global
        .offset:         24
        .size:           8
        .value_kind:     global_buffer
      - .actual_access:  read_only
        .address_space:  global
        .offset:         32
        .size:           8
        .value_kind:     global_buffer
      - .actual_access:  read_only
        .address_space:  global
        .offset:         40
        .size:           8
        .value_kind:     global_buffer
      - .offset:         48
        .size:           8
        .value_kind:     by_value
      - .address_space:  global
        .offset:         56
        .size:           8
        .value_kind:     global_buffer
      - .offset:         64
        .size:           4
        .value_kind:     by_value
      - .offset:         68
        .size:           1
        .value_kind:     by_value
    .group_segment_fixed_size: 0
    .kernarg_segment_align: 8
    .kernarg_segment_size: 72
    .language:       OpenCL C
    .language_version:
      - 2
      - 0
    .max_flat_workgroup_size: 128
    .name:           _ZN9rocsparseL19gebsrmvn_4xn_kernelILj128ELj8ELj64E21rocsparse_complex_numIfEEEvi20rocsparse_direction_NS_24const_host_device_scalarIT2_EEPKiS8_PKS5_SA_S6_PS5_21rocsparse_index_base_b
    .private_segment_fixed_size: 0
    .sgpr_count:     16
    .sgpr_spill_count: 0
    .symbol:         _ZN9rocsparseL19gebsrmvn_4xn_kernelILj128ELj8ELj64E21rocsparse_complex_numIfEEEvi20rocsparse_direction_NS_24const_host_device_scalarIT2_EEPKiS8_PKS5_SA_S6_PS5_21rocsparse_index_base_b.kd
    .uniform_work_group_size: 1
    .uses_dynamic_stack: false
    .vgpr_count:     100
    .vgpr_spill_count: 0
    .wavefront_size: 32
  - .args:
      - .offset:         0
        .size:           4
        .value_kind:     by_value
      - .offset:         4
        .size:           4
        .value_kind:     by_value
      - .offset:         8
        .size:           8
        .value_kind:     by_value
      - .actual_access:  read_only
        .address_space:  global
        .offset:         16
        .size:           8
        .value_kind:     global_buffer
      - .actual_access:  read_only
        .address_space:  global
        .offset:         24
        .size:           8
        .value_kind:     global_buffer
      - .actual_access:  read_only
        .address_space:  global
        .offset:         32
        .size:           8
        .value_kind:     global_buffer
      - .offset:         40
        .size:           4
        .value_kind:     by_value
      - .offset:         44
        .size:           4
        .value_kind:     by_value
      - .actual_access:  read_only
        .address_space:  global
        .offset:         48
        .size:           8
        .value_kind:     global_buffer
      - .offset:         56
        .size:           8
        .value_kind:     by_value
      - .address_space:  global
        .offset:         64
        .size:           8
        .value_kind:     global_buffer
      - .offset:         72
        .size:           4
        .value_kind:     by_value
      - .offset:         76
        .size:           1
        .value_kind:     by_value
    .group_segment_fixed_size: 0
    .kernarg_segment_align: 8
    .kernarg_segment_size: 80
    .language:       OpenCL C
    .language_version:
      - 2
      - 0
    .max_flat_workgroup_size: 64
    .name:           _ZN9rocsparseL23gebsrmvn_general_kernelILj64ELj16E21rocsparse_complex_numIfEEEvi20rocsparse_direction_NS_24const_host_device_scalarIT1_EEPKiS8_PKS5_iiSA_S6_PS5_21rocsparse_index_base_b
    .private_segment_fixed_size: 0
    .sgpr_count:     30
    .sgpr_spill_count: 0
    .symbol:         _ZN9rocsparseL23gebsrmvn_general_kernelILj64ELj16E21rocsparse_complex_numIfEEEvi20rocsparse_direction_NS_24const_host_device_scalarIT1_EEPKiS8_PKS5_iiSA_S6_PS5_21rocsparse_index_base_b.kd
    .uniform_work_group_size: 1
    .uses_dynamic_stack: false
    .vgpr_count:     25
    .vgpr_spill_count: 0
    .wavefront_size: 32
  - .args:
      - .offset:         0
        .size:           4
        .value_kind:     by_value
      - .offset:         4
        .size:           4
        .value_kind:     by_value
      - .offset:         8
        .size:           8
        .value_kind:     by_value
      - .actual_access:  read_only
        .address_space:  global
        .offset:         16
        .size:           8
        .value_kind:     global_buffer
      - .actual_access:  read_only
        .address_space:  global
        .offset:         24
        .size:           8
        .value_kind:     global_buffer
      - .actual_access:  read_only
        .address_space:  global
        .offset:         32
        .size:           8
        .value_kind:     global_buffer
      - .offset:         40
        .size:           4
        .value_kind:     by_value
      - .offset:         44
        .size:           4
        .value_kind:     by_value
      - .actual_access:  read_only
        .address_space:  global
        .offset:         48
        .size:           8
        .value_kind:     global_buffer
      - .offset:         56
        .size:           8
        .value_kind:     by_value
      - .address_space:  global
        .offset:         64
        .size:           8
        .value_kind:     global_buffer
      - .offset:         72
        .size:           4
        .value_kind:     by_value
      - .offset:         76
        .size:           1
        .value_kind:     by_value
    .group_segment_fixed_size: 0
    .kernarg_segment_align: 8
    .kernarg_segment_size: 80
    .language:       OpenCL C
    .language_version:
      - 2
      - 0
    .max_flat_workgroup_size: 128
    .name:           _ZN9rocsparseL23gebsrmvn_general_kernelILj128ELj32E21rocsparse_complex_numIfEEEvi20rocsparse_direction_NS_24const_host_device_scalarIT1_EEPKiS8_PKS5_iiSA_S6_PS5_21rocsparse_index_base_b
    .private_segment_fixed_size: 0
    .sgpr_count:     30
    .sgpr_spill_count: 0
    .symbol:         _ZN9rocsparseL23gebsrmvn_general_kernelILj128ELj32E21rocsparse_complex_numIfEEEvi20rocsparse_direction_NS_24const_host_device_scalarIT1_EEPKiS8_PKS5_iiSA_S6_PS5_21rocsparse_index_base_b.kd
    .uniform_work_group_size: 1
    .uses_dynamic_stack: false
    .vgpr_count:     26
    .vgpr_spill_count: 0
    .wavefront_size: 32
  - .args:
      - .offset:         0
        .size:           4
        .value_kind:     by_value
      - .offset:         4
        .size:           4
        .value_kind:     by_value
      - .offset:         8
        .size:           16
        .value_kind:     by_value
      - .actual_access:  read_only
        .address_space:  global
        .offset:         24
        .size:           8
        .value_kind:     global_buffer
      - .actual_access:  read_only
        .address_space:  global
        .offset:         32
        .size:           8
        .value_kind:     global_buffer
      - .actual_access:  read_only
        .address_space:  global
        .offset:         40
        .size:           8
        .value_kind:     global_buffer
      - .actual_access:  read_only
        .address_space:  global
        .offset:         48
        .size:           8
        .value_kind:     global_buffer
      - .offset:         56
        .size:           16
        .value_kind:     by_value
      - .address_space:  global
        .offset:         72
        .size:           8
        .value_kind:     global_buffer
      - .offset:         80
        .size:           4
        .value_kind:     by_value
      - .offset:         84
        .size:           1
        .value_kind:     by_value
    .group_segment_fixed_size: 0
    .kernarg_segment_align: 8
    .kernarg_segment_size: 88
    .language:       OpenCL C
    .language_version:
      - 2
      - 0
    .max_flat_workgroup_size: 128
    .name:           _ZN9rocsparseL19gebsrmvn_4xn_kernelILj128ELj1ELj4E21rocsparse_complex_numIdEEEvi20rocsparse_direction_NS_24const_host_device_scalarIT2_EEPKiS8_PKS5_SA_S6_PS5_21rocsparse_index_base_b
    .private_segment_fixed_size: 0
    .sgpr_count:     16
    .sgpr_spill_count: 0
    .symbol:         _ZN9rocsparseL19gebsrmvn_4xn_kernelILj128ELj1ELj4E21rocsparse_complex_numIdEEEvi20rocsparse_direction_NS_24const_host_device_scalarIT2_EEPKiS8_PKS5_SA_S6_PS5_21rocsparse_index_base_b.kd
    .uniform_work_group_size: 1
    .uses_dynamic_stack: false
    .vgpr_count:     53
    .vgpr_spill_count: 0
    .wavefront_size: 32
  - .args:
      - .offset:         0
        .size:           4
        .value_kind:     by_value
      - .offset:         4
        .size:           4
        .value_kind:     by_value
      - .offset:         8
        .size:           16
        .value_kind:     by_value
      - .actual_access:  read_only
        .address_space:  global
        .offset:         24
        .size:           8
        .value_kind:     global_buffer
      - .actual_access:  read_only
        .address_space:  global
        .offset:         32
        .size:           8
        .value_kind:     global_buffer
      - .actual_access:  read_only
        .address_space:  global
        .offset:         40
        .size:           8
        .value_kind:     global_buffer
      - .actual_access:  read_only
        .address_space:  global
        .offset:         48
        .size:           8
        .value_kind:     global_buffer
      - .offset:         56
        .size:           16
        .value_kind:     by_value
      - .address_space:  global
        .offset:         72
        .size:           8
        .value_kind:     global_buffer
      - .offset:         80
        .size:           4
        .value_kind:     by_value
      - .offset:         84
        .size:           1
        .value_kind:     by_value
    .group_segment_fixed_size: 0
    .kernarg_segment_align: 8
    .kernarg_segment_size: 88
    .language:       OpenCL C
    .language_version:
      - 2
      - 0
    .max_flat_workgroup_size: 128
    .name:           _ZN9rocsparseL19gebsrmvn_4xn_kernelILj128ELj1ELj8E21rocsparse_complex_numIdEEEvi20rocsparse_direction_NS_24const_host_device_scalarIT2_EEPKiS8_PKS5_SA_S6_PS5_21rocsparse_index_base_b
    .private_segment_fixed_size: 0
    .sgpr_count:     16
    .sgpr_spill_count: 0
    .symbol:         _ZN9rocsparseL19gebsrmvn_4xn_kernelILj128ELj1ELj8E21rocsparse_complex_numIdEEEvi20rocsparse_direction_NS_24const_host_device_scalarIT2_EEPKiS8_PKS5_SA_S6_PS5_21rocsparse_index_base_b.kd
    .uniform_work_group_size: 1
    .uses_dynamic_stack: false
    .vgpr_count:     53
    .vgpr_spill_count: 0
    .wavefront_size: 32
  - .args:
      - .offset:         0
        .size:           4
        .value_kind:     by_value
      - .offset:         4
        .size:           4
        .value_kind:     by_value
      - .offset:         8
        .size:           16
        .value_kind:     by_value
      - .actual_access:  read_only
        .address_space:  global
        .offset:         24
        .size:           8
        .value_kind:     global_buffer
      - .actual_access:  read_only
        .address_space:  global
        .offset:         32
        .size:           8
        .value_kind:     global_buffer
      - .actual_access:  read_only
        .address_space:  global
        .offset:         40
        .size:           8
        .value_kind:     global_buffer
      - .actual_access:  read_only
        .address_space:  global
        .offset:         48
        .size:           8
        .value_kind:     global_buffer
      - .offset:         56
        .size:           16
        .value_kind:     by_value
      - .address_space:  global
        .offset:         72
        .size:           8
        .value_kind:     global_buffer
      - .offset:         80
        .size:           4
        .value_kind:     by_value
      - .offset:         84
        .size:           1
        .value_kind:     by_value
    .group_segment_fixed_size: 0
    .kernarg_segment_align: 8
    .kernarg_segment_size: 88
    .language:       OpenCL C
    .language_version:
      - 2
      - 0
    .max_flat_workgroup_size: 128
    .name:           _ZN9rocsparseL19gebsrmvn_4xn_kernelILj128ELj1ELj16E21rocsparse_complex_numIdEEEvi20rocsparse_direction_NS_24const_host_device_scalarIT2_EEPKiS8_PKS5_SA_S6_PS5_21rocsparse_index_base_b
    .private_segment_fixed_size: 0
    .sgpr_count:     16
    .sgpr_spill_count: 0
    .symbol:         _ZN9rocsparseL19gebsrmvn_4xn_kernelILj128ELj1ELj16E21rocsparse_complex_numIdEEEvi20rocsparse_direction_NS_24const_host_device_scalarIT2_EEPKiS8_PKS5_SA_S6_PS5_21rocsparse_index_base_b.kd
    .uniform_work_group_size: 1
    .uses_dynamic_stack: false
    .vgpr_count:     53
    .vgpr_spill_count: 0
    .wavefront_size: 32
  - .args:
      - .offset:         0
        .size:           4
        .value_kind:     by_value
      - .offset:         4
        .size:           4
        .value_kind:     by_value
      - .offset:         8
        .size:           16
        .value_kind:     by_value
      - .actual_access:  read_only
        .address_space:  global
        .offset:         24
        .size:           8
        .value_kind:     global_buffer
      - .actual_access:  read_only
        .address_space:  global
        .offset:         32
        .size:           8
        .value_kind:     global_buffer
      - .actual_access:  read_only
        .address_space:  global
        .offset:         40
        .size:           8
        .value_kind:     global_buffer
      - .actual_access:  read_only
        .address_space:  global
        .offset:         48
        .size:           8
        .value_kind:     global_buffer
      - .offset:         56
        .size:           16
        .value_kind:     by_value
      - .address_space:  global
        .offset:         72
        .size:           8
        .value_kind:     global_buffer
      - .offset:         80
        .size:           4
        .value_kind:     by_value
      - .offset:         84
        .size:           1
        .value_kind:     by_value
    .group_segment_fixed_size: 0
    .kernarg_segment_align: 8
    .kernarg_segment_size: 88
    .language:       OpenCL C
    .language_version:
      - 2
      - 0
    .max_flat_workgroup_size: 128
    .name:           _ZN9rocsparseL19gebsrmvn_4xn_kernelILj128ELj1ELj32E21rocsparse_complex_numIdEEEvi20rocsparse_direction_NS_24const_host_device_scalarIT2_EEPKiS8_PKS5_SA_S6_PS5_21rocsparse_index_base_b
    .private_segment_fixed_size: 0
    .sgpr_count:     16
    .sgpr_spill_count: 0
    .symbol:         _ZN9rocsparseL19gebsrmvn_4xn_kernelILj128ELj1ELj32E21rocsparse_complex_numIdEEEvi20rocsparse_direction_NS_24const_host_device_scalarIT2_EEPKiS8_PKS5_SA_S6_PS5_21rocsparse_index_base_b.kd
    .uniform_work_group_size: 1
    .uses_dynamic_stack: false
    .vgpr_count:     53
    .vgpr_spill_count: 0
    .wavefront_size: 32
  - .args:
      - .offset:         0
        .size:           4
        .value_kind:     by_value
      - .offset:         4
        .size:           4
        .value_kind:     by_value
      - .offset:         8
        .size:           16
        .value_kind:     by_value
      - .actual_access:  read_only
        .address_space:  global
        .offset:         24
        .size:           8
        .value_kind:     global_buffer
      - .actual_access:  read_only
        .address_space:  global
        .offset:         32
        .size:           8
        .value_kind:     global_buffer
      - .actual_access:  read_only
        .address_space:  global
        .offset:         40
        .size:           8
        .value_kind:     global_buffer
      - .actual_access:  read_only
        .address_space:  global
        .offset:         48
        .size:           8
        .value_kind:     global_buffer
      - .offset:         56
        .size:           16
        .value_kind:     by_value
      - .address_space:  global
        .offset:         72
        .size:           8
        .value_kind:     global_buffer
      - .offset:         80
        .size:           4
        .value_kind:     by_value
      - .offset:         84
        .size:           1
        .value_kind:     by_value
    .group_segment_fixed_size: 0
    .kernarg_segment_align: 8
    .kernarg_segment_size: 88
    .language:       OpenCL C
    .language_version:
      - 2
      - 0
    .max_flat_workgroup_size: 128
    .name:           _ZN9rocsparseL19gebsrmvn_4xn_kernelILj128ELj1ELj64E21rocsparse_complex_numIdEEEvi20rocsparse_direction_NS_24const_host_device_scalarIT2_EEPKiS8_PKS5_SA_S6_PS5_21rocsparse_index_base_b
    .private_segment_fixed_size: 0
    .sgpr_count:     16
    .sgpr_spill_count: 0
    .symbol:         _ZN9rocsparseL19gebsrmvn_4xn_kernelILj128ELj1ELj64E21rocsparse_complex_numIdEEEvi20rocsparse_direction_NS_24const_host_device_scalarIT2_EEPKiS8_PKS5_SA_S6_PS5_21rocsparse_index_base_b.kd
    .uniform_work_group_size: 1
    .uses_dynamic_stack: false
    .vgpr_count:     53
    .vgpr_spill_count: 0
    .wavefront_size: 32
  - .args:
      - .offset:         0
        .size:           4
        .value_kind:     by_value
      - .offset:         4
        .size:           4
        .value_kind:     by_value
      - .offset:         8
        .size:           16
        .value_kind:     by_value
      - .actual_access:  read_only
        .address_space:  global
        .offset:         24
        .size:           8
        .value_kind:     global_buffer
      - .actual_access:  read_only
        .address_space:  global
        .offset:         32
        .size:           8
        .value_kind:     global_buffer
      - .actual_access:  read_only
        .address_space:  global
        .offset:         40
        .size:           8
        .value_kind:     global_buffer
      - .actual_access:  read_only
        .address_space:  global
        .offset:         48
        .size:           8
        .value_kind:     global_buffer
      - .offset:         56
        .size:           16
        .value_kind:     by_value
      - .address_space:  global
        .offset:         72
        .size:           8
        .value_kind:     global_buffer
      - .offset:         80
        .size:           4
        .value_kind:     by_value
      - .offset:         84
        .size:           1
        .value_kind:     by_value
    .group_segment_fixed_size: 0
    .kernarg_segment_align: 8
    .kernarg_segment_size: 88
    .language:       OpenCL C
    .language_version:
      - 2
      - 0
    .max_flat_workgroup_size: 128
    .name:           _ZN9rocsparseL19gebsrmvn_4xn_kernelILj128ELj2ELj4E21rocsparse_complex_numIdEEEvi20rocsparse_direction_NS_24const_host_device_scalarIT2_EEPKiS8_PKS5_SA_S6_PS5_21rocsparse_index_base_b
    .private_segment_fixed_size: 0
    .sgpr_count:     16
    .sgpr_spill_count: 0
    .symbol:         _ZN9rocsparseL19gebsrmvn_4xn_kernelILj128ELj2ELj4E21rocsparse_complex_numIdEEEvi20rocsparse_direction_NS_24const_host_device_scalarIT2_EEPKiS8_PKS5_SA_S6_PS5_21rocsparse_index_base_b.kd
    .uniform_work_group_size: 1
    .uses_dynamic_stack: false
    .vgpr_count:     71
    .vgpr_spill_count: 0
    .wavefront_size: 32
  - .args:
      - .offset:         0
        .size:           4
        .value_kind:     by_value
      - .offset:         4
        .size:           4
        .value_kind:     by_value
      - .offset:         8
        .size:           16
        .value_kind:     by_value
      - .actual_access:  read_only
        .address_space:  global
        .offset:         24
        .size:           8
        .value_kind:     global_buffer
      - .actual_access:  read_only
        .address_space:  global
        .offset:         32
        .size:           8
        .value_kind:     global_buffer
      - .actual_access:  read_only
        .address_space:  global
        .offset:         40
        .size:           8
        .value_kind:     global_buffer
      - .actual_access:  read_only
        .address_space:  global
        .offset:         48
        .size:           8
        .value_kind:     global_buffer
      - .offset:         56
        .size:           16
        .value_kind:     by_value
      - .address_space:  global
        .offset:         72
        .size:           8
        .value_kind:     global_buffer
      - .offset:         80
        .size:           4
        .value_kind:     by_value
      - .offset:         84
        .size:           1
        .value_kind:     by_value
    .group_segment_fixed_size: 0
    .kernarg_segment_align: 8
    .kernarg_segment_size: 88
    .language:       OpenCL C
    .language_version:
      - 2
      - 0
    .max_flat_workgroup_size: 128
    .name:           _ZN9rocsparseL19gebsrmvn_4xn_kernelILj128ELj2ELj8E21rocsparse_complex_numIdEEEvi20rocsparse_direction_NS_24const_host_device_scalarIT2_EEPKiS8_PKS5_SA_S6_PS5_21rocsparse_index_base_b
    .private_segment_fixed_size: 0
    .sgpr_count:     16
    .sgpr_spill_count: 0
    .symbol:         _ZN9rocsparseL19gebsrmvn_4xn_kernelILj128ELj2ELj8E21rocsparse_complex_numIdEEEvi20rocsparse_direction_NS_24const_host_device_scalarIT2_EEPKiS8_PKS5_SA_S6_PS5_21rocsparse_index_base_b.kd
    .uniform_work_group_size: 1
    .uses_dynamic_stack: false
    .vgpr_count:     71
    .vgpr_spill_count: 0
    .wavefront_size: 32
  - .args:
      - .offset:         0
        .size:           4
        .value_kind:     by_value
      - .offset:         4
        .size:           4
        .value_kind:     by_value
      - .offset:         8
        .size:           16
        .value_kind:     by_value
      - .actual_access:  read_only
        .address_space:  global
        .offset:         24
        .size:           8
        .value_kind:     global_buffer
      - .actual_access:  read_only
        .address_space:  global
        .offset:         32
        .size:           8
        .value_kind:     global_buffer
      - .actual_access:  read_only
        .address_space:  global
        .offset:         40
        .size:           8
        .value_kind:     global_buffer
      - .actual_access:  read_only
        .address_space:  global
        .offset:         48
        .size:           8
        .value_kind:     global_buffer
      - .offset:         56
        .size:           16
        .value_kind:     by_value
      - .address_space:  global
        .offset:         72
        .size:           8
        .value_kind:     global_buffer
      - .offset:         80
        .size:           4
        .value_kind:     by_value
      - .offset:         84
        .size:           1
        .value_kind:     by_value
    .group_segment_fixed_size: 0
    .kernarg_segment_align: 8
    .kernarg_segment_size: 88
    .language:       OpenCL C
    .language_version:
      - 2
      - 0
    .max_flat_workgroup_size: 128
    .name:           _ZN9rocsparseL19gebsrmvn_4xn_kernelILj128ELj2ELj16E21rocsparse_complex_numIdEEEvi20rocsparse_direction_NS_24const_host_device_scalarIT2_EEPKiS8_PKS5_SA_S6_PS5_21rocsparse_index_base_b
    .private_segment_fixed_size: 0
    .sgpr_count:     16
    .sgpr_spill_count: 0
    .symbol:         _ZN9rocsparseL19gebsrmvn_4xn_kernelILj128ELj2ELj16E21rocsparse_complex_numIdEEEvi20rocsparse_direction_NS_24const_host_device_scalarIT2_EEPKiS8_PKS5_SA_S6_PS5_21rocsparse_index_base_b.kd
    .uniform_work_group_size: 1
    .uses_dynamic_stack: false
    .vgpr_count:     71
    .vgpr_spill_count: 0
    .wavefront_size: 32
  - .args:
      - .offset:         0
        .size:           4
        .value_kind:     by_value
      - .offset:         4
        .size:           4
        .value_kind:     by_value
      - .offset:         8
        .size:           16
        .value_kind:     by_value
      - .actual_access:  read_only
        .address_space:  global
        .offset:         24
        .size:           8
        .value_kind:     global_buffer
      - .actual_access:  read_only
        .address_space:  global
        .offset:         32
        .size:           8
        .value_kind:     global_buffer
      - .actual_access:  read_only
        .address_space:  global
        .offset:         40
        .size:           8
        .value_kind:     global_buffer
      - .actual_access:  read_only
        .address_space:  global
        .offset:         48
        .size:           8
        .value_kind:     global_buffer
      - .offset:         56
        .size:           16
        .value_kind:     by_value
      - .address_space:  global
        .offset:         72
        .size:           8
        .value_kind:     global_buffer
      - .offset:         80
        .size:           4
        .value_kind:     by_value
      - .offset:         84
        .size:           1
        .value_kind:     by_value
    .group_segment_fixed_size: 0
    .kernarg_segment_align: 8
    .kernarg_segment_size: 88
    .language:       OpenCL C
    .language_version:
      - 2
      - 0
    .max_flat_workgroup_size: 128
    .name:           _ZN9rocsparseL19gebsrmvn_4xn_kernelILj128ELj2ELj32E21rocsparse_complex_numIdEEEvi20rocsparse_direction_NS_24const_host_device_scalarIT2_EEPKiS8_PKS5_SA_S6_PS5_21rocsparse_index_base_b
    .private_segment_fixed_size: 0
    .sgpr_count:     16
    .sgpr_spill_count: 0
    .symbol:         _ZN9rocsparseL19gebsrmvn_4xn_kernelILj128ELj2ELj32E21rocsparse_complex_numIdEEEvi20rocsparse_direction_NS_24const_host_device_scalarIT2_EEPKiS8_PKS5_SA_S6_PS5_21rocsparse_index_base_b.kd
    .uniform_work_group_size: 1
    .uses_dynamic_stack: false
    .vgpr_count:     71
    .vgpr_spill_count: 0
    .wavefront_size: 32
  - .args:
      - .offset:         0
        .size:           4
        .value_kind:     by_value
      - .offset:         4
        .size:           4
        .value_kind:     by_value
      - .offset:         8
        .size:           16
        .value_kind:     by_value
      - .actual_access:  read_only
        .address_space:  global
        .offset:         24
        .size:           8
        .value_kind:     global_buffer
      - .actual_access:  read_only
        .address_space:  global
        .offset:         32
        .size:           8
        .value_kind:     global_buffer
      - .actual_access:  read_only
        .address_space:  global
        .offset:         40
        .size:           8
        .value_kind:     global_buffer
      - .actual_access:  read_only
        .address_space:  global
        .offset:         48
        .size:           8
        .value_kind:     global_buffer
      - .offset:         56
        .size:           16
        .value_kind:     by_value
      - .address_space:  global
        .offset:         72
        .size:           8
        .value_kind:     global_buffer
      - .offset:         80
        .size:           4
        .value_kind:     by_value
      - .offset:         84
        .size:           1
        .value_kind:     by_value
    .group_segment_fixed_size: 0
    .kernarg_segment_align: 8
    .kernarg_segment_size: 88
    .language:       OpenCL C
    .language_version:
      - 2
      - 0
    .max_flat_workgroup_size: 128
    .name:           _ZN9rocsparseL19gebsrmvn_4xn_kernelILj128ELj2ELj64E21rocsparse_complex_numIdEEEvi20rocsparse_direction_NS_24const_host_device_scalarIT2_EEPKiS8_PKS5_SA_S6_PS5_21rocsparse_index_base_b
    .private_segment_fixed_size: 0
    .sgpr_count:     16
    .sgpr_spill_count: 0
    .symbol:         _ZN9rocsparseL19gebsrmvn_4xn_kernelILj128ELj2ELj64E21rocsparse_complex_numIdEEEvi20rocsparse_direction_NS_24const_host_device_scalarIT2_EEPKiS8_PKS5_SA_S6_PS5_21rocsparse_index_base_b.kd
    .uniform_work_group_size: 1
    .uses_dynamic_stack: false
    .vgpr_count:     71
    .vgpr_spill_count: 0
    .wavefront_size: 32
  - .args:
      - .offset:         0
        .size:           4
        .value_kind:     by_value
      - .offset:         4
        .size:           4
        .value_kind:     by_value
      - .offset:         8
        .size:           16
        .value_kind:     by_value
      - .actual_access:  read_only
        .address_space:  global
        .offset:         24
        .size:           8
        .value_kind:     global_buffer
      - .actual_access:  read_only
        .address_space:  global
        .offset:         32
        .size:           8
        .value_kind:     global_buffer
      - .actual_access:  read_only
        .address_space:  global
        .offset:         40
        .size:           8
        .value_kind:     global_buffer
      - .actual_access:  read_only
        .address_space:  global
        .offset:         48
        .size:           8
        .value_kind:     global_buffer
      - .offset:         56
        .size:           16
        .value_kind:     by_value
      - .address_space:  global
        .offset:         72
        .size:           8
        .value_kind:     global_buffer
      - .offset:         80
        .size:           4
        .value_kind:     by_value
      - .offset:         84
        .size:           1
        .value_kind:     by_value
    .group_segment_fixed_size: 0
    .kernarg_segment_align: 8
    .kernarg_segment_size: 88
    .language:       OpenCL C
    .language_version:
      - 2
      - 0
    .max_flat_workgroup_size: 128
    .name:           _ZN9rocsparseL19gebsrmvn_4xn_kernelILj128ELj3ELj4E21rocsparse_complex_numIdEEEvi20rocsparse_direction_NS_24const_host_device_scalarIT2_EEPKiS8_PKS5_SA_S6_PS5_21rocsparse_index_base_b
    .private_segment_fixed_size: 0
    .sgpr_count:     16
    .sgpr_spill_count: 0
    .symbol:         _ZN9rocsparseL19gebsrmvn_4xn_kernelILj128ELj3ELj4E21rocsparse_complex_numIdEEEvi20rocsparse_direction_NS_24const_host_device_scalarIT2_EEPKiS8_PKS5_SA_S6_PS5_21rocsparse_index_base_b.kd
    .uniform_work_group_size: 1
    .uses_dynamic_stack: false
    .vgpr_count:     90
    .vgpr_spill_count: 0
    .wavefront_size: 32
  - .args:
      - .offset:         0
        .size:           4
        .value_kind:     by_value
      - .offset:         4
        .size:           4
        .value_kind:     by_value
      - .offset:         8
        .size:           16
        .value_kind:     by_value
      - .actual_access:  read_only
        .address_space:  global
        .offset:         24
        .size:           8
        .value_kind:     global_buffer
      - .actual_access:  read_only
        .address_space:  global
        .offset:         32
        .size:           8
        .value_kind:     global_buffer
      - .actual_access:  read_only
        .address_space:  global
        .offset:         40
        .size:           8
        .value_kind:     global_buffer
      - .actual_access:  read_only
        .address_space:  global
        .offset:         48
        .size:           8
        .value_kind:     global_buffer
      - .offset:         56
        .size:           16
        .value_kind:     by_value
      - .address_space:  global
        .offset:         72
        .size:           8
        .value_kind:     global_buffer
      - .offset:         80
        .size:           4
        .value_kind:     by_value
      - .offset:         84
        .size:           1
        .value_kind:     by_value
    .group_segment_fixed_size: 0
    .kernarg_segment_align: 8
    .kernarg_segment_size: 88
    .language:       OpenCL C
    .language_version:
      - 2
      - 0
    .max_flat_workgroup_size: 128
    .name:           _ZN9rocsparseL19gebsrmvn_4xn_kernelILj128ELj3ELj8E21rocsparse_complex_numIdEEEvi20rocsparse_direction_NS_24const_host_device_scalarIT2_EEPKiS8_PKS5_SA_S6_PS5_21rocsparse_index_base_b
    .private_segment_fixed_size: 0
    .sgpr_count:     16
    .sgpr_spill_count: 0
    .symbol:         _ZN9rocsparseL19gebsrmvn_4xn_kernelILj128ELj3ELj8E21rocsparse_complex_numIdEEEvi20rocsparse_direction_NS_24const_host_device_scalarIT2_EEPKiS8_PKS5_SA_S6_PS5_21rocsparse_index_base_b.kd
    .uniform_work_group_size: 1
    .uses_dynamic_stack: false
    .vgpr_count:     90
    .vgpr_spill_count: 0
    .wavefront_size: 32
  - .args:
      - .offset:         0
        .size:           4
        .value_kind:     by_value
      - .offset:         4
        .size:           4
        .value_kind:     by_value
      - .offset:         8
        .size:           16
        .value_kind:     by_value
      - .actual_access:  read_only
        .address_space:  global
        .offset:         24
        .size:           8
        .value_kind:     global_buffer
      - .actual_access:  read_only
        .address_space:  global
        .offset:         32
        .size:           8
        .value_kind:     global_buffer
      - .actual_access:  read_only
        .address_space:  global
        .offset:         40
        .size:           8
        .value_kind:     global_buffer
      - .actual_access:  read_only
        .address_space:  global
        .offset:         48
        .size:           8
        .value_kind:     global_buffer
      - .offset:         56
        .size:           16
        .value_kind:     by_value
      - .address_space:  global
        .offset:         72
        .size:           8
        .value_kind:     global_buffer
      - .offset:         80
        .size:           4
        .value_kind:     by_value
      - .offset:         84
        .size:           1
        .value_kind:     by_value
    .group_segment_fixed_size: 0
    .kernarg_segment_align: 8
    .kernarg_segment_size: 88
    .language:       OpenCL C
    .language_version:
      - 2
      - 0
    .max_flat_workgroup_size: 128
    .name:           _ZN9rocsparseL19gebsrmvn_4xn_kernelILj128ELj3ELj16E21rocsparse_complex_numIdEEEvi20rocsparse_direction_NS_24const_host_device_scalarIT2_EEPKiS8_PKS5_SA_S6_PS5_21rocsparse_index_base_b
    .private_segment_fixed_size: 0
    .sgpr_count:     16
    .sgpr_spill_count: 0
    .symbol:         _ZN9rocsparseL19gebsrmvn_4xn_kernelILj128ELj3ELj16E21rocsparse_complex_numIdEEEvi20rocsparse_direction_NS_24const_host_device_scalarIT2_EEPKiS8_PKS5_SA_S6_PS5_21rocsparse_index_base_b.kd
    .uniform_work_group_size: 1
    .uses_dynamic_stack: false
    .vgpr_count:     90
    .vgpr_spill_count: 0
    .wavefront_size: 32
  - .args:
      - .offset:         0
        .size:           4
        .value_kind:     by_value
      - .offset:         4
        .size:           4
        .value_kind:     by_value
      - .offset:         8
        .size:           16
        .value_kind:     by_value
      - .actual_access:  read_only
        .address_space:  global
        .offset:         24
        .size:           8
        .value_kind:     global_buffer
      - .actual_access:  read_only
        .address_space:  global
        .offset:         32
        .size:           8
        .value_kind:     global_buffer
      - .actual_access:  read_only
        .address_space:  global
        .offset:         40
        .size:           8
        .value_kind:     global_buffer
      - .actual_access:  read_only
        .address_space:  global
        .offset:         48
        .size:           8
        .value_kind:     global_buffer
      - .offset:         56
        .size:           16
        .value_kind:     by_value
      - .address_space:  global
        .offset:         72
        .size:           8
        .value_kind:     global_buffer
      - .offset:         80
        .size:           4
        .value_kind:     by_value
      - .offset:         84
        .size:           1
        .value_kind:     by_value
    .group_segment_fixed_size: 0
    .kernarg_segment_align: 8
    .kernarg_segment_size: 88
    .language:       OpenCL C
    .language_version:
      - 2
      - 0
    .max_flat_workgroup_size: 128
    .name:           _ZN9rocsparseL19gebsrmvn_4xn_kernelILj128ELj3ELj32E21rocsparse_complex_numIdEEEvi20rocsparse_direction_NS_24const_host_device_scalarIT2_EEPKiS8_PKS5_SA_S6_PS5_21rocsparse_index_base_b
    .private_segment_fixed_size: 0
    .sgpr_count:     16
    .sgpr_spill_count: 0
    .symbol:         _ZN9rocsparseL19gebsrmvn_4xn_kernelILj128ELj3ELj32E21rocsparse_complex_numIdEEEvi20rocsparse_direction_NS_24const_host_device_scalarIT2_EEPKiS8_PKS5_SA_S6_PS5_21rocsparse_index_base_b.kd
    .uniform_work_group_size: 1
    .uses_dynamic_stack: false
    .vgpr_count:     90
    .vgpr_spill_count: 0
    .wavefront_size: 32
  - .args:
      - .offset:         0
        .size:           4
        .value_kind:     by_value
      - .offset:         4
        .size:           4
        .value_kind:     by_value
      - .offset:         8
        .size:           16
        .value_kind:     by_value
      - .actual_access:  read_only
        .address_space:  global
        .offset:         24
        .size:           8
        .value_kind:     global_buffer
      - .actual_access:  read_only
        .address_space:  global
        .offset:         32
        .size:           8
        .value_kind:     global_buffer
      - .actual_access:  read_only
        .address_space:  global
        .offset:         40
        .size:           8
        .value_kind:     global_buffer
      - .actual_access:  read_only
        .address_space:  global
        .offset:         48
        .size:           8
        .value_kind:     global_buffer
      - .offset:         56
        .size:           16
        .value_kind:     by_value
      - .address_space:  global
        .offset:         72
        .size:           8
        .value_kind:     global_buffer
      - .offset:         80
        .size:           4
        .value_kind:     by_value
      - .offset:         84
        .size:           1
        .value_kind:     by_value
    .group_segment_fixed_size: 0
    .kernarg_segment_align: 8
    .kernarg_segment_size: 88
    .language:       OpenCL C
    .language_version:
      - 2
      - 0
    .max_flat_workgroup_size: 128
    .name:           _ZN9rocsparseL19gebsrmvn_4xn_kernelILj128ELj3ELj64E21rocsparse_complex_numIdEEEvi20rocsparse_direction_NS_24const_host_device_scalarIT2_EEPKiS8_PKS5_SA_S6_PS5_21rocsparse_index_base_b
    .private_segment_fixed_size: 0
    .sgpr_count:     16
    .sgpr_spill_count: 0
    .symbol:         _ZN9rocsparseL19gebsrmvn_4xn_kernelILj128ELj3ELj64E21rocsparse_complex_numIdEEEvi20rocsparse_direction_NS_24const_host_device_scalarIT2_EEPKiS8_PKS5_SA_S6_PS5_21rocsparse_index_base_b.kd
    .uniform_work_group_size: 1
    .uses_dynamic_stack: false
    .vgpr_count:     90
    .vgpr_spill_count: 0
    .wavefront_size: 32
  - .args:
      - .offset:         0
        .size:           4
        .value_kind:     by_value
      - .offset:         4
        .size:           4
        .value_kind:     by_value
      - .offset:         8
        .size:           16
        .value_kind:     by_value
      - .actual_access:  read_only
        .address_space:  global
        .offset:         24
        .size:           8
        .value_kind:     global_buffer
      - .actual_access:  read_only
        .address_space:  global
        .offset:         32
        .size:           8
        .value_kind:     global_buffer
      - .actual_access:  read_only
        .address_space:  global
        .offset:         40
        .size:           8
        .value_kind:     global_buffer
      - .actual_access:  read_only
        .address_space:  global
        .offset:         48
        .size:           8
        .value_kind:     global_buffer
      - .offset:         56
        .size:           16
        .value_kind:     by_value
      - .address_space:  global
        .offset:         72
        .size:           8
        .value_kind:     global_buffer
      - .offset:         80
        .size:           4
        .value_kind:     by_value
      - .offset:         84
        .size:           1
        .value_kind:     by_value
    .group_segment_fixed_size: 0
    .kernarg_segment_align: 8
    .kernarg_segment_size: 88
    .language:       OpenCL C
    .language_version:
      - 2
      - 0
    .max_flat_workgroup_size: 128
    .name:           _ZN9rocsparseL19gebsrmvn_4xn_kernelILj128ELj5ELj4E21rocsparse_complex_numIdEEEvi20rocsparse_direction_NS_24const_host_device_scalarIT2_EEPKiS8_PKS5_SA_S6_PS5_21rocsparse_index_base_b
    .private_segment_fixed_size: 0
    .sgpr_count:     16
    .sgpr_spill_count: 0
    .symbol:         _ZN9rocsparseL19gebsrmvn_4xn_kernelILj128ELj5ELj4E21rocsparse_complex_numIdEEEvi20rocsparse_direction_NS_24const_host_device_scalarIT2_EEPKiS8_PKS5_SA_S6_PS5_21rocsparse_index_base_b.kd
    .uniform_work_group_size: 1
    .uses_dynamic_stack: false
    .vgpr_count:     121
    .vgpr_spill_count: 0
    .wavefront_size: 32
  - .args:
      - .offset:         0
        .size:           4
        .value_kind:     by_value
      - .offset:         4
        .size:           4
        .value_kind:     by_value
      - .offset:         8
        .size:           16
        .value_kind:     by_value
      - .actual_access:  read_only
        .address_space:  global
        .offset:         24
        .size:           8
        .value_kind:     global_buffer
      - .actual_access:  read_only
        .address_space:  global
        .offset:         32
        .size:           8
        .value_kind:     global_buffer
      - .actual_access:  read_only
        .address_space:  global
        .offset:         40
        .size:           8
        .value_kind:     global_buffer
      - .actual_access:  read_only
        .address_space:  global
        .offset:         48
        .size:           8
        .value_kind:     global_buffer
      - .offset:         56
        .size:           16
        .value_kind:     by_value
      - .address_space:  global
        .offset:         72
        .size:           8
        .value_kind:     global_buffer
      - .offset:         80
        .size:           4
        .value_kind:     by_value
      - .offset:         84
        .size:           1
        .value_kind:     by_value
    .group_segment_fixed_size: 0
    .kernarg_segment_align: 8
    .kernarg_segment_size: 88
    .language:       OpenCL C
    .language_version:
      - 2
      - 0
    .max_flat_workgroup_size: 128
    .name:           _ZN9rocsparseL19gebsrmvn_4xn_kernelILj128ELj5ELj8E21rocsparse_complex_numIdEEEvi20rocsparse_direction_NS_24const_host_device_scalarIT2_EEPKiS8_PKS5_SA_S6_PS5_21rocsparse_index_base_b
    .private_segment_fixed_size: 0
    .sgpr_count:     16
    .sgpr_spill_count: 0
    .symbol:         _ZN9rocsparseL19gebsrmvn_4xn_kernelILj128ELj5ELj8E21rocsparse_complex_numIdEEEvi20rocsparse_direction_NS_24const_host_device_scalarIT2_EEPKiS8_PKS5_SA_S6_PS5_21rocsparse_index_base_b.kd
    .uniform_work_group_size: 1
    .uses_dynamic_stack: false
    .vgpr_count:     121
    .vgpr_spill_count: 0
    .wavefront_size: 32
  - .args:
      - .offset:         0
        .size:           4
        .value_kind:     by_value
      - .offset:         4
        .size:           4
        .value_kind:     by_value
      - .offset:         8
        .size:           16
        .value_kind:     by_value
      - .actual_access:  read_only
        .address_space:  global
        .offset:         24
        .size:           8
        .value_kind:     global_buffer
      - .actual_access:  read_only
        .address_space:  global
        .offset:         32
        .size:           8
        .value_kind:     global_buffer
      - .actual_access:  read_only
        .address_space:  global
        .offset:         40
        .size:           8
        .value_kind:     global_buffer
      - .actual_access:  read_only
        .address_space:  global
        .offset:         48
        .size:           8
        .value_kind:     global_buffer
      - .offset:         56
        .size:           16
        .value_kind:     by_value
      - .address_space:  global
        .offset:         72
        .size:           8
        .value_kind:     global_buffer
      - .offset:         80
        .size:           4
        .value_kind:     by_value
      - .offset:         84
        .size:           1
        .value_kind:     by_value
    .group_segment_fixed_size: 0
    .kernarg_segment_align: 8
    .kernarg_segment_size: 88
    .language:       OpenCL C
    .language_version:
      - 2
      - 0
    .max_flat_workgroup_size: 128
    .name:           _ZN9rocsparseL19gebsrmvn_4xn_kernelILj128ELj5ELj16E21rocsparse_complex_numIdEEEvi20rocsparse_direction_NS_24const_host_device_scalarIT2_EEPKiS8_PKS5_SA_S6_PS5_21rocsparse_index_base_b
    .private_segment_fixed_size: 0
    .sgpr_count:     16
    .sgpr_spill_count: 0
    .symbol:         _ZN9rocsparseL19gebsrmvn_4xn_kernelILj128ELj5ELj16E21rocsparse_complex_numIdEEEvi20rocsparse_direction_NS_24const_host_device_scalarIT2_EEPKiS8_PKS5_SA_S6_PS5_21rocsparse_index_base_b.kd
    .uniform_work_group_size: 1
    .uses_dynamic_stack: false
    .vgpr_count:     121
    .vgpr_spill_count: 0
    .wavefront_size: 32
  - .args:
      - .offset:         0
        .size:           4
        .value_kind:     by_value
      - .offset:         4
        .size:           4
        .value_kind:     by_value
      - .offset:         8
        .size:           16
        .value_kind:     by_value
      - .actual_access:  read_only
        .address_space:  global
        .offset:         24
        .size:           8
        .value_kind:     global_buffer
      - .actual_access:  read_only
        .address_space:  global
        .offset:         32
        .size:           8
        .value_kind:     global_buffer
      - .actual_access:  read_only
        .address_space:  global
        .offset:         40
        .size:           8
        .value_kind:     global_buffer
      - .actual_access:  read_only
        .address_space:  global
        .offset:         48
        .size:           8
        .value_kind:     global_buffer
      - .offset:         56
        .size:           16
        .value_kind:     by_value
      - .address_space:  global
        .offset:         72
        .size:           8
        .value_kind:     global_buffer
      - .offset:         80
        .size:           4
        .value_kind:     by_value
      - .offset:         84
        .size:           1
        .value_kind:     by_value
    .group_segment_fixed_size: 0
    .kernarg_segment_align: 8
    .kernarg_segment_size: 88
    .language:       OpenCL C
    .language_version:
      - 2
      - 0
    .max_flat_workgroup_size: 128
    .name:           _ZN9rocsparseL19gebsrmvn_4xn_kernelILj128ELj5ELj32E21rocsparse_complex_numIdEEEvi20rocsparse_direction_NS_24const_host_device_scalarIT2_EEPKiS8_PKS5_SA_S6_PS5_21rocsparse_index_base_b
    .private_segment_fixed_size: 0
    .sgpr_count:     16
    .sgpr_spill_count: 0
    .symbol:         _ZN9rocsparseL19gebsrmvn_4xn_kernelILj128ELj5ELj32E21rocsparse_complex_numIdEEEvi20rocsparse_direction_NS_24const_host_device_scalarIT2_EEPKiS8_PKS5_SA_S6_PS5_21rocsparse_index_base_b.kd
    .uniform_work_group_size: 1
    .uses_dynamic_stack: false
    .vgpr_count:     121
    .vgpr_spill_count: 0
    .wavefront_size: 32
  - .args:
      - .offset:         0
        .size:           4
        .value_kind:     by_value
      - .offset:         4
        .size:           4
        .value_kind:     by_value
      - .offset:         8
        .size:           16
        .value_kind:     by_value
      - .actual_access:  read_only
        .address_space:  global
        .offset:         24
        .size:           8
        .value_kind:     global_buffer
      - .actual_access:  read_only
        .address_space:  global
        .offset:         32
        .size:           8
        .value_kind:     global_buffer
      - .actual_access:  read_only
        .address_space:  global
        .offset:         40
        .size:           8
        .value_kind:     global_buffer
      - .actual_access:  read_only
        .address_space:  global
        .offset:         48
        .size:           8
        .value_kind:     global_buffer
      - .offset:         56
        .size:           16
        .value_kind:     by_value
      - .address_space:  global
        .offset:         72
        .size:           8
        .value_kind:     global_buffer
      - .offset:         80
        .size:           4
        .value_kind:     by_value
      - .offset:         84
        .size:           1
        .value_kind:     by_value
    .group_segment_fixed_size: 0
    .kernarg_segment_align: 8
    .kernarg_segment_size: 88
    .language:       OpenCL C
    .language_version:
      - 2
      - 0
    .max_flat_workgroup_size: 128
    .name:           _ZN9rocsparseL19gebsrmvn_4xn_kernelILj128ELj5ELj64E21rocsparse_complex_numIdEEEvi20rocsparse_direction_NS_24const_host_device_scalarIT2_EEPKiS8_PKS5_SA_S6_PS5_21rocsparse_index_base_b
    .private_segment_fixed_size: 0
    .sgpr_count:     16
    .sgpr_spill_count: 0
    .symbol:         _ZN9rocsparseL19gebsrmvn_4xn_kernelILj128ELj5ELj64E21rocsparse_complex_numIdEEEvi20rocsparse_direction_NS_24const_host_device_scalarIT2_EEPKiS8_PKS5_SA_S6_PS5_21rocsparse_index_base_b.kd
    .uniform_work_group_size: 1
    .uses_dynamic_stack: false
    .vgpr_count:     121
    .vgpr_spill_count: 0
    .wavefront_size: 32
  - .args:
      - .offset:         0
        .size:           4
        .value_kind:     by_value
      - .offset:         4
        .size:           4
        .value_kind:     by_value
      - .offset:         8
        .size:           16
        .value_kind:     by_value
      - .actual_access:  read_only
        .address_space:  global
        .offset:         24
        .size:           8
        .value_kind:     global_buffer
      - .actual_access:  read_only
        .address_space:  global
        .offset:         32
        .size:           8
        .value_kind:     global_buffer
      - .actual_access:  read_only
        .address_space:  global
        .offset:         40
        .size:           8
        .value_kind:     global_buffer
      - .actual_access:  read_only
        .address_space:  global
        .offset:         48
        .size:           8
        .value_kind:     global_buffer
      - .offset:         56
        .size:           16
        .value_kind:     by_value
      - .address_space:  global
        .offset:         72
        .size:           8
        .value_kind:     global_buffer
      - .offset:         80
        .size:           4
        .value_kind:     by_value
      - .offset:         84
        .size:           1
        .value_kind:     by_value
    .group_segment_fixed_size: 0
    .kernarg_segment_align: 8
    .kernarg_segment_size: 88
    .language:       OpenCL C
    .language_version:
      - 2
      - 0
    .max_flat_workgroup_size: 128
    .name:           _ZN9rocsparseL19gebsrmvn_4xn_kernelILj128ELj6ELj4E21rocsparse_complex_numIdEEEvi20rocsparse_direction_NS_24const_host_device_scalarIT2_EEPKiS8_PKS5_SA_S6_PS5_21rocsparse_index_base_b
    .private_segment_fixed_size: 0
    .sgpr_count:     16
    .sgpr_spill_count: 0
    .symbol:         _ZN9rocsparseL19gebsrmvn_4xn_kernelILj128ELj6ELj4E21rocsparse_complex_numIdEEEvi20rocsparse_direction_NS_24const_host_device_scalarIT2_EEPKiS8_PKS5_SA_S6_PS5_21rocsparse_index_base_b.kd
    .uniform_work_group_size: 1
    .uses_dynamic_stack: false
    .vgpr_count:     77
    .vgpr_spill_count: 0
    .wavefront_size: 32
  - .args:
      - .offset:         0
        .size:           4
        .value_kind:     by_value
      - .offset:         4
        .size:           4
        .value_kind:     by_value
      - .offset:         8
        .size:           16
        .value_kind:     by_value
      - .actual_access:  read_only
        .address_space:  global
        .offset:         24
        .size:           8
        .value_kind:     global_buffer
      - .actual_access:  read_only
        .address_space:  global
        .offset:         32
        .size:           8
        .value_kind:     global_buffer
      - .actual_access:  read_only
        .address_space:  global
        .offset:         40
        .size:           8
        .value_kind:     global_buffer
      - .actual_access:  read_only
        .address_space:  global
        .offset:         48
        .size:           8
        .value_kind:     global_buffer
      - .offset:         56
        .size:           16
        .value_kind:     by_value
      - .address_space:  global
        .offset:         72
        .size:           8
        .value_kind:     global_buffer
      - .offset:         80
        .size:           4
        .value_kind:     by_value
      - .offset:         84
        .size:           1
        .value_kind:     by_value
    .group_segment_fixed_size: 0
    .kernarg_segment_align: 8
    .kernarg_segment_size: 88
    .language:       OpenCL C
    .language_version:
      - 2
      - 0
    .max_flat_workgroup_size: 128
    .name:           _ZN9rocsparseL19gebsrmvn_4xn_kernelILj128ELj6ELj8E21rocsparse_complex_numIdEEEvi20rocsparse_direction_NS_24const_host_device_scalarIT2_EEPKiS8_PKS5_SA_S6_PS5_21rocsparse_index_base_b
    .private_segment_fixed_size: 0
    .sgpr_count:     16
    .sgpr_spill_count: 0
    .symbol:         _ZN9rocsparseL19gebsrmvn_4xn_kernelILj128ELj6ELj8E21rocsparse_complex_numIdEEEvi20rocsparse_direction_NS_24const_host_device_scalarIT2_EEPKiS8_PKS5_SA_S6_PS5_21rocsparse_index_base_b.kd
    .uniform_work_group_size: 1
    .uses_dynamic_stack: false
    .vgpr_count:     77
    .vgpr_spill_count: 0
    .wavefront_size: 32
  - .args:
      - .offset:         0
        .size:           4
        .value_kind:     by_value
      - .offset:         4
        .size:           4
        .value_kind:     by_value
      - .offset:         8
        .size:           16
        .value_kind:     by_value
      - .actual_access:  read_only
        .address_space:  global
        .offset:         24
        .size:           8
        .value_kind:     global_buffer
      - .actual_access:  read_only
        .address_space:  global
        .offset:         32
        .size:           8
        .value_kind:     global_buffer
      - .actual_access:  read_only
        .address_space:  global
        .offset:         40
        .size:           8
        .value_kind:     global_buffer
      - .actual_access:  read_only
        .address_space:  global
        .offset:         48
        .size:           8
        .value_kind:     global_buffer
      - .offset:         56
        .size:           16
        .value_kind:     by_value
      - .address_space:  global
        .offset:         72
        .size:           8
        .value_kind:     global_buffer
      - .offset:         80
        .size:           4
        .value_kind:     by_value
      - .offset:         84
        .size:           1
        .value_kind:     by_value
    .group_segment_fixed_size: 0
    .kernarg_segment_align: 8
    .kernarg_segment_size: 88
    .language:       OpenCL C
    .language_version:
      - 2
      - 0
    .max_flat_workgroup_size: 128
    .name:           _ZN9rocsparseL19gebsrmvn_4xn_kernelILj128ELj6ELj16E21rocsparse_complex_numIdEEEvi20rocsparse_direction_NS_24const_host_device_scalarIT2_EEPKiS8_PKS5_SA_S6_PS5_21rocsparse_index_base_b
    .private_segment_fixed_size: 0
    .sgpr_count:     16
    .sgpr_spill_count: 0
    .symbol:         _ZN9rocsparseL19gebsrmvn_4xn_kernelILj128ELj6ELj16E21rocsparse_complex_numIdEEEvi20rocsparse_direction_NS_24const_host_device_scalarIT2_EEPKiS8_PKS5_SA_S6_PS5_21rocsparse_index_base_b.kd
    .uniform_work_group_size: 1
    .uses_dynamic_stack: false
    .vgpr_count:     77
    .vgpr_spill_count: 0
    .wavefront_size: 32
  - .args:
      - .offset:         0
        .size:           4
        .value_kind:     by_value
      - .offset:         4
        .size:           4
        .value_kind:     by_value
      - .offset:         8
        .size:           16
        .value_kind:     by_value
      - .actual_access:  read_only
        .address_space:  global
        .offset:         24
        .size:           8
        .value_kind:     global_buffer
      - .actual_access:  read_only
        .address_space:  global
        .offset:         32
        .size:           8
        .value_kind:     global_buffer
      - .actual_access:  read_only
        .address_space:  global
        .offset:         40
        .size:           8
        .value_kind:     global_buffer
      - .actual_access:  read_only
        .address_space:  global
        .offset:         48
        .size:           8
        .value_kind:     global_buffer
      - .offset:         56
        .size:           16
        .value_kind:     by_value
      - .address_space:  global
        .offset:         72
        .size:           8
        .value_kind:     global_buffer
      - .offset:         80
        .size:           4
        .value_kind:     by_value
      - .offset:         84
        .size:           1
        .value_kind:     by_value
    .group_segment_fixed_size: 0
    .kernarg_segment_align: 8
    .kernarg_segment_size: 88
    .language:       OpenCL C
    .language_version:
      - 2
      - 0
    .max_flat_workgroup_size: 128
    .name:           _ZN9rocsparseL19gebsrmvn_4xn_kernelILj128ELj6ELj32E21rocsparse_complex_numIdEEEvi20rocsparse_direction_NS_24const_host_device_scalarIT2_EEPKiS8_PKS5_SA_S6_PS5_21rocsparse_index_base_b
    .private_segment_fixed_size: 0
    .sgpr_count:     16
    .sgpr_spill_count: 0
    .symbol:         _ZN9rocsparseL19gebsrmvn_4xn_kernelILj128ELj6ELj32E21rocsparse_complex_numIdEEEvi20rocsparse_direction_NS_24const_host_device_scalarIT2_EEPKiS8_PKS5_SA_S6_PS5_21rocsparse_index_base_b.kd
    .uniform_work_group_size: 1
    .uses_dynamic_stack: false
    .vgpr_count:     77
    .vgpr_spill_count: 0
    .wavefront_size: 32
  - .args:
      - .offset:         0
        .size:           4
        .value_kind:     by_value
      - .offset:         4
        .size:           4
        .value_kind:     by_value
      - .offset:         8
        .size:           16
        .value_kind:     by_value
      - .actual_access:  read_only
        .address_space:  global
        .offset:         24
        .size:           8
        .value_kind:     global_buffer
      - .actual_access:  read_only
        .address_space:  global
        .offset:         32
        .size:           8
        .value_kind:     global_buffer
      - .actual_access:  read_only
        .address_space:  global
        .offset:         40
        .size:           8
        .value_kind:     global_buffer
      - .actual_access:  read_only
        .address_space:  global
        .offset:         48
        .size:           8
        .value_kind:     global_buffer
      - .offset:         56
        .size:           16
        .value_kind:     by_value
      - .address_space:  global
        .offset:         72
        .size:           8
        .value_kind:     global_buffer
      - .offset:         80
        .size:           4
        .value_kind:     by_value
      - .offset:         84
        .size:           1
        .value_kind:     by_value
    .group_segment_fixed_size: 0
    .kernarg_segment_align: 8
    .kernarg_segment_size: 88
    .language:       OpenCL C
    .language_version:
      - 2
      - 0
    .max_flat_workgroup_size: 128
    .name:           _ZN9rocsparseL19gebsrmvn_4xn_kernelILj128ELj6ELj64E21rocsparse_complex_numIdEEEvi20rocsparse_direction_NS_24const_host_device_scalarIT2_EEPKiS8_PKS5_SA_S6_PS5_21rocsparse_index_base_b
    .private_segment_fixed_size: 0
    .sgpr_count:     16
    .sgpr_spill_count: 0
    .symbol:         _ZN9rocsparseL19gebsrmvn_4xn_kernelILj128ELj6ELj64E21rocsparse_complex_numIdEEEvi20rocsparse_direction_NS_24const_host_device_scalarIT2_EEPKiS8_PKS5_SA_S6_PS5_21rocsparse_index_base_b.kd
    .uniform_work_group_size: 1
    .uses_dynamic_stack: false
    .vgpr_count:     77
    .vgpr_spill_count: 0
    .wavefront_size: 32
  - .args:
      - .offset:         0
        .size:           4
        .value_kind:     by_value
      - .offset:         4
        .size:           4
        .value_kind:     by_value
      - .offset:         8
        .size:           16
        .value_kind:     by_value
      - .actual_access:  read_only
        .address_space:  global
        .offset:         24
        .size:           8
        .value_kind:     global_buffer
      - .actual_access:  read_only
        .address_space:  global
        .offset:         32
        .size:           8
        .value_kind:     global_buffer
      - .actual_access:  read_only
        .address_space:  global
        .offset:         40
        .size:           8
        .value_kind:     global_buffer
      - .actual_access:  read_only
        .address_space:  global
        .offset:         48
        .size:           8
        .value_kind:     global_buffer
      - .offset:         56
        .size:           16
        .value_kind:     by_value
      - .address_space:  global
        .offset:         72
        .size:           8
        .value_kind:     global_buffer
      - .offset:         80
        .size:           4
        .value_kind:     by_value
      - .offset:         84
        .size:           1
        .value_kind:     by_value
    .group_segment_fixed_size: 0
    .kernarg_segment_align: 8
    .kernarg_segment_size: 88
    .language:       OpenCL C
    .language_version:
      - 2
      - 0
    .max_flat_workgroup_size: 128
    .name:           _ZN9rocsparseL19gebsrmvn_4xn_kernelILj128ELj7ELj4E21rocsparse_complex_numIdEEEvi20rocsparse_direction_NS_24const_host_device_scalarIT2_EEPKiS8_PKS5_SA_S6_PS5_21rocsparse_index_base_b
    .private_segment_fixed_size: 0
    .sgpr_count:     16
    .sgpr_spill_count: 0
    .symbol:         _ZN9rocsparseL19gebsrmvn_4xn_kernelILj128ELj7ELj4E21rocsparse_complex_numIdEEEvi20rocsparse_direction_NS_24const_host_device_scalarIT2_EEPKiS8_PKS5_SA_S6_PS5_21rocsparse_index_base_b.kd
    .uniform_work_group_size: 1
    .uses_dynamic_stack: false
    .vgpr_count:     70
    .vgpr_spill_count: 0
    .wavefront_size: 32
  - .args:
      - .offset:         0
        .size:           4
        .value_kind:     by_value
      - .offset:         4
        .size:           4
        .value_kind:     by_value
      - .offset:         8
        .size:           16
        .value_kind:     by_value
      - .actual_access:  read_only
        .address_space:  global
        .offset:         24
        .size:           8
        .value_kind:     global_buffer
      - .actual_access:  read_only
        .address_space:  global
        .offset:         32
        .size:           8
        .value_kind:     global_buffer
      - .actual_access:  read_only
        .address_space:  global
        .offset:         40
        .size:           8
        .value_kind:     global_buffer
      - .actual_access:  read_only
        .address_space:  global
        .offset:         48
        .size:           8
        .value_kind:     global_buffer
      - .offset:         56
        .size:           16
        .value_kind:     by_value
      - .address_space:  global
        .offset:         72
        .size:           8
        .value_kind:     global_buffer
      - .offset:         80
        .size:           4
        .value_kind:     by_value
      - .offset:         84
        .size:           1
        .value_kind:     by_value
    .group_segment_fixed_size: 0
    .kernarg_segment_align: 8
    .kernarg_segment_size: 88
    .language:       OpenCL C
    .language_version:
      - 2
      - 0
    .max_flat_workgroup_size: 128
    .name:           _ZN9rocsparseL19gebsrmvn_4xn_kernelILj128ELj7ELj8E21rocsparse_complex_numIdEEEvi20rocsparse_direction_NS_24const_host_device_scalarIT2_EEPKiS8_PKS5_SA_S6_PS5_21rocsparse_index_base_b
    .private_segment_fixed_size: 0
    .sgpr_count:     16
    .sgpr_spill_count: 0
    .symbol:         _ZN9rocsparseL19gebsrmvn_4xn_kernelILj128ELj7ELj8E21rocsparse_complex_numIdEEEvi20rocsparse_direction_NS_24const_host_device_scalarIT2_EEPKiS8_PKS5_SA_S6_PS5_21rocsparse_index_base_b.kd
    .uniform_work_group_size: 1
    .uses_dynamic_stack: false
    .vgpr_count:     70
    .vgpr_spill_count: 0
    .wavefront_size: 32
  - .args:
      - .offset:         0
        .size:           4
        .value_kind:     by_value
      - .offset:         4
        .size:           4
        .value_kind:     by_value
      - .offset:         8
        .size:           16
        .value_kind:     by_value
      - .actual_access:  read_only
        .address_space:  global
        .offset:         24
        .size:           8
        .value_kind:     global_buffer
      - .actual_access:  read_only
        .address_space:  global
        .offset:         32
        .size:           8
        .value_kind:     global_buffer
      - .actual_access:  read_only
        .address_space:  global
        .offset:         40
        .size:           8
        .value_kind:     global_buffer
      - .actual_access:  read_only
        .address_space:  global
        .offset:         48
        .size:           8
        .value_kind:     global_buffer
      - .offset:         56
        .size:           16
        .value_kind:     by_value
      - .address_space:  global
        .offset:         72
        .size:           8
        .value_kind:     global_buffer
      - .offset:         80
        .size:           4
        .value_kind:     by_value
      - .offset:         84
        .size:           1
        .value_kind:     by_value
    .group_segment_fixed_size: 0
    .kernarg_segment_align: 8
    .kernarg_segment_size: 88
    .language:       OpenCL C
    .language_version:
      - 2
      - 0
    .max_flat_workgroup_size: 128
    .name:           _ZN9rocsparseL19gebsrmvn_4xn_kernelILj128ELj7ELj16E21rocsparse_complex_numIdEEEvi20rocsparse_direction_NS_24const_host_device_scalarIT2_EEPKiS8_PKS5_SA_S6_PS5_21rocsparse_index_base_b
    .private_segment_fixed_size: 0
    .sgpr_count:     16
    .sgpr_spill_count: 0
    .symbol:         _ZN9rocsparseL19gebsrmvn_4xn_kernelILj128ELj7ELj16E21rocsparse_complex_numIdEEEvi20rocsparse_direction_NS_24const_host_device_scalarIT2_EEPKiS8_PKS5_SA_S6_PS5_21rocsparse_index_base_b.kd
    .uniform_work_group_size: 1
    .uses_dynamic_stack: false
    .vgpr_count:     70
    .vgpr_spill_count: 0
    .wavefront_size: 32
  - .args:
      - .offset:         0
        .size:           4
        .value_kind:     by_value
      - .offset:         4
        .size:           4
        .value_kind:     by_value
      - .offset:         8
        .size:           16
        .value_kind:     by_value
      - .actual_access:  read_only
        .address_space:  global
        .offset:         24
        .size:           8
        .value_kind:     global_buffer
      - .actual_access:  read_only
        .address_space:  global
        .offset:         32
        .size:           8
        .value_kind:     global_buffer
      - .actual_access:  read_only
        .address_space:  global
        .offset:         40
        .size:           8
        .value_kind:     global_buffer
      - .actual_access:  read_only
        .address_space:  global
        .offset:         48
        .size:           8
        .value_kind:     global_buffer
      - .offset:         56
        .size:           16
        .value_kind:     by_value
      - .address_space:  global
        .offset:         72
        .size:           8
        .value_kind:     global_buffer
      - .offset:         80
        .size:           4
        .value_kind:     by_value
      - .offset:         84
        .size:           1
        .value_kind:     by_value
    .group_segment_fixed_size: 0
    .kernarg_segment_align: 8
    .kernarg_segment_size: 88
    .language:       OpenCL C
    .language_version:
      - 2
      - 0
    .max_flat_workgroup_size: 128
    .name:           _ZN9rocsparseL19gebsrmvn_4xn_kernelILj128ELj7ELj32E21rocsparse_complex_numIdEEEvi20rocsparse_direction_NS_24const_host_device_scalarIT2_EEPKiS8_PKS5_SA_S6_PS5_21rocsparse_index_base_b
    .private_segment_fixed_size: 0
    .sgpr_count:     16
    .sgpr_spill_count: 0
    .symbol:         _ZN9rocsparseL19gebsrmvn_4xn_kernelILj128ELj7ELj32E21rocsparse_complex_numIdEEEvi20rocsparse_direction_NS_24const_host_device_scalarIT2_EEPKiS8_PKS5_SA_S6_PS5_21rocsparse_index_base_b.kd
    .uniform_work_group_size: 1
    .uses_dynamic_stack: false
    .vgpr_count:     70
    .vgpr_spill_count: 0
    .wavefront_size: 32
  - .args:
      - .offset:         0
        .size:           4
        .value_kind:     by_value
      - .offset:         4
        .size:           4
        .value_kind:     by_value
      - .offset:         8
        .size:           16
        .value_kind:     by_value
      - .actual_access:  read_only
        .address_space:  global
        .offset:         24
        .size:           8
        .value_kind:     global_buffer
      - .actual_access:  read_only
        .address_space:  global
        .offset:         32
        .size:           8
        .value_kind:     global_buffer
      - .actual_access:  read_only
        .address_space:  global
        .offset:         40
        .size:           8
        .value_kind:     global_buffer
      - .actual_access:  read_only
        .address_space:  global
        .offset:         48
        .size:           8
        .value_kind:     global_buffer
      - .offset:         56
        .size:           16
        .value_kind:     by_value
      - .address_space:  global
        .offset:         72
        .size:           8
        .value_kind:     global_buffer
      - .offset:         80
        .size:           4
        .value_kind:     by_value
      - .offset:         84
        .size:           1
        .value_kind:     by_value
    .group_segment_fixed_size: 0
    .kernarg_segment_align: 8
    .kernarg_segment_size: 88
    .language:       OpenCL C
    .language_version:
      - 2
      - 0
    .max_flat_workgroup_size: 128
    .name:           _ZN9rocsparseL19gebsrmvn_4xn_kernelILj128ELj7ELj64E21rocsparse_complex_numIdEEEvi20rocsparse_direction_NS_24const_host_device_scalarIT2_EEPKiS8_PKS5_SA_S6_PS5_21rocsparse_index_base_b
    .private_segment_fixed_size: 0
    .sgpr_count:     16
    .sgpr_spill_count: 0
    .symbol:         _ZN9rocsparseL19gebsrmvn_4xn_kernelILj128ELj7ELj64E21rocsparse_complex_numIdEEEvi20rocsparse_direction_NS_24const_host_device_scalarIT2_EEPKiS8_PKS5_SA_S6_PS5_21rocsparse_index_base_b.kd
    .uniform_work_group_size: 1
    .uses_dynamic_stack: false
    .vgpr_count:     70
    .vgpr_spill_count: 0
    .wavefront_size: 32
  - .args:
      - .offset:         0
        .size:           4
        .value_kind:     by_value
      - .offset:         4
        .size:           4
        .value_kind:     by_value
      - .offset:         8
        .size:           16
        .value_kind:     by_value
      - .actual_access:  read_only
        .address_space:  global
        .offset:         24
        .size:           8
        .value_kind:     global_buffer
      - .actual_access:  read_only
        .address_space:  global
        .offset:         32
        .size:           8
        .value_kind:     global_buffer
      - .actual_access:  read_only
        .address_space:  global
        .offset:         40
        .size:           8
        .value_kind:     global_buffer
      - .actual_access:  read_only
        .address_space:  global
        .offset:         48
        .size:           8
        .value_kind:     global_buffer
      - .offset:         56
        .size:           16
        .value_kind:     by_value
      - .address_space:  global
        .offset:         72
        .size:           8
        .value_kind:     global_buffer
      - .offset:         80
        .size:           4
        .value_kind:     by_value
      - .offset:         84
        .size:           1
        .value_kind:     by_value
    .group_segment_fixed_size: 0
    .kernarg_segment_align: 8
    .kernarg_segment_size: 88
    .language:       OpenCL C
    .language_version:
      - 2
      - 0
    .max_flat_workgroup_size: 128
    .name:           _ZN9rocsparseL19gebsrmvn_4xn_kernelILj128ELj8ELj4E21rocsparse_complex_numIdEEEvi20rocsparse_direction_NS_24const_host_device_scalarIT2_EEPKiS8_PKS5_SA_S6_PS5_21rocsparse_index_base_b
    .private_segment_fixed_size: 0
    .sgpr_count:     18
    .sgpr_spill_count: 0
    .symbol:         _ZN9rocsparseL19gebsrmvn_4xn_kernelILj128ELj8ELj4E21rocsparse_complex_numIdEEEvi20rocsparse_direction_NS_24const_host_device_scalarIT2_EEPKiS8_PKS5_SA_S6_PS5_21rocsparse_index_base_b.kd
    .uniform_work_group_size: 1
    .uses_dynamic_stack: false
    .vgpr_count:     80
    .vgpr_spill_count: 0
    .wavefront_size: 32
  - .args:
      - .offset:         0
        .size:           4
        .value_kind:     by_value
      - .offset:         4
        .size:           4
        .value_kind:     by_value
      - .offset:         8
        .size:           16
        .value_kind:     by_value
      - .actual_access:  read_only
        .address_space:  global
        .offset:         24
        .size:           8
        .value_kind:     global_buffer
      - .actual_access:  read_only
        .address_space:  global
        .offset:         32
        .size:           8
        .value_kind:     global_buffer
      - .actual_access:  read_only
        .address_space:  global
        .offset:         40
        .size:           8
        .value_kind:     global_buffer
      - .actual_access:  read_only
        .address_space:  global
        .offset:         48
        .size:           8
        .value_kind:     global_buffer
      - .offset:         56
        .size:           16
        .value_kind:     by_value
      - .address_space:  global
        .offset:         72
        .size:           8
        .value_kind:     global_buffer
      - .offset:         80
        .size:           4
        .value_kind:     by_value
      - .offset:         84
        .size:           1
        .value_kind:     by_value
    .group_segment_fixed_size: 0
    .kernarg_segment_align: 8
    .kernarg_segment_size: 88
    .language:       OpenCL C
    .language_version:
      - 2
      - 0
    .max_flat_workgroup_size: 128
    .name:           _ZN9rocsparseL19gebsrmvn_4xn_kernelILj128ELj8ELj8E21rocsparse_complex_numIdEEEvi20rocsparse_direction_NS_24const_host_device_scalarIT2_EEPKiS8_PKS5_SA_S6_PS5_21rocsparse_index_base_b
    .private_segment_fixed_size: 0
    .sgpr_count:     18
    .sgpr_spill_count: 0
    .symbol:         _ZN9rocsparseL19gebsrmvn_4xn_kernelILj128ELj8ELj8E21rocsparse_complex_numIdEEEvi20rocsparse_direction_NS_24const_host_device_scalarIT2_EEPKiS8_PKS5_SA_S6_PS5_21rocsparse_index_base_b.kd
    .uniform_work_group_size: 1
    .uses_dynamic_stack: false
    .vgpr_count:     80
    .vgpr_spill_count: 0
    .wavefront_size: 32
  - .args:
      - .offset:         0
        .size:           4
        .value_kind:     by_value
      - .offset:         4
        .size:           4
        .value_kind:     by_value
      - .offset:         8
        .size:           16
        .value_kind:     by_value
      - .actual_access:  read_only
        .address_space:  global
        .offset:         24
        .size:           8
        .value_kind:     global_buffer
      - .actual_access:  read_only
        .address_space:  global
        .offset:         32
        .size:           8
        .value_kind:     global_buffer
      - .actual_access:  read_only
        .address_space:  global
        .offset:         40
        .size:           8
        .value_kind:     global_buffer
      - .actual_access:  read_only
        .address_space:  global
        .offset:         48
        .size:           8
        .value_kind:     global_buffer
      - .offset:         56
        .size:           16
        .value_kind:     by_value
      - .address_space:  global
        .offset:         72
        .size:           8
        .value_kind:     global_buffer
      - .offset:         80
        .size:           4
        .value_kind:     by_value
      - .offset:         84
        .size:           1
        .value_kind:     by_value
    .group_segment_fixed_size: 0
    .kernarg_segment_align: 8
    .kernarg_segment_size: 88
    .language:       OpenCL C
    .language_version:
      - 2
      - 0
    .max_flat_workgroup_size: 128
    .name:           _ZN9rocsparseL19gebsrmvn_4xn_kernelILj128ELj8ELj16E21rocsparse_complex_numIdEEEvi20rocsparse_direction_NS_24const_host_device_scalarIT2_EEPKiS8_PKS5_SA_S6_PS5_21rocsparse_index_base_b
    .private_segment_fixed_size: 0
    .sgpr_count:     18
    .sgpr_spill_count: 0
    .symbol:         _ZN9rocsparseL19gebsrmvn_4xn_kernelILj128ELj8ELj16E21rocsparse_complex_numIdEEEvi20rocsparse_direction_NS_24const_host_device_scalarIT2_EEPKiS8_PKS5_SA_S6_PS5_21rocsparse_index_base_b.kd
    .uniform_work_group_size: 1
    .uses_dynamic_stack: false
    .vgpr_count:     80
    .vgpr_spill_count: 0
    .wavefront_size: 32
  - .args:
      - .offset:         0
        .size:           4
        .value_kind:     by_value
      - .offset:         4
        .size:           4
        .value_kind:     by_value
      - .offset:         8
        .size:           16
        .value_kind:     by_value
      - .actual_access:  read_only
        .address_space:  global
        .offset:         24
        .size:           8
        .value_kind:     global_buffer
      - .actual_access:  read_only
        .address_space:  global
        .offset:         32
        .size:           8
        .value_kind:     global_buffer
      - .actual_access:  read_only
        .address_space:  global
        .offset:         40
        .size:           8
        .value_kind:     global_buffer
      - .actual_access:  read_only
        .address_space:  global
        .offset:         48
        .size:           8
        .value_kind:     global_buffer
      - .offset:         56
        .size:           16
        .value_kind:     by_value
      - .address_space:  global
        .offset:         72
        .size:           8
        .value_kind:     global_buffer
      - .offset:         80
        .size:           4
        .value_kind:     by_value
      - .offset:         84
        .size:           1
        .value_kind:     by_value
    .group_segment_fixed_size: 0
    .kernarg_segment_align: 8
    .kernarg_segment_size: 88
    .language:       OpenCL C
    .language_version:
      - 2
      - 0
    .max_flat_workgroup_size: 128
    .name:           _ZN9rocsparseL19gebsrmvn_4xn_kernelILj128ELj8ELj32E21rocsparse_complex_numIdEEEvi20rocsparse_direction_NS_24const_host_device_scalarIT2_EEPKiS8_PKS5_SA_S6_PS5_21rocsparse_index_base_b
    .private_segment_fixed_size: 0
    .sgpr_count:     18
    .sgpr_spill_count: 0
    .symbol:         _ZN9rocsparseL19gebsrmvn_4xn_kernelILj128ELj8ELj32E21rocsparse_complex_numIdEEEvi20rocsparse_direction_NS_24const_host_device_scalarIT2_EEPKiS8_PKS5_SA_S6_PS5_21rocsparse_index_base_b.kd
    .uniform_work_group_size: 1
    .uses_dynamic_stack: false
    .vgpr_count:     80
    .vgpr_spill_count: 0
    .wavefront_size: 32
  - .args:
      - .offset:         0
        .size:           4
        .value_kind:     by_value
      - .offset:         4
        .size:           4
        .value_kind:     by_value
      - .offset:         8
        .size:           16
        .value_kind:     by_value
      - .actual_access:  read_only
        .address_space:  global
        .offset:         24
        .size:           8
        .value_kind:     global_buffer
      - .actual_access:  read_only
        .address_space:  global
        .offset:         32
        .size:           8
        .value_kind:     global_buffer
      - .actual_access:  read_only
        .address_space:  global
        .offset:         40
        .size:           8
        .value_kind:     global_buffer
      - .actual_access:  read_only
        .address_space:  global
        .offset:         48
        .size:           8
        .value_kind:     global_buffer
      - .offset:         56
        .size:           16
        .value_kind:     by_value
      - .address_space:  global
        .offset:         72
        .size:           8
        .value_kind:     global_buffer
      - .offset:         80
        .size:           4
        .value_kind:     by_value
      - .offset:         84
        .size:           1
        .value_kind:     by_value
    .group_segment_fixed_size: 0
    .kernarg_segment_align: 8
    .kernarg_segment_size: 88
    .language:       OpenCL C
    .language_version:
      - 2
      - 0
    .max_flat_workgroup_size: 128
    .name:           _ZN9rocsparseL19gebsrmvn_4xn_kernelILj128ELj8ELj64E21rocsparse_complex_numIdEEEvi20rocsparse_direction_NS_24const_host_device_scalarIT2_EEPKiS8_PKS5_SA_S6_PS5_21rocsparse_index_base_b
    .private_segment_fixed_size: 0
    .sgpr_count:     18
    .sgpr_spill_count: 0
    .symbol:         _ZN9rocsparseL19gebsrmvn_4xn_kernelILj128ELj8ELj64E21rocsparse_complex_numIdEEEvi20rocsparse_direction_NS_24const_host_device_scalarIT2_EEPKiS8_PKS5_SA_S6_PS5_21rocsparse_index_base_b.kd
    .uniform_work_group_size: 1
    .uses_dynamic_stack: false
    .vgpr_count:     80
    .vgpr_spill_count: 0
    .wavefront_size: 32
  - .args:
      - .offset:         0
        .size:           4
        .value_kind:     by_value
      - .offset:         4
        .size:           4
        .value_kind:     by_value
      - .offset:         8
        .size:           16
        .value_kind:     by_value
      - .actual_access:  read_only
        .address_space:  global
        .offset:         24
        .size:           8
        .value_kind:     global_buffer
      - .actual_access:  read_only
        .address_space:  global
        .offset:         32
        .size:           8
        .value_kind:     global_buffer
      - .actual_access:  read_only
        .address_space:  global
        .offset:         40
        .size:           8
        .value_kind:     global_buffer
      - .offset:         48
        .size:           4
        .value_kind:     by_value
      - .offset:         52
        .size:           4
        .value_kind:     by_value
      - .actual_access:  read_only
        .address_space:  global
        .offset:         56
        .size:           8
        .value_kind:     global_buffer
      - .offset:         64
        .size:           16
        .value_kind:     by_value
      - .address_space:  global
        .offset:         80
        .size:           8
        .value_kind:     global_buffer
      - .offset:         88
        .size:           4
        .value_kind:     by_value
      - .offset:         92
        .size:           1
        .value_kind:     by_value
    .group_segment_fixed_size: 0
    .kernarg_segment_align: 8
    .kernarg_segment_size: 96
    .language:       OpenCL C
    .language_version:
      - 2
      - 0
    .max_flat_workgroup_size: 64
    .name:           _ZN9rocsparseL23gebsrmvn_general_kernelILj64ELj16E21rocsparse_complex_numIdEEEvi20rocsparse_direction_NS_24const_host_device_scalarIT1_EEPKiS8_PKS5_iiSA_S6_PS5_21rocsparse_index_base_b
    .private_segment_fixed_size: 0
    .sgpr_count:     30
    .sgpr_spill_count: 0
    .symbol:         _ZN9rocsparseL23gebsrmvn_general_kernelILj64ELj16E21rocsparse_complex_numIdEEEvi20rocsparse_direction_NS_24const_host_device_scalarIT1_EEPKiS8_PKS5_iiSA_S6_PS5_21rocsparse_index_base_b.kd
    .uniform_work_group_size: 1
    .uses_dynamic_stack: false
    .vgpr_count:     32
    .vgpr_spill_count: 0
    .wavefront_size: 32
  - .args:
      - .offset:         0
        .size:           4
        .value_kind:     by_value
      - .offset:         4
        .size:           4
        .value_kind:     by_value
      - .offset:         8
        .size:           16
        .value_kind:     by_value
      - .actual_access:  read_only
        .address_space:  global
        .offset:         24
        .size:           8
        .value_kind:     global_buffer
      - .actual_access:  read_only
        .address_space:  global
        .offset:         32
        .size:           8
        .value_kind:     global_buffer
      - .actual_access:  read_only
        .address_space:  global
        .offset:         40
        .size:           8
        .value_kind:     global_buffer
      - .offset:         48
        .size:           4
        .value_kind:     by_value
      - .offset:         52
        .size:           4
        .value_kind:     by_value
      - .actual_access:  read_only
        .address_space:  global
        .offset:         56
        .size:           8
        .value_kind:     global_buffer
      - .offset:         64
        .size:           16
        .value_kind:     by_value
      - .address_space:  global
        .offset:         80
        .size:           8
        .value_kind:     global_buffer
      - .offset:         88
        .size:           4
        .value_kind:     by_value
      - .offset:         92
        .size:           1
        .value_kind:     by_value
    .group_segment_fixed_size: 0
    .kernarg_segment_align: 8
    .kernarg_segment_size: 96
    .language:       OpenCL C
    .language_version:
      - 2
      - 0
    .max_flat_workgroup_size: 128
    .name:           _ZN9rocsparseL23gebsrmvn_general_kernelILj128ELj32E21rocsparse_complex_numIdEEEvi20rocsparse_direction_NS_24const_host_device_scalarIT1_EEPKiS8_PKS5_iiSA_S6_PS5_21rocsparse_index_base_b
    .private_segment_fixed_size: 0
    .sgpr_count:     30
    .sgpr_spill_count: 0
    .symbol:         _ZN9rocsparseL23gebsrmvn_general_kernelILj128ELj32E21rocsparse_complex_numIdEEEvi20rocsparse_direction_NS_24const_host_device_scalarIT1_EEPKiS8_PKS5_iiSA_S6_PS5_21rocsparse_index_base_b.kd
    .uniform_work_group_size: 1
    .uses_dynamic_stack: false
    .vgpr_count:     32
    .vgpr_spill_count: 0
    .wavefront_size: 32
amdhsa.target:   amdgcn-amd-amdhsa--gfx1250
amdhsa.version:
  - 1
  - 2
...

	.end_amdgpu_metadata
